;; amdgpu-corpus repo=ROCm/rccl kind=compiled arch=gfx906 opt=O3
	.amdgcn_target "amdgcn-amd-amdhsa--gfx906"
	.amdhsa_code_object_version 6
	.text
	.p2align	2                               ; -- Begin function __ockl_fprintf_append_string_n
	.type	__ockl_fprintf_append_string_n,@function
__ockl_fprintf_append_string_n:         ; @__ockl_fprintf_append_string_n
; %bb.0:
	s_waitcnt vmcnt(0) expcnt(0) lgkmcnt(0)
	v_or_b32_e32 v2, 2, v0
	v_cmp_eq_u32_e32 vcc, 0, v6
	s_getpc_b64 s[4:5]
	s_add_u32 s4, s4, .str.3@rel32@lo+4
	s_addc_u32 s5, s5, .str.3@rel32@hi+12
	s_mov_b32 s20, 0
	v_cndmask_b32_e32 v36, v2, v0, vcc
	s_mov_b64 s[6:7], 0
	s_cmp_lg_u64 s[4:5], 0
	v_mbcnt_lo_u32_b32 v37, -1, 0
	s_cbranch_scc0 .LBB0_112
; %bb.1:
	s_load_dwordx2 s[10:11], s[8:9], 0x50
	s_getpc_b64 s[4:5]
	s_add_u32 s4, s4, .str.3@rel32@lo+4
	s_addc_u32 s5, s5, .str.3@rel32@hi+12
	v_and_b32_e32 v0, -3, v36
	v_mov_b32_e32 v31, s5
	v_mov_b32_e32 v11, v1
	v_and_b32_e32 v38, 2, v36
	v_mov_b32_e32 v3, 0
	v_mbcnt_hi_u32_b32 v39, -1, v37
	v_mov_b32_e32 v30, s4
	s_movk_i32 s21, 0x1e0
	v_mov_b32_e32 v8, 2
	v_mov_b32_e32 v9, 1
	;; [unrolled: 1-line block ×3, first 2 shown]
	s_branch .LBB0_3
.LBB0_2:                                ;   in Loop: Header=BB0_3 Depth=1
	s_or_b64 exec, exec, s[14:15]
	v_sub_co_u32_e32 v4, vcc, v4, v32
	v_subb_co_u32_e32 v5, vcc, v5, v33, vcc
	v_cmp_eq_u64_e32 vcc, 0, v[4:5]
	s_or_b64 s[6:7], vcc, s[6:7]
	v_add_co_u32_e32 v30, vcc, v30, v32
	v_addc_co_u32_e32 v31, vcc, v31, v33, vcc
	s_andn2_b64 exec, exec, s[6:7]
	s_cbranch_execz .LBB0_85
.LBB0_3:                                ; =>This Loop Header: Depth=1
                                        ;     Child Loop BB0_6 Depth 2
                                        ;     Child Loop BB0_14 Depth 2
	;; [unrolled: 1-line block ×11, first 2 shown]
	v_cmp_gt_u64_e32 vcc, 56, v[4:5]
	v_add_co_u32_e64 v16, s[4:5], 8, v30
	v_cndmask_b32_e32 v33, 0, v5, vcc
	v_cndmask_b32_e32 v32, 56, v4, vcc
	v_cmp_gt_u64_e32 vcc, 8, v[4:5]
	v_addc_co_u32_e64 v17, s[4:5], 0, v31, s[4:5]
	s_and_saveexec_b64 s[4:5], vcc
	s_xor_b64 s[4:5], exec, s[4:5]
	s_cbranch_execz .LBB0_9
; %bb.4:                                ;   in Loop: Header=BB0_3 Depth=1
	s_waitcnt vmcnt(0)
	v_mov_b32_e32 v12, 0
	v_cmp_ne_u64_e32 vcc, 0, v[4:5]
	v_mov_b32_e32 v13, 0
	s_and_saveexec_b64 s[12:13], vcc
	s_cbranch_execz .LBB0_8
; %bb.5:                                ;   in Loop: Header=BB0_3 Depth=1
	v_lshlrev_b64 v[6:7], 3, v[32:33]
	v_mov_b32_e32 v12, 0
	v_mov_b32_e32 v14, v30
	s_mov_b64 s[14:15], 0
	v_mov_b32_e32 v13, 0
	v_mov_b32_e32 v15, v31
	s_mov_b64 s[16:17], 0
.LBB0_6:                                ;   Parent Loop BB0_3 Depth=1
                                        ; =>  This Inner Loop Header: Depth=2
	global_load_ubyte v0, v[14:15], off
	v_mov_b32_e32 v17, s20
	v_add_co_u32_e32 v14, vcc, 1, v14
	v_addc_co_u32_e32 v15, vcc, 0, v15, vcc
	s_waitcnt vmcnt(0)
	v_and_b32_e32 v16, 0xffff, v0
	v_lshlrev_b64 v[16:17], s16, v[16:17]
	s_add_u32 s16, s16, 8
	s_addc_u32 s17, s17, 0
	v_cmp_eq_u32_e32 vcc, s16, v6
	v_or_b32_e32 v13, v17, v13
	s_or_b64 s[14:15], vcc, s[14:15]
	v_or_b32_e32 v12, v16, v12
	s_andn2_b64 exec, exec, s[14:15]
	s_cbranch_execnz .LBB0_6
; %bb.7:                                ;   in Loop: Header=BB0_3 Depth=1
	s_or_b64 exec, exec, s[14:15]
.LBB0_8:                                ;   in Loop: Header=BB0_3 Depth=1
	s_or_b64 exec, exec, s[12:13]
	v_mov_b32_e32 v16, v30
	v_mov_b32_e32 v17, v31
.LBB0_9:                                ;   in Loop: Header=BB0_3 Depth=1
	s_or_saveexec_b64 s[4:5], s[4:5]
	v_mov_b32_e32 v0, 0
	s_xor_b64 exec, exec, s[4:5]
	s_cbranch_execz .LBB0_11
; %bb.10:                               ;   in Loop: Header=BB0_3 Depth=1
	global_load_dwordx2 v[12:13], v[30:31], off
	v_add_u32_e32 v0, -8, v32
.LBB0_11:                               ;   in Loop: Header=BB0_3 Depth=1
	s_or_b64 exec, exec, s[4:5]
	v_add_co_u32_e64 v6, s[4:5], 8, v16
	v_cmp_gt_u32_e32 vcc, 8, v0
	v_addc_co_u32_e64 v7, s[4:5], 0, v17, s[4:5]
                                        ; implicit-def: $vgpr14_vgpr15
	s_and_saveexec_b64 s[4:5], vcc
	s_xor_b64 s[4:5], exec, s[4:5]
	s_cbranch_execz .LBB0_17
; %bb.12:                               ;   in Loop: Header=BB0_3 Depth=1
	v_mov_b32_e32 v14, 0
	v_mov_b32_e32 v15, 0
	v_cmp_ne_u32_e32 vcc, 0, v0
	s_and_saveexec_b64 s[12:13], vcc
	s_cbranch_execz .LBB0_16
; %bb.13:                               ;   in Loop: Header=BB0_3 Depth=1
	v_mov_b32_e32 v14, 0
	s_mov_b64 s[14:15], 0
	v_mov_b32_e32 v15, 0
	s_mov_b64 s[16:17], 0
	s_mov_b64 s[18:19], 0
.LBB0_14:                               ;   Parent Loop BB0_3 Depth=1
                                        ; =>  This Inner Loop Header: Depth=2
	v_mov_b32_e32 v2, s19
	v_add_co_u32_e32 v6, vcc, s18, v16
	v_addc_co_u32_e32 v7, vcc, v17, v2, vcc
	global_load_ubyte v2, v[6:7], off
	s_add_u32 s18, s18, 1
	v_mov_b32_e32 v7, s20
	s_addc_u32 s19, s19, 0
	v_cmp_eq_u32_e32 vcc, s18, v0
	s_waitcnt vmcnt(0)
	v_and_b32_e32 v6, 0xffff, v2
	v_lshlrev_b64 v[6:7], s16, v[6:7]
	s_add_u32 s16, s16, 8
	s_addc_u32 s17, s17, 0
	v_or_b32_e32 v15, v7, v15
	s_or_b64 s[14:15], vcc, s[14:15]
	v_or_b32_e32 v14, v6, v14
	s_andn2_b64 exec, exec, s[14:15]
	s_cbranch_execnz .LBB0_14
; %bb.15:                               ;   in Loop: Header=BB0_3 Depth=1
	s_or_b64 exec, exec, s[14:15]
.LBB0_16:                               ;   in Loop: Header=BB0_3 Depth=1
	s_or_b64 exec, exec, s[12:13]
	v_mov_b32_e32 v6, v16
	v_mov_b32_e32 v7, v17
                                        ; implicit-def: $vgpr0
.LBB0_17:                               ;   in Loop: Header=BB0_3 Depth=1
	s_or_saveexec_b64 s[4:5], s[4:5]
	v_mov_b32_e32 v2, 0
	s_xor_b64 exec, exec, s[4:5]
	s_cbranch_execz .LBB0_19
; %bb.18:                               ;   in Loop: Header=BB0_3 Depth=1
	global_load_dwordx2 v[14:15], v[16:17], off
	v_add_u32_e32 v2, -8, v0
.LBB0_19:                               ;   in Loop: Header=BB0_3 Depth=1
	s_or_b64 exec, exec, s[4:5]
	v_add_co_u32_e64 v20, s[4:5], 8, v6
	v_cmp_gt_u32_e32 vcc, 8, v2
	v_addc_co_u32_e64 v21, s[4:5], 0, v7, s[4:5]
	s_and_saveexec_b64 s[4:5], vcc
	s_xor_b64 s[4:5], exec, s[4:5]
	s_cbranch_execz .LBB0_25
; %bb.20:                               ;   in Loop: Header=BB0_3 Depth=1
	v_mov_b32_e32 v16, 0
	v_mov_b32_e32 v17, 0
	v_cmp_ne_u32_e32 vcc, 0, v2
	s_and_saveexec_b64 s[12:13], vcc
	s_cbranch_execz .LBB0_24
; %bb.21:                               ;   in Loop: Header=BB0_3 Depth=1
	v_mov_b32_e32 v16, 0
	s_mov_b64 s[14:15], 0
	v_mov_b32_e32 v17, 0
	s_mov_b64 s[16:17], 0
	s_mov_b64 s[18:19], 0
.LBB0_22:                               ;   Parent Loop BB0_3 Depth=1
                                        ; =>  This Inner Loop Header: Depth=2
	v_mov_b32_e32 v0, s19
	v_add_co_u32_e32 v18, vcc, s18, v6
	v_addc_co_u32_e32 v19, vcc, v7, v0, vcc
	global_load_ubyte v0, v[18:19], off
	s_add_u32 s18, s18, 1
	v_mov_b32_e32 v19, s20
	s_addc_u32 s19, s19, 0
	v_cmp_eq_u32_e32 vcc, s18, v2
	s_waitcnt vmcnt(0)
	v_and_b32_e32 v18, 0xffff, v0
	v_lshlrev_b64 v[18:19], s16, v[18:19]
	s_add_u32 s16, s16, 8
	s_addc_u32 s17, s17, 0
	v_or_b32_e32 v17, v19, v17
	s_or_b64 s[14:15], vcc, s[14:15]
	v_or_b32_e32 v16, v18, v16
	s_andn2_b64 exec, exec, s[14:15]
	s_cbranch_execnz .LBB0_22
; %bb.23:                               ;   in Loop: Header=BB0_3 Depth=1
	s_or_b64 exec, exec, s[14:15]
.LBB0_24:                               ;   in Loop: Header=BB0_3 Depth=1
	s_or_b64 exec, exec, s[12:13]
	v_mov_b32_e32 v21, v7
	v_mov_b32_e32 v20, v6
                                        ; implicit-def: $vgpr2
.LBB0_25:                               ;   in Loop: Header=BB0_3 Depth=1
	s_or_saveexec_b64 s[4:5], s[4:5]
	v_mov_b32_e32 v0, 0
	s_xor_b64 exec, exec, s[4:5]
	s_cbranch_execz .LBB0_27
; %bb.26:                               ;   in Loop: Header=BB0_3 Depth=1
	global_load_dwordx2 v[16:17], v[6:7], off
	v_add_u32_e32 v0, -8, v2
.LBB0_27:                               ;   in Loop: Header=BB0_3 Depth=1
	s_or_b64 exec, exec, s[4:5]
	v_add_co_u32_e64 v6, s[4:5], 8, v20
	v_cmp_gt_u32_e32 vcc, 8, v0
	v_addc_co_u32_e64 v7, s[4:5], 0, v21, s[4:5]
                                        ; implicit-def: $vgpr18_vgpr19
	s_and_saveexec_b64 s[4:5], vcc
	s_xor_b64 s[4:5], exec, s[4:5]
	s_cbranch_execz .LBB0_33
; %bb.28:                               ;   in Loop: Header=BB0_3 Depth=1
	v_mov_b32_e32 v18, 0
	v_mov_b32_e32 v19, 0
	v_cmp_ne_u32_e32 vcc, 0, v0
	s_and_saveexec_b64 s[12:13], vcc
	s_cbranch_execz .LBB0_32
; %bb.29:                               ;   in Loop: Header=BB0_3 Depth=1
	v_mov_b32_e32 v18, 0
	s_mov_b64 s[14:15], 0
	v_mov_b32_e32 v19, 0
	s_mov_b64 s[16:17], 0
	s_mov_b64 s[18:19], 0
.LBB0_30:                               ;   Parent Loop BB0_3 Depth=1
                                        ; =>  This Inner Loop Header: Depth=2
	v_mov_b32_e32 v2, s19
	v_add_co_u32_e32 v6, vcc, s18, v20
	v_addc_co_u32_e32 v7, vcc, v21, v2, vcc
	global_load_ubyte v2, v[6:7], off
	s_add_u32 s18, s18, 1
	v_mov_b32_e32 v7, s20
	s_addc_u32 s19, s19, 0
	v_cmp_eq_u32_e32 vcc, s18, v0
	s_waitcnt vmcnt(0)
	v_and_b32_e32 v6, 0xffff, v2
	v_lshlrev_b64 v[6:7], s16, v[6:7]
	s_add_u32 s16, s16, 8
	s_addc_u32 s17, s17, 0
	v_or_b32_e32 v19, v7, v19
	s_or_b64 s[14:15], vcc, s[14:15]
	v_or_b32_e32 v18, v6, v18
	s_andn2_b64 exec, exec, s[14:15]
	s_cbranch_execnz .LBB0_30
; %bb.31:                               ;   in Loop: Header=BB0_3 Depth=1
	s_or_b64 exec, exec, s[14:15]
.LBB0_32:                               ;   in Loop: Header=BB0_3 Depth=1
	s_or_b64 exec, exec, s[12:13]
	v_mov_b32_e32 v6, v20
	v_mov_b32_e32 v7, v21
                                        ; implicit-def: $vgpr0
.LBB0_33:                               ;   in Loop: Header=BB0_3 Depth=1
	s_or_saveexec_b64 s[4:5], s[4:5]
	v_mov_b32_e32 v2, 0
	s_xor_b64 exec, exec, s[4:5]
	s_cbranch_execz .LBB0_35
; %bb.34:                               ;   in Loop: Header=BB0_3 Depth=1
	global_load_dwordx2 v[18:19], v[20:21], off
	v_add_u32_e32 v2, -8, v0
.LBB0_35:                               ;   in Loop: Header=BB0_3 Depth=1
	s_or_b64 exec, exec, s[4:5]
	v_add_co_u32_e64 v24, s[4:5], 8, v6
	v_cmp_gt_u32_e32 vcc, 8, v2
	v_addc_co_u32_e64 v25, s[4:5], 0, v7, s[4:5]
	s_and_saveexec_b64 s[4:5], vcc
	s_xor_b64 s[4:5], exec, s[4:5]
	s_cbranch_execz .LBB0_41
; %bb.36:                               ;   in Loop: Header=BB0_3 Depth=1
	v_mov_b32_e32 v20, 0
	v_mov_b32_e32 v21, 0
	v_cmp_ne_u32_e32 vcc, 0, v2
	s_and_saveexec_b64 s[12:13], vcc
	s_cbranch_execz .LBB0_40
; %bb.37:                               ;   in Loop: Header=BB0_3 Depth=1
	v_mov_b32_e32 v20, 0
	s_mov_b64 s[14:15], 0
	v_mov_b32_e32 v21, 0
	s_mov_b64 s[16:17], 0
	s_mov_b64 s[18:19], 0
.LBB0_38:                               ;   Parent Loop BB0_3 Depth=1
                                        ; =>  This Inner Loop Header: Depth=2
	v_mov_b32_e32 v0, s19
	v_add_co_u32_e32 v22, vcc, s18, v6
	v_addc_co_u32_e32 v23, vcc, v7, v0, vcc
	global_load_ubyte v0, v[22:23], off
	s_add_u32 s18, s18, 1
	v_mov_b32_e32 v23, s20
	s_addc_u32 s19, s19, 0
	v_cmp_eq_u32_e32 vcc, s18, v2
	s_waitcnt vmcnt(0)
	v_and_b32_e32 v22, 0xffff, v0
	v_lshlrev_b64 v[22:23], s16, v[22:23]
	s_add_u32 s16, s16, 8
	s_addc_u32 s17, s17, 0
	v_or_b32_e32 v21, v23, v21
	s_or_b64 s[14:15], vcc, s[14:15]
	v_or_b32_e32 v20, v22, v20
	s_andn2_b64 exec, exec, s[14:15]
	s_cbranch_execnz .LBB0_38
; %bb.39:                               ;   in Loop: Header=BB0_3 Depth=1
	s_or_b64 exec, exec, s[14:15]
.LBB0_40:                               ;   in Loop: Header=BB0_3 Depth=1
	s_or_b64 exec, exec, s[12:13]
	v_mov_b32_e32 v25, v7
	v_mov_b32_e32 v24, v6
                                        ; implicit-def: $vgpr2
.LBB0_41:                               ;   in Loop: Header=BB0_3 Depth=1
	s_or_saveexec_b64 s[4:5], s[4:5]
	v_mov_b32_e32 v0, 0
	s_xor_b64 exec, exec, s[4:5]
	s_cbranch_execz .LBB0_43
; %bb.42:                               ;   in Loop: Header=BB0_3 Depth=1
	global_load_dwordx2 v[20:21], v[6:7], off
	v_add_u32_e32 v0, -8, v2
.LBB0_43:                               ;   in Loop: Header=BB0_3 Depth=1
	s_or_b64 exec, exec, s[4:5]
	v_add_co_u32_e64 v6, s[4:5], 8, v24
	v_cmp_gt_u32_e32 vcc, 8, v0
	v_addc_co_u32_e64 v7, s[4:5], 0, v25, s[4:5]
                                        ; implicit-def: $vgpr22_vgpr23
	s_and_saveexec_b64 s[4:5], vcc
	s_xor_b64 s[4:5], exec, s[4:5]
	s_cbranch_execz .LBB0_49
; %bb.44:                               ;   in Loop: Header=BB0_3 Depth=1
	v_mov_b32_e32 v22, 0
	v_mov_b32_e32 v23, 0
	v_cmp_ne_u32_e32 vcc, 0, v0
	s_and_saveexec_b64 s[12:13], vcc
	s_cbranch_execz .LBB0_48
; %bb.45:                               ;   in Loop: Header=BB0_3 Depth=1
	v_mov_b32_e32 v22, 0
	s_mov_b64 s[14:15], 0
	v_mov_b32_e32 v23, 0
	s_mov_b64 s[16:17], 0
	s_mov_b64 s[18:19], 0
.LBB0_46:                               ;   Parent Loop BB0_3 Depth=1
                                        ; =>  This Inner Loop Header: Depth=2
	v_mov_b32_e32 v2, s19
	v_add_co_u32_e32 v6, vcc, s18, v24
	v_addc_co_u32_e32 v7, vcc, v25, v2, vcc
	global_load_ubyte v2, v[6:7], off
	s_add_u32 s18, s18, 1
	v_mov_b32_e32 v7, s20
	s_addc_u32 s19, s19, 0
	v_cmp_eq_u32_e32 vcc, s18, v0
	s_waitcnt vmcnt(0)
	v_and_b32_e32 v6, 0xffff, v2
	v_lshlrev_b64 v[6:7], s16, v[6:7]
	s_add_u32 s16, s16, 8
	s_addc_u32 s17, s17, 0
	v_or_b32_e32 v23, v7, v23
	s_or_b64 s[14:15], vcc, s[14:15]
	v_or_b32_e32 v22, v6, v22
	s_andn2_b64 exec, exec, s[14:15]
	s_cbranch_execnz .LBB0_46
; %bb.47:                               ;   in Loop: Header=BB0_3 Depth=1
	s_or_b64 exec, exec, s[14:15]
.LBB0_48:                               ;   in Loop: Header=BB0_3 Depth=1
	s_or_b64 exec, exec, s[12:13]
	v_mov_b32_e32 v6, v24
	v_mov_b32_e32 v7, v25
                                        ; implicit-def: $vgpr0
.LBB0_49:                               ;   in Loop: Header=BB0_3 Depth=1
	s_or_saveexec_b64 s[4:5], s[4:5]
	v_mov_b32_e32 v2, 0
	s_xor_b64 exec, exec, s[4:5]
	s_cbranch_execz .LBB0_51
; %bb.50:                               ;   in Loop: Header=BB0_3 Depth=1
	global_load_dwordx2 v[22:23], v[24:25], off
	v_add_u32_e32 v2, -8, v0
.LBB0_51:                               ;   in Loop: Header=BB0_3 Depth=1
	s_or_b64 exec, exec, s[4:5]
	v_cmp_gt_u32_e32 vcc, 8, v2
	s_and_saveexec_b64 s[4:5], vcc
	s_xor_b64 s[4:5], exec, s[4:5]
	s_cbranch_execz .LBB0_57
; %bb.52:                               ;   in Loop: Header=BB0_3 Depth=1
	v_mov_b32_e32 v24, 0
	v_mov_b32_e32 v25, 0
	v_cmp_ne_u32_e32 vcc, 0, v2
	s_and_saveexec_b64 s[12:13], vcc
	s_cbranch_execz .LBB0_56
; %bb.53:                               ;   in Loop: Header=BB0_3 Depth=1
	v_mov_b32_e32 v24, 0
	s_mov_b64 s[14:15], 0
	v_mov_b32_e32 v25, 0
	s_mov_b64 s[16:17], 0
.LBB0_54:                               ;   Parent Loop BB0_3 Depth=1
                                        ; =>  This Inner Loop Header: Depth=2
	global_load_ubyte v0, v[6:7], off
	v_mov_b32_e32 v27, s20
	v_add_co_u32_e32 v6, vcc, 1, v6
	v_add_u32_e32 v2, -1, v2
	v_addc_co_u32_e32 v7, vcc, 0, v7, vcc
	v_cmp_eq_u32_e32 vcc, 0, v2
	s_waitcnt vmcnt(0)
	v_and_b32_e32 v26, 0xffff, v0
	v_lshlrev_b64 v[26:27], s16, v[26:27]
	s_add_u32 s16, s16, 8
	s_addc_u32 s17, s17, 0
	v_or_b32_e32 v25, v27, v25
	s_or_b64 s[14:15], vcc, s[14:15]
	v_or_b32_e32 v24, v26, v24
	s_andn2_b64 exec, exec, s[14:15]
	s_cbranch_execnz .LBB0_54
; %bb.55:                               ;   in Loop: Header=BB0_3 Depth=1
	s_or_b64 exec, exec, s[14:15]
.LBB0_56:                               ;   in Loop: Header=BB0_3 Depth=1
	s_or_b64 exec, exec, s[12:13]
                                        ; implicit-def: $vgpr6_vgpr7
.LBB0_57:                               ;   in Loop: Header=BB0_3 Depth=1
	s_andn2_saveexec_b64 s[4:5], s[4:5]
	s_cbranch_execz .LBB0_59
; %bb.58:                               ;   in Loop: Header=BB0_3 Depth=1
	global_load_dwordx2 v[24:25], v[6:7], off
.LBB0_59:                               ;   in Loop: Header=BB0_3 Depth=1
	s_or_b64 exec, exec, s[4:5]
	v_readfirstlane_b32 s4, v39
	v_mov_b32_e32 v6, 0
	v_mov_b32_e32 v7, 0
	v_cmp_eq_u32_e64 s[4:5], s4, v39
	s_and_saveexec_b64 s[12:13], s[4:5]
	s_cbranch_execz .LBB0_65
; %bb.60:                               ;   in Loop: Header=BB0_3 Depth=1
	s_waitcnt lgkmcnt(0)
	global_load_dwordx2 v[28:29], v3, s[10:11] offset:24 glc
	s_waitcnt vmcnt(0)
	buffer_wbinvl1_vol
	global_load_dwordx2 v[6:7], v3, s[10:11] offset:40
	global_load_dwordx2 v[26:27], v3, s[10:11]
	s_waitcnt vmcnt(1)
	v_and_b32_e32 v0, v6, v28
	v_and_b32_e32 v2, v7, v29
	v_mul_lo_u32 v2, v2, 24
	v_mul_hi_u32 v6, v0, 24
	v_mul_lo_u32 v0, v0, 24
	v_add_u32_e32 v2, v6, v2
	s_waitcnt vmcnt(0)
	v_add_co_u32_e32 v6, vcc, v26, v0
	v_addc_co_u32_e32 v7, vcc, v27, v2, vcc
	global_load_dwordx2 v[26:27], v[6:7], off glc
	s_waitcnt vmcnt(0)
	global_atomic_cmpswap_x2 v[6:7], v3, v[26:29], s[10:11] offset:24 glc
	s_waitcnt vmcnt(0)
	buffer_wbinvl1_vol
	v_cmp_ne_u64_e32 vcc, v[6:7], v[28:29]
	s_and_saveexec_b64 s[14:15], vcc
	s_cbranch_execz .LBB0_64
; %bb.61:                               ;   in Loop: Header=BB0_3 Depth=1
	s_mov_b64 s[16:17], 0
.LBB0_62:                               ;   Parent Loop BB0_3 Depth=1
                                        ; =>  This Inner Loop Header: Depth=2
	s_sleep 1
	global_load_dwordx2 v[26:27], v3, s[10:11] offset:40
	global_load_dwordx2 v[34:35], v3, s[10:11]
	v_mov_b32_e32 v29, v7
	v_mov_b32_e32 v28, v6
	s_waitcnt vmcnt(1)
	v_and_b32_e32 v0, v26, v28
	s_waitcnt vmcnt(0)
	v_mad_u64_u32 v[6:7], s[18:19], v0, 24, v[34:35]
	v_and_b32_e32 v2, v27, v29
	v_mov_b32_e32 v0, v7
	v_mad_u64_u32 v[26:27], s[18:19], v2, 24, v[0:1]
	v_mov_b32_e32 v7, v26
	global_load_dwordx2 v[26:27], v[6:7], off glc
	s_waitcnt vmcnt(0)
	global_atomic_cmpswap_x2 v[6:7], v3, v[26:29], s[10:11] offset:24 glc
	s_waitcnt vmcnt(0)
	buffer_wbinvl1_vol
	v_cmp_eq_u64_e32 vcc, v[6:7], v[28:29]
	s_or_b64 s[16:17], vcc, s[16:17]
	s_andn2_b64 exec, exec, s[16:17]
	s_cbranch_execnz .LBB0_62
; %bb.63:                               ;   in Loop: Header=BB0_3 Depth=1
	s_or_b64 exec, exec, s[16:17]
.LBB0_64:                               ;   in Loop: Header=BB0_3 Depth=1
	s_or_b64 exec, exec, s[14:15]
.LBB0_65:                               ;   in Loop: Header=BB0_3 Depth=1
	s_or_b64 exec, exec, s[12:13]
	s_waitcnt lgkmcnt(0)
	global_load_dwordx2 v[34:35], v3, s[10:11] offset:40
	global_load_dwordx4 v[26:29], v3, s[10:11]
	v_readfirstlane_b32 s13, v7
	v_readfirstlane_b32 s12, v6
	s_mov_b64 s[14:15], exec
	s_waitcnt vmcnt(1)
	v_readfirstlane_b32 s16, v34
	v_readfirstlane_b32 s17, v35
	s_and_b64 s[16:17], s[16:17], s[12:13]
	s_mul_i32 s18, s17, 24
	s_mul_hi_u32 s19, s16, 24
	s_mul_i32 s22, s16, 24
	s_add_i32 s18, s19, s18
	v_mov_b32_e32 v0, s18
	s_waitcnt vmcnt(0)
	v_add_co_u32_e32 v34, vcc, s22, v26
	v_addc_co_u32_e32 v35, vcc, v27, v0, vcc
	s_and_saveexec_b64 s[18:19], s[4:5]
	s_cbranch_execz .LBB0_67
; %bb.66:                               ;   in Loop: Header=BB0_3 Depth=1
	v_mov_b32_e32 v6, s14
	v_mov_b32_e32 v7, s15
	global_store_dwordx4 v[34:35], v[6:9], off offset:8
.LBB0_67:                               ;   in Loop: Header=BB0_3 Depth=1
	s_or_b64 exec, exec, s[18:19]
	s_lshl_b64 s[14:15], s[16:17], 12
	v_mov_b32_e32 v2, s15
	v_add_co_u32_e32 v0, vcc, s14, v28
	v_addc_co_u32_e32 v28, vcc, v29, v2, vcc
	v_cmp_gt_u64_e32 vcc, 57, v[4:5]
	v_and_b32_e32 v7, 0xffffff1f, v10
	v_cndmask_b32_e32 v2, 0, v38, vcc
	v_lshl_add_u32 v6, v32, 2, 28
	v_or_b32_e32 v2, v7, v2
	v_and_or_b32 v10, v6, s21, v2
	v_lshlrev_b32_e32 v29, 6, v39
	v_readfirstlane_b32 s14, v0
	v_readfirstlane_b32 s15, v28
	s_nop 4
	global_store_dwordx4 v29, v[10:13], s[14:15]
	global_store_dwordx4 v29, v[14:17], s[14:15] offset:16
	global_store_dwordx4 v29, v[18:21], s[14:15] offset:32
	;; [unrolled: 1-line block ×3, first 2 shown]
	s_and_saveexec_b64 s[14:15], s[4:5]
	s_cbranch_execz .LBB0_75
; %bb.68:                               ;   in Loop: Header=BB0_3 Depth=1
	global_load_dwordx2 v[14:15], v3, s[10:11] offset:32 glc
	global_load_dwordx2 v[6:7], v3, s[10:11] offset:40
	v_mov_b32_e32 v12, s12
	v_mov_b32_e32 v13, s13
	s_waitcnt vmcnt(0)
	v_readfirstlane_b32 s16, v6
	v_readfirstlane_b32 s17, v7
	s_and_b64 s[16:17], s[16:17], s[12:13]
	s_mul_i32 s17, s17, 24
	s_mul_hi_u32 s18, s16, 24
	s_mul_i32 s16, s16, 24
	s_add_i32 s17, s18, s17
	v_mov_b32_e32 v2, s17
	v_add_co_u32_e32 v6, vcc, s16, v26
	v_addc_co_u32_e32 v7, vcc, v27, v2, vcc
	global_store_dwordx2 v[6:7], v[14:15], off
	s_waitcnt vmcnt(0)
	global_atomic_cmpswap_x2 v[12:13], v3, v[12:15], s[10:11] offset:32 glc
	s_waitcnt vmcnt(0)
	v_cmp_ne_u64_e32 vcc, v[12:13], v[14:15]
	s_and_saveexec_b64 s[16:17], vcc
	s_cbranch_execz .LBB0_71
; %bb.69:                               ;   in Loop: Header=BB0_3 Depth=1
	s_mov_b64 s[18:19], 0
.LBB0_70:                               ;   Parent Loop BB0_3 Depth=1
                                        ; =>  This Inner Loop Header: Depth=2
	s_sleep 1
	global_store_dwordx2 v[6:7], v[12:13], off
	v_mov_b32_e32 v10, s12
	v_mov_b32_e32 v11, s13
	s_waitcnt vmcnt(0)
	global_atomic_cmpswap_x2 v[10:11], v3, v[10:13], s[10:11] offset:32 glc
	s_waitcnt vmcnt(0)
	v_cmp_eq_u64_e32 vcc, v[10:11], v[12:13]
	v_mov_b32_e32 v13, v11
	s_or_b64 s[18:19], vcc, s[18:19]
	v_mov_b32_e32 v12, v10
	s_andn2_b64 exec, exec, s[18:19]
	s_cbranch_execnz .LBB0_70
.LBB0_71:                               ;   in Loop: Header=BB0_3 Depth=1
	s_or_b64 exec, exec, s[16:17]
	global_load_dwordx2 v[6:7], v3, s[10:11] offset:16
	s_mov_b64 s[18:19], exec
	v_mbcnt_lo_u32_b32 v2, s18, 0
	v_mbcnt_hi_u32_b32 v2, s19, v2
	v_cmp_eq_u32_e32 vcc, 0, v2
	s_and_saveexec_b64 s[16:17], vcc
	s_cbranch_execz .LBB0_73
; %bb.72:                               ;   in Loop: Header=BB0_3 Depth=1
	s_bcnt1_i32_b64 s18, s[18:19]
	v_mov_b32_e32 v2, s18
	s_waitcnt vmcnt(0)
	global_atomic_add_x2 v[6:7], v[2:3], off offset:8
.LBB0_73:                               ;   in Loop: Header=BB0_3 Depth=1
	s_or_b64 exec, exec, s[16:17]
	s_waitcnt vmcnt(0)
	global_load_dwordx2 v[10:11], v[6:7], off offset:16
	s_waitcnt vmcnt(0)
	v_cmp_eq_u64_e32 vcc, 0, v[10:11]
	s_cbranch_vccnz .LBB0_75
; %bb.74:                               ;   in Loop: Header=BB0_3 Depth=1
	global_load_dword v2, v[6:7], off offset:24
	s_waitcnt vmcnt(0)
	v_readfirstlane_b32 s16, v2
	s_and_b32 m0, s16, 0xffffff
	global_store_dwordx2 v[10:11], v[2:3], off
	s_sendmsg sendmsg(MSG_INTERRUPT)
.LBB0_75:                               ;   in Loop: Header=BB0_3 Depth=1
	s_or_b64 exec, exec, s[14:15]
	v_add_co_u32_e32 v6, vcc, v0, v29
	v_addc_co_u32_e32 v7, vcc, 0, v28, vcc
	s_branch .LBB0_79
.LBB0_76:                               ;   in Loop: Header=BB0_79 Depth=2
	s_or_b64 exec, exec, s[14:15]
	v_readfirstlane_b32 s14, v0
	s_cmp_eq_u32 s14, 0
	s_cbranch_scc1 .LBB0_78
; %bb.77:                               ;   in Loop: Header=BB0_79 Depth=2
	s_sleep 1
	s_cbranch_execnz .LBB0_79
	s_branch .LBB0_81
.LBB0_78:                               ;   in Loop: Header=BB0_3 Depth=1
	s_branch .LBB0_81
.LBB0_79:                               ;   Parent Loop BB0_3 Depth=1
                                        ; =>  This Inner Loop Header: Depth=2
	v_mov_b32_e32 v0, 1
	s_and_saveexec_b64 s[14:15], s[4:5]
	s_cbranch_execz .LBB0_76
; %bb.80:                               ;   in Loop: Header=BB0_79 Depth=2
	global_load_dword v0, v[34:35], off offset:20 glc
	s_waitcnt vmcnt(0)
	buffer_wbinvl1_vol
	v_and_b32_e32 v0, 1, v0
	s_branch .LBB0_76
.LBB0_81:                               ;   in Loop: Header=BB0_3 Depth=1
	global_load_dwordx4 v[10:13], v[6:7], off
	s_and_saveexec_b64 s[14:15], s[4:5]
	s_cbranch_execz .LBB0_2
; %bb.82:                               ;   in Loop: Header=BB0_3 Depth=1
	global_load_dwordx2 v[6:7], v3, s[10:11] offset:40
	global_load_dwordx2 v[16:17], v3, s[10:11] offset:24 glc
	global_load_dwordx2 v[12:13], v3, s[10:11]
	s_waitcnt vmcnt(2)
	v_readfirstlane_b32 s16, v6
	v_readfirstlane_b32 s17, v7
	s_add_u32 s18, s16, 1
	s_addc_u32 s19, s17, 0
	s_add_u32 s4, s18, s12
	s_addc_u32 s5, s19, s13
	s_cmp_eq_u64 s[4:5], 0
	s_cselect_b32 s5, s19, s5
	s_cselect_b32 s4, s18, s4
	s_and_b64 s[12:13], s[4:5], s[16:17]
	s_mul_i32 s13, s13, 24
	s_mul_hi_u32 s16, s12, 24
	s_mul_i32 s12, s12, 24
	s_add_i32 s13, s16, s13
	v_mov_b32_e32 v0, s13
	s_waitcnt vmcnt(0)
	v_add_co_u32_e32 v6, vcc, s12, v12
	v_addc_co_u32_e32 v7, vcc, v13, v0, vcc
	v_mov_b32_e32 v14, s4
	global_store_dwordx2 v[6:7], v[16:17], off
	v_mov_b32_e32 v15, s5
	s_waitcnt vmcnt(0)
	global_atomic_cmpswap_x2 v[14:15], v3, v[14:17], s[10:11] offset:24 glc
	s_waitcnt vmcnt(0)
	v_cmp_ne_u64_e32 vcc, v[14:15], v[16:17]
	s_and_b64 exec, exec, vcc
	s_cbranch_execz .LBB0_2
; %bb.83:                               ;   in Loop: Header=BB0_3 Depth=1
	s_mov_b64 s[12:13], 0
.LBB0_84:                               ;   Parent Loop BB0_3 Depth=1
                                        ; =>  This Inner Loop Header: Depth=2
	s_sleep 1
	global_store_dwordx2 v[6:7], v[14:15], off
	v_mov_b32_e32 v12, s4
	v_mov_b32_e32 v13, s5
	s_waitcnt vmcnt(0)
	global_atomic_cmpswap_x2 v[12:13], v3, v[12:15], s[10:11] offset:24 glc
	s_waitcnt vmcnt(0)
	v_cmp_eq_u64_e32 vcc, v[12:13], v[14:15]
	v_mov_b32_e32 v15, v13
	s_or_b64 s[12:13], vcc, s[12:13]
	v_mov_b32_e32 v14, v12
	s_andn2_b64 exec, exec, s[12:13]
	s_cbranch_execnz .LBB0_84
	s_branch .LBB0_2
.LBB0_85:
	s_or_b64 exec, exec, s[6:7]
	s_branch .LBB0_113
.LBB0_86:
	s_load_dwordx2 s[6:7], s[8:9], 0x50
	v_mbcnt_hi_u32_b32 v3, -1, v37
	v_readfirstlane_b32 s4, v3
	v_mov_b32_e32 v8, 0
	v_mov_b32_e32 v9, 0
	v_cmp_eq_u32_e64 s[4:5], s4, v3
	s_and_saveexec_b64 s[8:9], s[4:5]
	s_cbranch_execz .LBB0_92
; %bb.87:
	v_mov_b32_e32 v0, 0
	s_waitcnt lgkmcnt(0)
	global_load_dwordx2 v[6:7], v0, s[6:7] offset:24 glc
	s_waitcnt vmcnt(0)
	buffer_wbinvl1_vol
	global_load_dwordx2 v[4:5], v0, s[6:7] offset:40
	global_load_dwordx2 v[8:9], v0, s[6:7]
	s_waitcnt vmcnt(1)
	v_and_b32_e32 v2, v4, v6
	v_and_b32_e32 v4, v5, v7
	v_mul_lo_u32 v4, v4, 24
	v_mul_hi_u32 v5, v2, 24
	v_mul_lo_u32 v2, v2, 24
	v_add_u32_e32 v5, v5, v4
	s_waitcnt vmcnt(0)
	v_add_co_u32_e32 v4, vcc, v8, v2
	v_addc_co_u32_e32 v5, vcc, v9, v5, vcc
	global_load_dwordx2 v[4:5], v[4:5], off glc
	s_waitcnt vmcnt(0)
	global_atomic_cmpswap_x2 v[8:9], v0, v[4:7], s[6:7] offset:24 glc
	s_waitcnt vmcnt(0)
	buffer_wbinvl1_vol
	v_cmp_ne_u64_e32 vcc, v[8:9], v[6:7]
	s_and_saveexec_b64 s[10:11], vcc
	s_cbranch_execz .LBB0_91
; %bb.88:
	s_mov_b64 s[12:13], 0
.LBB0_89:                               ; =>This Inner Loop Header: Depth=1
	s_sleep 1
	global_load_dwordx2 v[4:5], v0, s[6:7] offset:40
	global_load_dwordx2 v[10:11], v0, s[6:7]
	v_mov_b32_e32 v6, v8
	v_mov_b32_e32 v7, v9
	s_waitcnt vmcnt(1)
	v_and_b32_e32 v2, v4, v6
	s_waitcnt vmcnt(0)
	v_mad_u64_u32 v[8:9], s[14:15], v2, 24, v[10:11]
	v_and_b32_e32 v4, v5, v7
	v_mov_b32_e32 v2, v9
	v_mad_u64_u32 v[4:5], s[14:15], v4, 24, v[2:3]
	v_mov_b32_e32 v9, v4
	global_load_dwordx2 v[4:5], v[8:9], off glc
	s_waitcnt vmcnt(0)
	global_atomic_cmpswap_x2 v[8:9], v0, v[4:7], s[6:7] offset:24 glc
	s_waitcnt vmcnt(0)
	buffer_wbinvl1_vol
	v_cmp_eq_u64_e32 vcc, v[8:9], v[6:7]
	s_or_b64 s[12:13], vcc, s[12:13]
	s_andn2_b64 exec, exec, s[12:13]
	s_cbranch_execnz .LBB0_89
; %bb.90:
	s_or_b64 exec, exec, s[12:13]
.LBB0_91:
	s_or_b64 exec, exec, s[10:11]
.LBB0_92:
	s_or_b64 exec, exec, s[8:9]
	v_mov_b32_e32 v2, 0
	s_waitcnt lgkmcnt(0)
	global_load_dwordx2 v[10:11], v2, s[6:7] offset:40
	global_load_dwordx4 v[4:7], v2, s[6:7]
	v_readfirstlane_b32 s9, v9
	v_readfirstlane_b32 s8, v8
	s_mov_b64 s[10:11], exec
	s_waitcnt vmcnt(1)
	v_readfirstlane_b32 s12, v10
	v_readfirstlane_b32 s13, v11
	s_and_b64 s[12:13], s[12:13], s[8:9]
	s_mul_i32 s14, s13, 24
	s_mul_hi_u32 s15, s12, 24
	s_mul_i32 s16, s12, 24
	s_add_i32 s14, s15, s14
	v_mov_b32_e32 v0, s14
	s_waitcnt vmcnt(0)
	v_add_co_u32_e32 v8, vcc, s16, v4
	v_addc_co_u32_e32 v9, vcc, v5, v0, vcc
	s_and_saveexec_b64 s[14:15], s[4:5]
	s_cbranch_execz .LBB0_94
; %bb.93:
	v_mov_b32_e32 v10, s10
	v_mov_b32_e32 v11, s11
	;; [unrolled: 1-line block ×4, first 2 shown]
	global_store_dwordx4 v[8:9], v[10:13], off offset:8
.LBB0_94:
	s_or_b64 exec, exec, s[14:15]
	s_lshl_b64 s[10:11], s[12:13], 12
	v_mov_b32_e32 v0, s11
	v_add_co_u32_e32 v6, vcc, s10, v6
	v_addc_co_u32_e32 v7, vcc, v7, v0, vcc
	s_movk_i32 s10, 0xff1f
	v_and_or_b32 v0, v36, s10, 32
	v_lshlrev_b32_e32 v10, 6, v3
	s_mov_b32 s12, 0
	v_mov_b32_e32 v3, v2
	v_readfirstlane_b32 s10, v6
	v_readfirstlane_b32 s11, v7
	s_mov_b32 s13, s12
	s_mov_b32 s14, s12
	;; [unrolled: 1-line block ×3, first 2 shown]
	s_nop 1
	global_store_dwordx4 v10, v[0:3], s[10:11]
	s_nop 0
	v_mov_b32_e32 v0, s12
	v_mov_b32_e32 v1, s13
	;; [unrolled: 1-line block ×4, first 2 shown]
	global_store_dwordx4 v10, v[0:3], s[10:11] offset:16
	global_store_dwordx4 v10, v[0:3], s[10:11] offset:32
	;; [unrolled: 1-line block ×3, first 2 shown]
	s_and_saveexec_b64 s[10:11], s[4:5]
	s_cbranch_execz .LBB0_102
; %bb.95:
	v_mov_b32_e32 v6, 0
	global_load_dwordx2 v[12:13], v6, s[6:7] offset:32 glc
	global_load_dwordx2 v[0:1], v6, s[6:7] offset:40
	v_mov_b32_e32 v10, s8
	v_mov_b32_e32 v11, s9
	s_waitcnt vmcnt(0)
	v_and_b32_e32 v0, s8, v0
	v_and_b32_e32 v1, s9, v1
	v_mul_lo_u32 v1, v1, 24
	v_mul_hi_u32 v2, v0, 24
	v_mul_lo_u32 v0, v0, 24
	v_add_u32_e32 v1, v2, v1
	v_add_co_u32_e32 v4, vcc, v4, v0
	v_addc_co_u32_e32 v5, vcc, v5, v1, vcc
	global_store_dwordx2 v[4:5], v[12:13], off
	s_waitcnt vmcnt(0)
	global_atomic_cmpswap_x2 v[2:3], v6, v[10:13], s[6:7] offset:32 glc
	s_waitcnt vmcnt(0)
	v_cmp_ne_u64_e32 vcc, v[2:3], v[12:13]
	s_and_saveexec_b64 s[12:13], vcc
	s_cbranch_execz .LBB0_98
; %bb.96:
	s_mov_b64 s[14:15], 0
.LBB0_97:                               ; =>This Inner Loop Header: Depth=1
	s_sleep 1
	global_store_dwordx2 v[4:5], v[2:3], off
	v_mov_b32_e32 v0, s8
	v_mov_b32_e32 v1, s9
	s_waitcnt vmcnt(0)
	global_atomic_cmpswap_x2 v[0:1], v6, v[0:3], s[6:7] offset:32 glc
	s_waitcnt vmcnt(0)
	v_cmp_eq_u64_e32 vcc, v[0:1], v[2:3]
	v_mov_b32_e32 v3, v1
	s_or_b64 s[14:15], vcc, s[14:15]
	v_mov_b32_e32 v2, v0
	s_andn2_b64 exec, exec, s[14:15]
	s_cbranch_execnz .LBB0_97
.LBB0_98:
	s_or_b64 exec, exec, s[12:13]
	v_mov_b32_e32 v3, 0
	global_load_dwordx2 v[0:1], v3, s[6:7] offset:16
	s_mov_b64 s[12:13], exec
	v_mbcnt_lo_u32_b32 v2, s12, 0
	v_mbcnt_hi_u32_b32 v2, s13, v2
	v_cmp_eq_u32_e32 vcc, 0, v2
	s_and_saveexec_b64 s[14:15], vcc
	s_cbranch_execz .LBB0_100
; %bb.99:
	s_bcnt1_i32_b64 s12, s[12:13]
	v_mov_b32_e32 v2, s12
	s_waitcnt vmcnt(0)
	global_atomic_add_x2 v[0:1], v[2:3], off offset:8
.LBB0_100:
	s_or_b64 exec, exec, s[14:15]
	s_waitcnt vmcnt(0)
	global_load_dwordx2 v[2:3], v[0:1], off offset:16
	s_waitcnt vmcnt(0)
	v_cmp_eq_u64_e32 vcc, 0, v[2:3]
	s_cbranch_vccnz .LBB0_102
; %bb.101:
	global_load_dword v0, v[0:1], off offset:24
	v_mov_b32_e32 v1, 0
	s_waitcnt vmcnt(0)
	v_readfirstlane_b32 s12, v0
	s_and_b32 m0, s12, 0xffffff
	global_store_dwordx2 v[2:3], v[0:1], off
	s_sendmsg sendmsg(MSG_INTERRUPT)
.LBB0_102:
	s_or_b64 exec, exec, s[10:11]
	s_branch .LBB0_106
.LBB0_103:                              ;   in Loop: Header=BB0_106 Depth=1
	s_or_b64 exec, exec, s[10:11]
	v_readfirstlane_b32 s10, v0
	s_cmp_eq_u32 s10, 0
	s_cbranch_scc1 .LBB0_105
; %bb.104:                              ;   in Loop: Header=BB0_106 Depth=1
	s_sleep 1
	s_cbranch_execnz .LBB0_106
	s_branch .LBB0_108
.LBB0_105:
	s_branch .LBB0_108
.LBB0_106:                              ; =>This Inner Loop Header: Depth=1
	v_mov_b32_e32 v0, 1
	s_and_saveexec_b64 s[10:11], s[4:5]
	s_cbranch_execz .LBB0_103
; %bb.107:                              ;   in Loop: Header=BB0_106 Depth=1
	global_load_dword v0, v[8:9], off offset:20 glc
	s_waitcnt vmcnt(0)
	buffer_wbinvl1_vol
	v_and_b32_e32 v0, 1, v0
	s_branch .LBB0_103
.LBB0_108:
	s_and_saveexec_b64 s[10:11], s[4:5]
	s_cbranch_execz .LBB0_111
; %bb.109:
	v_mov_b32_e32 v6, 0
	global_load_dwordx2 v[0:1], v6, s[6:7] offset:40
	global_load_dwordx2 v[9:10], v6, s[6:7] offset:24 glc
	global_load_dwordx2 v[2:3], v6, s[6:7]
	s_waitcnt vmcnt(2)
	v_readfirstlane_b32 s12, v0
	v_readfirstlane_b32 s13, v1
	s_add_u32 s14, s12, 1
	s_addc_u32 s15, s13, 0
	s_add_u32 s4, s14, s8
	s_addc_u32 s5, s15, s9
	s_cmp_eq_u64 s[4:5], 0
	s_cselect_b32 s5, s15, s5
	s_cselect_b32 s4, s14, s4
	s_and_b64 s[8:9], s[4:5], s[12:13]
	s_mul_i32 s9, s9, 24
	s_mul_hi_u32 s12, s8, 24
	s_mul_i32 s8, s8, 24
	s_add_i32 s9, s12, s9
	v_mov_b32_e32 v0, s9
	s_waitcnt vmcnt(0)
	v_add_co_u32_e32 v4, vcc, s8, v2
	v_addc_co_u32_e32 v5, vcc, v3, v0, vcc
	v_mov_b32_e32 v7, s4
	global_store_dwordx2 v[4:5], v[9:10], off
	v_mov_b32_e32 v8, s5
	s_waitcnt vmcnt(0)
	global_atomic_cmpswap_x2 v[2:3], v6, v[7:10], s[6:7] offset:24 glc
	s_mov_b64 s[8:9], 0
	s_waitcnt vmcnt(0)
	v_cmp_ne_u64_e32 vcc, v[2:3], v[9:10]
	s_and_b64 exec, exec, vcc
	s_cbranch_execz .LBB0_111
.LBB0_110:                              ; =>This Inner Loop Header: Depth=1
	s_sleep 1
	global_store_dwordx2 v[4:5], v[2:3], off
	v_mov_b32_e32 v0, s4
	v_mov_b32_e32 v1, s5
	s_waitcnt vmcnt(0)
	global_atomic_cmpswap_x2 v[0:1], v6, v[0:3], s[6:7] offset:24 glc
	s_waitcnt vmcnt(0)
	v_cmp_eq_u64_e32 vcc, v[0:1], v[2:3]
	v_mov_b32_e32 v3, v1
	s_or_b64 s[8:9], vcc, s[8:9]
	v_mov_b32_e32 v2, v0
	s_andn2_b64 exec, exec, s[8:9]
	s_cbranch_execnz .LBB0_110
.LBB0_111:
	s_or_b64 exec, exec, s[10:11]
	s_waitcnt vmcnt(0) lgkmcnt(0)
	s_setpc_b64 s[30:31]
.LBB0_112:
	s_cbranch_execnz .LBB0_86
.LBB0_113:
	s_waitcnt vmcnt(0) lgkmcnt(0)
	s_setpc_b64 s[30:31]
.Lfunc_end0:
	.size	__ockl_fprintf_append_string_n, .Lfunc_end0-__ockl_fprintf_append_string_n
                                        ; -- End function
	.set .L__ockl_fprintf_append_string_n.num_vgpr, 40
	.set .L__ockl_fprintf_append_string_n.num_agpr, 0
	.set .L__ockl_fprintf_append_string_n.numbered_sgpr, 32
	.set .L__ockl_fprintf_append_string_n.num_named_barrier, 0
	.set .L__ockl_fprintf_append_string_n.private_seg_size, 0
	.set .L__ockl_fprintf_append_string_n.uses_vcc, 1
	.set .L__ockl_fprintf_append_string_n.uses_flat_scratch, 0
	.set .L__ockl_fprintf_append_string_n.has_dyn_sized_stack, 0
	.set .L__ockl_fprintf_append_string_n.has_recursion, 0
	.set .L__ockl_fprintf_append_string_n.has_indirect_call, 0
	.section	.AMDGPU.csdata,"",@progbits
; Function info:
; codeLenInByte = 3900
; TotalNumSgprs: 36
; NumVgprs: 40
; ScratchSize: 0
; MemoryBound: 0
	.text
	.p2align	2                               ; -- Begin function __assert_fail
	.type	__assert_fail,@function
__assert_fail:                          ; @__assert_fail
; %bb.0:
	s_waitcnt vmcnt(0) expcnt(0) lgkmcnt(0)
	s_mov_b32 s25, s33
	s_mov_b32 s33, s32
	s_or_saveexec_b64 s[4:5], -1
	buffer_store_dword v40, off, s[0:3], s33 offset:48 ; 4-byte Folded Spill
	s_mov_b64 exec, s[4:5]
	v_writelane_b32 v40, s30, 0
	s_addk_i32 s32, 0x1000
	v_writelane_b32 v40, s31, 1
	v_mov_b32_e32 v8, 0
	s_getpc_b64 s[4:5]
	s_add_u32 s4, s4, __const.__assert_fail.fmt@rel32@lo+35
	s_addc_u32 s5, s5, __const.__assert_fail.fmt@rel32@hi+43
	v_mov_b32_e32 v5, v1
	v_mov_b32_e32 v4, v0
	global_load_dwordx4 v[0:3], v8, s[4:5]
	s_getpc_b64 s[16:17]
	s_add_u32 s16, s16, __const.__assert_fail.fmt@rel32@lo+4
	s_addc_u32 s17, s17, __const.__assert_fail.fmt@rel32@hi+12
	s_getpc_b64 s[18:19]
	s_add_u32 s18, s18, __const.__assert_fail.fmt@rel32@lo+20
	s_addc_u32 s19, s19, __const.__assert_fail.fmt@rel32@hi+28
	v_mbcnt_lo_u32_b32 v9, -1, 0
	s_load_dwordx4 s[4:7], s[16:17], 0x0
	s_load_dwordx4 s[12:15], s[18:19], 0x0
	s_load_dwordx2 s[10:11], s[8:9], 0x50
	v_mbcnt_hi_u32_b32 v34, -1, v9
	v_mov_b32_e32 v6, 0
	v_readfirstlane_b32 s16, v34
	v_mov_b32_e32 v7, 0
	s_waitcnt lgkmcnt(0)
	v_mov_b32_e32 v9, s7
	v_mov_b32_e32 v11, s5
	;; [unrolled: 1-line block ×3, first 2 shown]
	v_cmp_eq_u32_e64 s[4:5], s16, v34
	v_mov_b32_e32 v10, s6
	v_mov_b32_e32 v13, s15
	;; [unrolled: 1-line block ×5, first 2 shown]
	buffer_store_dword v9, off, s[0:3], s33 offset:12
	buffer_store_dword v10, off, s[0:3], s33 offset:8
	buffer_store_dword v11, off, s[0:3], s33 offset:4
	buffer_store_dword v12, off, s[0:3], s33
	buffer_store_dword v13, off, s[0:3], s33 offset:28
	buffer_store_dword v14, off, s[0:3], s33 offset:24
	;; [unrolled: 1-line block ×4, first 2 shown]
	s_waitcnt vmcnt(8)
	buffer_store_dword v3, off, s[0:3], s33 offset:43
	buffer_store_dword v2, off, s[0:3], s33 offset:39
	;; [unrolled: 1-line block ×4, first 2 shown]
	s_and_saveexec_b64 s[6:7], s[4:5]
	s_cbranch_execz .LBB1_6
; %bb.1:
	global_load_dwordx2 v[2:3], v8, s[10:11] offset:24 glc
	s_waitcnt vmcnt(0)
	buffer_wbinvl1_vol
	global_load_dwordx2 v[0:1], v8, s[10:11] offset:40
	global_load_dwordx2 v[6:7], v8, s[10:11]
	s_waitcnt vmcnt(1)
	v_and_b32_e32 v0, v0, v2
	v_and_b32_e32 v1, v1, v3
	v_mul_lo_u32 v1, v1, 24
	v_mul_hi_u32 v9, v0, 24
	v_mul_lo_u32 v0, v0, 24
	v_add_u32_e32 v1, v9, v1
	s_waitcnt vmcnt(0)
	v_add_co_u32_e32 v0, vcc, v6, v0
	v_addc_co_u32_e32 v1, vcc, v7, v1, vcc
	global_load_dwordx2 v[0:1], v[0:1], off glc
	s_waitcnt vmcnt(0)
	global_atomic_cmpswap_x2 v[6:7], v8, v[0:3], s[10:11] offset:24 glc
	s_waitcnt vmcnt(0)
	buffer_wbinvl1_vol
	v_cmp_ne_u64_e32 vcc, v[6:7], v[2:3]
	s_and_saveexec_b64 s[12:13], vcc
	s_cbranch_execz .LBB1_5
; %bb.2:
	s_mov_b64 s[14:15], 0
	v_mov_b32_e32 v0, 0
.LBB1_3:                                ; =>This Inner Loop Header: Depth=1
	s_sleep 1
	global_load_dwordx2 v[1:2], v0, s[10:11] offset:40
	global_load_dwordx2 v[9:10], v0, s[10:11]
	v_mov_b32_e32 v12, v7
	v_mov_b32_e32 v11, v6
	s_waitcnt vmcnt(1)
	v_and_b32_e32 v1, v1, v11
	s_waitcnt vmcnt(0)
	v_mad_u64_u32 v[6:7], s[16:17], v1, 24, v[9:10]
	v_and_b32_e32 v2, v2, v12
	v_mov_b32_e32 v1, v7
	v_mad_u64_u32 v[1:2], s[16:17], v2, 24, v[1:2]
	v_mov_b32_e32 v7, v1
	global_load_dwordx2 v[9:10], v[6:7], off glc
	s_waitcnt vmcnt(0)
	global_atomic_cmpswap_x2 v[6:7], v0, v[9:12], s[10:11] offset:24 glc
	s_waitcnt vmcnt(0)
	buffer_wbinvl1_vol
	v_cmp_eq_u64_e32 vcc, v[6:7], v[11:12]
	s_or_b64 s[14:15], vcc, s[14:15]
	s_andn2_b64 exec, exec, s[14:15]
	s_cbranch_execnz .LBB1_3
; %bb.4:
	s_or_b64 exec, exec, s[14:15]
.LBB1_5:
	s_or_b64 exec, exec, s[12:13]
.LBB1_6:
	s_or_b64 exec, exec, s[6:7]
	global_load_dwordx2 v[9:10], v8, s[10:11] offset:40
	global_load_dwordx4 v[0:3], v8, s[10:11]
	v_readfirstlane_b32 s7, v7
	v_readfirstlane_b32 s6, v6
	s_mov_b64 s[12:13], exec
	s_waitcnt vmcnt(1)
	v_readfirstlane_b32 s14, v9
	v_readfirstlane_b32 s15, v10
	s_and_b64 s[14:15], s[14:15], s[6:7]
	s_mul_i32 s16, s15, 24
	s_mul_hi_u32 s17, s14, 24
	s_mul_i32 s18, s14, 24
	s_add_i32 s16, s17, s16
	v_mov_b32_e32 v6, s16
	s_waitcnt vmcnt(0)
	v_add_co_u32_e32 v10, vcc, s18, v0
	v_addc_co_u32_e32 v11, vcc, v1, v6, vcc
	s_and_saveexec_b64 s[16:17], s[4:5]
	s_cbranch_execz .LBB1_8
; %bb.7:
	v_mov_b32_e32 v6, s12
	v_mov_b32_e32 v7, s13
	;; [unrolled: 1-line block ×4, first 2 shown]
	global_store_dwordx4 v[10:11], v[6:9], off offset:8
.LBB1_8:
	s_or_b64 exec, exec, s[16:17]
	s_lshl_b64 s[12:13], s[14:15], 12
	v_mov_b32_e32 v6, s13
	v_add_co_u32_e32 v2, vcc, s12, v2
	s_mov_b32 s12, 0
	v_addc_co_u32_e32 v3, vcc, v3, v6, vcc
	v_lshlrev_b32_e32 v35, 6, v34
	s_mov_b32 s15, s12
	v_mov_b32_e32 v7, 0
	v_add_co_u32_e32 v12, vcc, v2, v35
	s_mov_b32 s13, s12
	s_mov_b32 s14, s12
	v_mov_b32_e32 v17, s15
	v_addc_co_u32_e32 v13, vcc, 0, v3, vcc
	v_mov_b32_e32 v6, 33
	v_mov_b32_e32 v8, 1
	;; [unrolled: 1-line block ×3, first 2 shown]
	v_readfirstlane_b32 s16, v2
	v_readfirstlane_b32 s17, v3
	v_mov_b32_e32 v16, s14
	v_mov_b32_e32 v15, s13
	;; [unrolled: 1-line block ×3, first 2 shown]
	s_nop 1
	global_store_dwordx4 v35, v[6:9], s[16:17]
	global_store_dwordx4 v35, v[14:17], s[16:17] offset:16
	global_store_dwordx4 v35, v[14:17], s[16:17] offset:32
	;; [unrolled: 1-line block ×3, first 2 shown]
	s_and_saveexec_b64 s[12:13], s[4:5]
	s_cbranch_execz .LBB1_16
; %bb.9:
	global_load_dwordx2 v[16:17], v7, s[10:11] offset:32 glc
	global_load_dwordx2 v[2:3], v7, s[10:11] offset:40
	v_mov_b32_e32 v14, s6
	v_mov_b32_e32 v15, s7
	s_waitcnt vmcnt(0)
	v_and_b32_e32 v2, s6, v2
	v_and_b32_e32 v3, s7, v3
	v_mul_lo_u32 v3, v3, 24
	v_mul_hi_u32 v6, v2, 24
	v_mul_lo_u32 v2, v2, 24
	v_add_u32_e32 v3, v6, v3
	v_add_co_u32_e32 v8, vcc, v0, v2
	v_addc_co_u32_e32 v9, vcc, v1, v3, vcc
	global_store_dwordx2 v[8:9], v[16:17], off
	s_waitcnt vmcnt(0)
	global_atomic_cmpswap_x2 v[2:3], v7, v[14:17], s[10:11] offset:32 glc
	s_waitcnt vmcnt(0)
	v_cmp_ne_u64_e32 vcc, v[2:3], v[16:17]
	s_and_saveexec_b64 s[14:15], vcc
	s_cbranch_execz .LBB1_12
; %bb.10:
	s_mov_b64 s[16:17], 0
	v_mov_b32_e32 v6, 0
.LBB1_11:                               ; =>This Inner Loop Header: Depth=1
	s_sleep 1
	global_store_dwordx2 v[8:9], v[2:3], off
	v_mov_b32_e32 v0, s6
	v_mov_b32_e32 v1, s7
	s_waitcnt vmcnt(0)
	global_atomic_cmpswap_x2 v[0:1], v6, v[0:3], s[10:11] offset:32 glc
	s_waitcnt vmcnt(0)
	v_cmp_eq_u64_e32 vcc, v[0:1], v[2:3]
	v_mov_b32_e32 v3, v1
	s_or_b64 s[16:17], vcc, s[16:17]
	v_mov_b32_e32 v2, v0
	s_andn2_b64 exec, exec, s[16:17]
	s_cbranch_execnz .LBB1_11
.LBB1_12:
	s_or_b64 exec, exec, s[14:15]
	v_mov_b32_e32 v3, 0
	global_load_dwordx2 v[0:1], v3, s[10:11] offset:16
	s_mov_b64 s[14:15], exec
	v_mbcnt_lo_u32_b32 v2, s14, 0
	v_mbcnt_hi_u32_b32 v2, s15, v2
	v_cmp_eq_u32_e32 vcc, 0, v2
	s_and_saveexec_b64 s[16:17], vcc
	s_cbranch_execz .LBB1_14
; %bb.13:
	s_bcnt1_i32_b64 s14, s[14:15]
	v_mov_b32_e32 v2, s14
	s_waitcnt vmcnt(0)
	global_atomic_add_x2 v[0:1], v[2:3], off offset:8
.LBB1_14:
	s_or_b64 exec, exec, s[16:17]
	s_waitcnt vmcnt(0)
	global_load_dwordx2 v[2:3], v[0:1], off offset:16
	s_waitcnt vmcnt(0)
	v_cmp_eq_u64_e32 vcc, 0, v[2:3]
	s_cbranch_vccnz .LBB1_16
; %bb.15:
	global_load_dword v0, v[0:1], off offset:24
	v_mov_b32_e32 v1, 0
	s_waitcnt vmcnt(0)
	v_readfirstlane_b32 s14, v0
	s_and_b32 m0, s14, 0xffffff
	global_store_dwordx2 v[2:3], v[0:1], off
	s_sendmsg sendmsg(MSG_INTERRUPT)
.LBB1_16:
	s_or_b64 exec, exec, s[12:13]
	s_branch .LBB1_20
.LBB1_17:                               ;   in Loop: Header=BB1_20 Depth=1
	s_or_b64 exec, exec, s[12:13]
	v_readfirstlane_b32 s12, v0
	s_cmp_eq_u32 s12, 0
	s_cbranch_scc1 .LBB1_19
; %bb.18:                               ;   in Loop: Header=BB1_20 Depth=1
	s_sleep 1
	s_cbranch_execnz .LBB1_20
	s_branch .LBB1_22
.LBB1_19:
	s_branch .LBB1_22
.LBB1_20:                               ; =>This Inner Loop Header: Depth=1
	v_mov_b32_e32 v0, 1
	s_and_saveexec_b64 s[12:13], s[4:5]
	s_cbranch_execz .LBB1_17
; %bb.21:                               ;   in Loop: Header=BB1_20 Depth=1
	global_load_dword v0, v[10:11], off offset:20 glc
	s_waitcnt vmcnt(0)
	buffer_wbinvl1_vol
	v_and_b32_e32 v0, 1, v0
	s_branch .LBB1_17
.LBB1_22:
	global_load_dwordx2 v[6:7], v[12:13], off
	s_and_saveexec_b64 s[12:13], s[4:5]
	s_cbranch_execz .LBB1_25
; %bb.23:
	v_mov_b32_e32 v10, 0
	global_load_dwordx2 v[0:1], v10, s[10:11] offset:40
	global_load_dwordx2 v[13:14], v10, s[10:11] offset:24 glc
	global_load_dwordx2 v[2:3], v10, s[10:11]
	s_waitcnt vmcnt(2)
	v_readfirstlane_b32 s14, v0
	v_readfirstlane_b32 s15, v1
	s_add_u32 s16, s14, 1
	s_addc_u32 s17, s15, 0
	s_add_u32 s4, s16, s6
	s_addc_u32 s5, s17, s7
	s_cmp_eq_u64 s[4:5], 0
	s_cselect_b32 s5, s17, s5
	s_cselect_b32 s4, s16, s4
	s_and_b64 s[6:7], s[4:5], s[14:15]
	s_mul_i32 s7, s7, 24
	s_mul_hi_u32 s14, s6, 24
	s_mul_i32 s6, s6, 24
	s_add_i32 s7, s14, s7
	v_mov_b32_e32 v0, s7
	s_waitcnt vmcnt(0)
	v_add_co_u32_e32 v8, vcc, s6, v2
	v_addc_co_u32_e32 v9, vcc, v3, v0, vcc
	v_mov_b32_e32 v11, s4
	global_store_dwordx2 v[8:9], v[13:14], off
	v_mov_b32_e32 v12, s5
	s_waitcnt vmcnt(0)
	global_atomic_cmpswap_x2 v[2:3], v10, v[11:14], s[10:11] offset:24 glc
	s_mov_b64 s[6:7], 0
	s_waitcnt vmcnt(0)
	v_cmp_ne_u64_e32 vcc, v[2:3], v[13:14]
	s_and_b64 exec, exec, vcc
	s_cbranch_execz .LBB1_25
.LBB1_24:                               ; =>This Inner Loop Header: Depth=1
	s_sleep 1
	global_store_dwordx2 v[8:9], v[2:3], off
	v_mov_b32_e32 v0, s4
	v_mov_b32_e32 v1, s5
	s_waitcnt vmcnt(0)
	global_atomic_cmpswap_x2 v[0:1], v10, v[0:3], s[10:11] offset:24 glc
	s_waitcnt vmcnt(0)
	v_cmp_eq_u64_e32 vcc, v[0:1], v[2:3]
	v_mov_b32_e32 v3, v1
	s_or_b64 s[6:7], vcc, s[6:7]
	v_mov_b32_e32 v2, v0
	s_andn2_b64 exec, exec, s[6:7]
	s_cbranch_execnz .LBB1_24
.LBB1_25:
	s_or_b64 exec, exec, s[12:13]
	s_lshr_b32 s6, s33, 6
	s_mov_b64 s[4:5], 0
.LBB1_26:                               ; =>This Inner Loop Header: Depth=1
	v_mov_b32_e32 v0, s6
	buffer_load_ubyte v1, v0, s[0:3], 0 offen
	s_add_i32 s6, s6, 1
	v_mov_b32_e32 v0, s6
	s_waitcnt vmcnt(0)
	v_cmp_eq_u16_e32 vcc, 0, v1
	s_or_b64 s[4:5], vcc, s[4:5]
	s_andn2_b64 exec, exec, s[4:5]
	s_cbranch_execnz .LBB1_26
; %bb.27:
	s_or_b64 exec, exec, s[4:5]
	s_lshr_b32 s4, s33, 6
	s_cmp_lg_u32 s4, -1
	s_cbranch_scc0 .LBB1_112
; %bb.28:
	v_lshrrev_b32_e64 v1, 6, s33
	v_subrev_u32_e32 v28, v1, v0
	v_ashrrev_i32_e32 v29, 31, v28
	v_and_b32_e32 v36, 2, v6
	v_mov_b32_e32 v31, 0
	v_and_b32_e32 v0, -3, v6
	v_mov_b32_e32 v1, v7
	s_mov_b64 s[12:13], 0
	v_lshrrev_b32_e64 v37, 6, s33
	s_mov_b32 s20, 0
	s_movk_i32 s21, 0x1e0
	v_mov_b32_e32 v10, 2
	v_mov_b32_e32 v11, 1
	s_branch .LBB1_30
.LBB1_29:                               ;   in Loop: Header=BB1_30 Depth=1
	s_or_b64 exec, exec, s[6:7]
	v_sub_co_u32_e32 v28, vcc, v28, v38
	v_subb_co_u32_e32 v29, vcc, v29, v39, vcc
	v_cmp_eq_u64_e32 vcc, 0, v[28:29]
	v_add_u32_e32 v37, v37, v38
	s_or_b64 s[12:13], vcc, s[12:13]
	s_andn2_b64 exec, exec, s[12:13]
	s_cbranch_execz .LBB1_113
.LBB1_30:                               ; =>This Loop Header: Depth=1
                                        ;     Child Loop BB1_33 Depth 2
                                        ;     Child Loop BB1_41 Depth 2
	;; [unrolled: 1-line block ×11, first 2 shown]
	v_cmp_gt_u64_e32 vcc, 56, v[28:29]
	v_cmp_gt_u64_e64 s[4:5], 8, v[28:29]
	v_cndmask_b32_e32 v38, 56, v28, vcc
	v_add_u32_e32 v9, 8, v37
	s_and_saveexec_b64 s[6:7], s[4:5]
	s_xor_b64 s[6:7], exec, s[6:7]
	s_cbranch_execz .LBB1_36
; %bb.31:                               ;   in Loop: Header=BB1_30 Depth=1
	v_mov_b32_e32 v2, 0
	v_cmp_ne_u64_e64 s[4:5], 0, v[28:29]
	v_mov_b32_e32 v3, 0
	s_and_saveexec_b64 s[14:15], s[4:5]
	s_cbranch_execz .LBB1_35
; %bb.32:                               ;   in Loop: Header=BB1_30 Depth=1
	v_mov_b32_e32 v2, 0
	s_mov_b32 s22, 0
	s_mov_b64 s[16:17], 0
	v_mov_b32_e32 v3, 0
	s_mov_b64 s[18:19], 0
.LBB1_33:                               ;   Parent Loop BB1_30 Depth=1
                                        ; =>  This Inner Loop Header: Depth=2
	v_add_u32_e32 v8, s22, v37
	buffer_load_ubyte v8, v8, s[0:3], 0 offen
	v_mov_b32_e32 v9, s20
	s_add_i32 s22, s22, 1
	v_cmp_eq_u32_e64 s[4:5], s22, v38
	s_waitcnt vmcnt(0)
	v_and_b32_e32 v8, 0xffff, v8
	v_lshlrev_b64 v[8:9], s18, v[8:9]
	s_add_u32 s18, s18, 8
	s_addc_u32 s19, s19, 0
	v_or_b32_e32 v3, v9, v3
	s_or_b64 s[16:17], s[4:5], s[16:17]
	v_or_b32_e32 v2, v8, v2
	s_andn2_b64 exec, exec, s[16:17]
	s_cbranch_execnz .LBB1_33
; %bb.34:                               ;   in Loop: Header=BB1_30 Depth=1
	s_or_b64 exec, exec, s[16:17]
.LBB1_35:                               ;   in Loop: Header=BB1_30 Depth=1
	s_or_b64 exec, exec, s[14:15]
	v_mov_b32_e32 v9, v37
.LBB1_36:                               ;   in Loop: Header=BB1_30 Depth=1
	s_or_saveexec_b64 s[4:5], s[6:7]
	v_mov_b32_e32 v14, 0
	s_xor_b64 exec, exec, s[4:5]
	s_cbranch_execz .LBB1_38
; %bb.37:                               ;   in Loop: Header=BB1_30 Depth=1
	buffer_load_dword v2, v37, s[0:3], 0 offen
	buffer_load_dword v3, v37, s[0:3], 0 offen offset:4
	v_add_u32_e32 v14, -8, v38
.LBB1_38:                               ;   in Loop: Header=BB1_30 Depth=1
	s_or_b64 exec, exec, s[4:5]
	v_cmp_gt_u32_e64 s[4:5], 8, v14
	v_add_u32_e32 v8, 8, v9
                                        ; implicit-def: $vgpr12_vgpr13
	s_and_saveexec_b64 s[6:7], s[4:5]
	s_xor_b64 s[6:7], exec, s[6:7]
	s_cbranch_execz .LBB1_44
; %bb.39:                               ;   in Loop: Header=BB1_30 Depth=1
	v_mov_b32_e32 v12, 0
	v_mov_b32_e32 v13, 0
	v_cmp_ne_u32_e64 s[4:5], 0, v14
	s_and_saveexec_b64 s[14:15], s[4:5]
	s_cbranch_execz .LBB1_43
; %bb.40:                               ;   in Loop: Header=BB1_30 Depth=1
	v_mov_b32_e32 v12, 0
	s_mov_b32 s22, 0
	s_mov_b64 s[16:17], 0
	v_mov_b32_e32 v13, 0
	s_mov_b64 s[18:19], 0
.LBB1_41:                               ;   Parent Loop BB1_30 Depth=1
                                        ; =>  This Inner Loop Header: Depth=2
	v_add_u32_e32 v8, s22, v9
	buffer_load_ubyte v8, v8, s[0:3], 0 offen
	v_mov_b32_e32 v16, s20
	s_add_i32 s22, s22, 1
	v_cmp_eq_u32_e64 s[4:5], s22, v14
	s_waitcnt vmcnt(0)
	v_and_b32_e32 v15, 0xffff, v8
	v_lshlrev_b64 v[15:16], s18, v[15:16]
	s_add_u32 s18, s18, 8
	s_addc_u32 s19, s19, 0
	v_or_b32_e32 v13, v16, v13
	s_or_b64 s[16:17], s[4:5], s[16:17]
	v_or_b32_e32 v12, v15, v12
	s_andn2_b64 exec, exec, s[16:17]
	s_cbranch_execnz .LBB1_41
; %bb.42:                               ;   in Loop: Header=BB1_30 Depth=1
	s_or_b64 exec, exec, s[16:17]
.LBB1_43:                               ;   in Loop: Header=BB1_30 Depth=1
	s_or_b64 exec, exec, s[14:15]
	v_mov_b32_e32 v8, v9
                                        ; implicit-def: $vgpr14
.LBB1_44:                               ;   in Loop: Header=BB1_30 Depth=1
	s_or_saveexec_b64 s[4:5], s[6:7]
	v_mov_b32_e32 v16, 0
	s_xor_b64 exec, exec, s[4:5]
	s_cbranch_execz .LBB1_46
; %bb.45:                               ;   in Loop: Header=BB1_30 Depth=1
	buffer_load_dword v12, v9, s[0:3], 0 offen
	buffer_load_dword v13, v9, s[0:3], 0 offen offset:4
	v_add_u32_e32 v16, -8, v14
.LBB1_46:                               ;   in Loop: Header=BB1_30 Depth=1
	s_or_b64 exec, exec, s[4:5]
	v_cmp_gt_u32_e64 s[4:5], 8, v16
	v_add_u32_e32 v9, 8, v8
	s_and_saveexec_b64 s[6:7], s[4:5]
	s_xor_b64 s[6:7], exec, s[6:7]
	s_cbranch_execz .LBB1_52
; %bb.47:                               ;   in Loop: Header=BB1_30 Depth=1
	v_mov_b32_e32 v14, 0
	v_mov_b32_e32 v15, 0
	v_cmp_ne_u32_e64 s[4:5], 0, v16
	s_and_saveexec_b64 s[14:15], s[4:5]
	s_cbranch_execz .LBB1_51
; %bb.48:                               ;   in Loop: Header=BB1_30 Depth=1
	v_mov_b32_e32 v14, 0
	s_mov_b32 s22, 0
	s_mov_b64 s[16:17], 0
	v_mov_b32_e32 v15, 0
	s_mov_b64 s[18:19], 0
.LBB1_49:                               ;   Parent Loop BB1_30 Depth=1
                                        ; =>  This Inner Loop Header: Depth=2
	v_add_u32_e32 v9, s22, v8
	buffer_load_ubyte v9, v9, s[0:3], 0 offen
	v_mov_b32_e32 v18, s20
	s_add_i32 s22, s22, 1
	v_cmp_eq_u32_e64 s[4:5], s22, v16
	s_waitcnt vmcnt(0)
	v_and_b32_e32 v17, 0xffff, v9
	v_lshlrev_b64 v[17:18], s18, v[17:18]
	s_add_u32 s18, s18, 8
	s_addc_u32 s19, s19, 0
	v_or_b32_e32 v15, v18, v15
	s_or_b64 s[16:17], s[4:5], s[16:17]
	v_or_b32_e32 v14, v17, v14
	s_andn2_b64 exec, exec, s[16:17]
	s_cbranch_execnz .LBB1_49
; %bb.50:                               ;   in Loop: Header=BB1_30 Depth=1
	s_or_b64 exec, exec, s[16:17]
.LBB1_51:                               ;   in Loop: Header=BB1_30 Depth=1
	s_or_b64 exec, exec, s[14:15]
	v_mov_b32_e32 v9, v8
                                        ; implicit-def: $vgpr16
.LBB1_52:                               ;   in Loop: Header=BB1_30 Depth=1
	s_or_saveexec_b64 s[4:5], s[6:7]
	v_mov_b32_e32 v18, 0
	s_xor_b64 exec, exec, s[4:5]
	s_cbranch_execz .LBB1_54
; %bb.53:                               ;   in Loop: Header=BB1_30 Depth=1
	buffer_load_dword v14, v8, s[0:3], 0 offen
	buffer_load_dword v15, v8, s[0:3], 0 offen offset:4
	v_add_u32_e32 v18, -8, v16
.LBB1_54:                               ;   in Loop: Header=BB1_30 Depth=1
	s_or_b64 exec, exec, s[4:5]
	v_cmp_gt_u32_e64 s[4:5], 8, v18
	v_add_u32_e32 v8, 8, v9
                                        ; implicit-def: $vgpr16_vgpr17
	s_and_saveexec_b64 s[6:7], s[4:5]
	s_xor_b64 s[6:7], exec, s[6:7]
	s_cbranch_execz .LBB1_60
; %bb.55:                               ;   in Loop: Header=BB1_30 Depth=1
	v_mov_b32_e32 v16, 0
	v_mov_b32_e32 v17, 0
	v_cmp_ne_u32_e64 s[4:5], 0, v18
	s_and_saveexec_b64 s[14:15], s[4:5]
	s_cbranch_execz .LBB1_59
; %bb.56:                               ;   in Loop: Header=BB1_30 Depth=1
	v_mov_b32_e32 v16, 0
	s_mov_b32 s22, 0
	s_mov_b64 s[16:17], 0
	v_mov_b32_e32 v17, 0
	s_mov_b64 s[18:19], 0
.LBB1_57:                               ;   Parent Loop BB1_30 Depth=1
                                        ; =>  This Inner Loop Header: Depth=2
	v_add_u32_e32 v8, s22, v9
	buffer_load_ubyte v8, v8, s[0:3], 0 offen
	v_mov_b32_e32 v20, s20
	s_add_i32 s22, s22, 1
	v_cmp_eq_u32_e64 s[4:5], s22, v18
	s_waitcnt vmcnt(0)
	v_and_b32_e32 v19, 0xffff, v8
	v_lshlrev_b64 v[19:20], s18, v[19:20]
	s_add_u32 s18, s18, 8
	s_addc_u32 s19, s19, 0
	v_or_b32_e32 v17, v20, v17
	s_or_b64 s[16:17], s[4:5], s[16:17]
	v_or_b32_e32 v16, v19, v16
	s_andn2_b64 exec, exec, s[16:17]
	s_cbranch_execnz .LBB1_57
; %bb.58:                               ;   in Loop: Header=BB1_30 Depth=1
	s_or_b64 exec, exec, s[16:17]
.LBB1_59:                               ;   in Loop: Header=BB1_30 Depth=1
	s_or_b64 exec, exec, s[14:15]
	v_mov_b32_e32 v8, v9
                                        ; implicit-def: $vgpr18
.LBB1_60:                               ;   in Loop: Header=BB1_30 Depth=1
	s_or_saveexec_b64 s[4:5], s[6:7]
	v_mov_b32_e32 v20, 0
	s_xor_b64 exec, exec, s[4:5]
	s_cbranch_execz .LBB1_62
; %bb.61:                               ;   in Loop: Header=BB1_30 Depth=1
	buffer_load_dword v16, v9, s[0:3], 0 offen
	buffer_load_dword v17, v9, s[0:3], 0 offen offset:4
	v_add_u32_e32 v20, -8, v18
.LBB1_62:                               ;   in Loop: Header=BB1_30 Depth=1
	s_or_b64 exec, exec, s[4:5]
	v_cmp_gt_u32_e64 s[4:5], 8, v20
	v_add_u32_e32 v9, 8, v8
	s_and_saveexec_b64 s[6:7], s[4:5]
	s_xor_b64 s[6:7], exec, s[6:7]
	s_cbranch_execz .LBB1_68
; %bb.63:                               ;   in Loop: Header=BB1_30 Depth=1
	v_mov_b32_e32 v18, 0
	v_mov_b32_e32 v19, 0
	v_cmp_ne_u32_e64 s[4:5], 0, v20
	s_and_saveexec_b64 s[14:15], s[4:5]
	s_cbranch_execz .LBB1_67
; %bb.64:                               ;   in Loop: Header=BB1_30 Depth=1
	v_mov_b32_e32 v18, 0
	s_mov_b32 s22, 0
	s_mov_b64 s[16:17], 0
	v_mov_b32_e32 v19, 0
	s_mov_b64 s[18:19], 0
.LBB1_65:                               ;   Parent Loop BB1_30 Depth=1
                                        ; =>  This Inner Loop Header: Depth=2
	v_add_u32_e32 v9, s22, v8
	buffer_load_ubyte v9, v9, s[0:3], 0 offen
	v_mov_b32_e32 v22, s20
	s_add_i32 s22, s22, 1
	v_cmp_eq_u32_e64 s[4:5], s22, v20
	s_waitcnt vmcnt(0)
	v_and_b32_e32 v21, 0xffff, v9
	v_lshlrev_b64 v[21:22], s18, v[21:22]
	s_add_u32 s18, s18, 8
	s_addc_u32 s19, s19, 0
	v_or_b32_e32 v19, v22, v19
	s_or_b64 s[16:17], s[4:5], s[16:17]
	v_or_b32_e32 v18, v21, v18
	s_andn2_b64 exec, exec, s[16:17]
	s_cbranch_execnz .LBB1_65
; %bb.66:                               ;   in Loop: Header=BB1_30 Depth=1
	s_or_b64 exec, exec, s[16:17]
.LBB1_67:                               ;   in Loop: Header=BB1_30 Depth=1
	s_or_b64 exec, exec, s[14:15]
	v_mov_b32_e32 v9, v8
                                        ; implicit-def: $vgpr20
.LBB1_68:                               ;   in Loop: Header=BB1_30 Depth=1
	s_or_saveexec_b64 s[4:5], s[6:7]
	v_mov_b32_e32 v22, 0
	s_xor_b64 exec, exec, s[4:5]
	s_cbranch_execz .LBB1_70
; %bb.69:                               ;   in Loop: Header=BB1_30 Depth=1
	buffer_load_dword v18, v8, s[0:3], 0 offen
	buffer_load_dword v19, v8, s[0:3], 0 offen offset:4
	v_add_u32_e32 v22, -8, v20
.LBB1_70:                               ;   in Loop: Header=BB1_30 Depth=1
	s_or_b64 exec, exec, s[4:5]
	v_cmp_gt_u32_e64 s[4:5], 8, v22
	v_add_u32_e32 v8, 8, v9
                                        ; implicit-def: $vgpr20_vgpr21
	s_and_saveexec_b64 s[6:7], s[4:5]
	s_xor_b64 s[6:7], exec, s[6:7]
	s_cbranch_execz .LBB1_76
; %bb.71:                               ;   in Loop: Header=BB1_30 Depth=1
	v_mov_b32_e32 v20, 0
	v_mov_b32_e32 v21, 0
	v_cmp_ne_u32_e64 s[4:5], 0, v22
	s_and_saveexec_b64 s[14:15], s[4:5]
	s_cbranch_execz .LBB1_75
; %bb.72:                               ;   in Loop: Header=BB1_30 Depth=1
	v_mov_b32_e32 v20, 0
	s_mov_b32 s22, 0
	s_mov_b64 s[16:17], 0
	v_mov_b32_e32 v21, 0
	s_mov_b64 s[18:19], 0
.LBB1_73:                               ;   Parent Loop BB1_30 Depth=1
                                        ; =>  This Inner Loop Header: Depth=2
	v_add_u32_e32 v8, s22, v9
	buffer_load_ubyte v8, v8, s[0:3], 0 offen
	v_mov_b32_e32 v24, s20
	s_add_i32 s22, s22, 1
	v_cmp_eq_u32_e64 s[4:5], s22, v22
	s_waitcnt vmcnt(0)
	v_and_b32_e32 v23, 0xffff, v8
	v_lshlrev_b64 v[23:24], s18, v[23:24]
	s_add_u32 s18, s18, 8
	s_addc_u32 s19, s19, 0
	v_or_b32_e32 v21, v24, v21
	s_or_b64 s[16:17], s[4:5], s[16:17]
	v_or_b32_e32 v20, v23, v20
	s_andn2_b64 exec, exec, s[16:17]
	s_cbranch_execnz .LBB1_73
; %bb.74:                               ;   in Loop: Header=BB1_30 Depth=1
	s_or_b64 exec, exec, s[16:17]
.LBB1_75:                               ;   in Loop: Header=BB1_30 Depth=1
	s_or_b64 exec, exec, s[14:15]
	v_mov_b32_e32 v8, v9
                                        ; implicit-def: $vgpr22
.LBB1_76:                               ;   in Loop: Header=BB1_30 Depth=1
	s_or_saveexec_b64 s[4:5], s[6:7]
	v_mov_b32_e32 v24, 0
	s_xor_b64 exec, exec, s[4:5]
	s_cbranch_execz .LBB1_78
; %bb.77:                               ;   in Loop: Header=BB1_30 Depth=1
	buffer_load_dword v20, v9, s[0:3], 0 offen
	buffer_load_dword v21, v9, s[0:3], 0 offen offset:4
	v_add_u32_e32 v24, -8, v22
.LBB1_78:                               ;   in Loop: Header=BB1_30 Depth=1
	s_or_b64 exec, exec, s[4:5]
	v_cmp_gt_u32_e64 s[4:5], 8, v24
	s_and_saveexec_b64 s[6:7], s[4:5]
	s_xor_b64 s[6:7], exec, s[6:7]
	s_cbranch_execz .LBB1_84
; %bb.79:                               ;   in Loop: Header=BB1_30 Depth=1
	v_mov_b32_e32 v22, 0
	v_mov_b32_e32 v23, 0
	v_cmp_ne_u32_e64 s[4:5], 0, v24
	s_and_saveexec_b64 s[14:15], s[4:5]
	s_cbranch_execz .LBB1_83
; %bb.80:                               ;   in Loop: Header=BB1_30 Depth=1
	v_mov_b32_e32 v22, 0
	s_mov_b64 s[16:17], 0
	v_mov_b32_e32 v23, 0
	s_mov_b64 s[18:19], 0
.LBB1_81:                               ;   Parent Loop BB1_30 Depth=1
                                        ; =>  This Inner Loop Header: Depth=2
	buffer_load_ubyte v9, v8, s[0:3], 0 offen
	v_mov_b32_e32 v26, s20
	v_add_u32_e32 v24, -1, v24
	v_cmp_eq_u32_e64 s[4:5], 0, v24
	v_add_u32_e32 v8, 1, v8
	s_waitcnt vmcnt(0)
	v_and_b32_e32 v25, 0xffff, v9
	v_lshlrev_b64 v[25:26], s18, v[25:26]
	s_add_u32 s18, s18, 8
	s_addc_u32 s19, s19, 0
	v_or_b32_e32 v23, v26, v23
	s_or_b64 s[16:17], s[4:5], s[16:17]
	v_or_b32_e32 v22, v25, v22
	s_andn2_b64 exec, exec, s[16:17]
	s_cbranch_execnz .LBB1_81
; %bb.82:                               ;   in Loop: Header=BB1_30 Depth=1
	s_or_b64 exec, exec, s[16:17]
.LBB1_83:                               ;   in Loop: Header=BB1_30 Depth=1
	s_or_b64 exec, exec, s[14:15]
                                        ; implicit-def: $vgpr8
.LBB1_84:                               ;   in Loop: Header=BB1_30 Depth=1
	s_andn2_saveexec_b64 s[4:5], s[6:7]
	s_cbranch_execz .LBB1_86
; %bb.85:                               ;   in Loop: Header=BB1_30 Depth=1
	buffer_load_dword v22, v8, s[0:3], 0 offen
	buffer_load_dword v23, v8, s[0:3], 0 offen offset:4
.LBB1_86:                               ;   in Loop: Header=BB1_30 Depth=1
	s_or_b64 exec, exec, s[4:5]
	v_readfirstlane_b32 s4, v34
	v_mov_b32_e32 v8, 0
	v_mov_b32_e32 v9, 0
	v_cmp_eq_u32_e64 s[4:5], s4, v34
	s_and_saveexec_b64 s[14:15], s[4:5]
	s_cbranch_execz .LBB1_92
; %bb.87:                               ;   in Loop: Header=BB1_30 Depth=1
	global_load_dwordx2 v[26:27], v31, s[10:11] offset:24 glc
	s_waitcnt vmcnt(0)
	buffer_wbinvl1_vol
	global_load_dwordx2 v[8:9], v31, s[10:11] offset:40
	global_load_dwordx2 v[24:25], v31, s[10:11]
	s_waitcnt vmcnt(1)
	v_and_b32_e32 v8, v8, v26
	v_and_b32_e32 v9, v9, v27
	v_mul_lo_u32 v9, v9, 24
	v_mul_hi_u32 v30, v8, 24
	v_mul_lo_u32 v8, v8, 24
	v_add_u32_e32 v9, v30, v9
	s_waitcnt vmcnt(0)
	v_add_co_u32_e64 v8, s[6:7], v24, v8
	v_addc_co_u32_e64 v9, s[6:7], v25, v9, s[6:7]
	global_load_dwordx2 v[24:25], v[8:9], off glc
	s_waitcnt vmcnt(0)
	global_atomic_cmpswap_x2 v[8:9], v31, v[24:27], s[10:11] offset:24 glc
	s_waitcnt vmcnt(0)
	buffer_wbinvl1_vol
	v_cmp_ne_u64_e64 s[6:7], v[8:9], v[26:27]
	s_and_saveexec_b64 s[16:17], s[6:7]
	s_cbranch_execz .LBB1_91
; %bb.88:                               ;   in Loop: Header=BB1_30 Depth=1
	s_mov_b64 s[18:19], 0
.LBB1_89:                               ;   Parent Loop BB1_30 Depth=1
                                        ; =>  This Inner Loop Header: Depth=2
	s_sleep 1
	global_load_dwordx2 v[24:25], v31, s[10:11] offset:40
	global_load_dwordx2 v[32:33], v31, s[10:11]
	v_mov_b32_e32 v27, v9
	v_mov_b32_e32 v26, v8
	s_waitcnt vmcnt(1)
	v_and_b32_e32 v8, v24, v26
	s_waitcnt vmcnt(0)
	v_mad_u64_u32 v[8:9], s[6:7], v8, 24, v[32:33]
	v_and_b32_e32 v24, v25, v27
	v_mad_u64_u32 v[24:25], s[6:7], v24, 24, v[9:10]
	v_mov_b32_e32 v9, v24
	global_load_dwordx2 v[24:25], v[8:9], off glc
	s_waitcnt vmcnt(0)
	global_atomic_cmpswap_x2 v[8:9], v31, v[24:27], s[10:11] offset:24 glc
	s_waitcnt vmcnt(0)
	buffer_wbinvl1_vol
	v_cmp_eq_u64_e64 s[6:7], v[8:9], v[26:27]
	s_or_b64 s[18:19], s[6:7], s[18:19]
	s_andn2_b64 exec, exec, s[18:19]
	s_cbranch_execnz .LBB1_89
; %bb.90:                               ;   in Loop: Header=BB1_30 Depth=1
	s_or_b64 exec, exec, s[18:19]
.LBB1_91:                               ;   in Loop: Header=BB1_30 Depth=1
	s_or_b64 exec, exec, s[16:17]
.LBB1_92:                               ;   in Loop: Header=BB1_30 Depth=1
	s_or_b64 exec, exec, s[14:15]
	global_load_dwordx2 v[32:33], v31, s[10:11] offset:40
	global_load_dwordx4 v[24:27], v31, s[10:11]
	v_readfirstlane_b32 s15, v9
	v_readfirstlane_b32 s14, v8
	s_mov_b64 s[16:17], exec
	s_waitcnt vmcnt(1)
	v_readfirstlane_b32 s6, v32
	v_readfirstlane_b32 s7, v33
	s_and_b64 s[18:19], s[6:7], s[14:15]
	s_mul_i32 s6, s19, 24
	s_mul_hi_u32 s7, s18, 24
	s_mul_i32 s22, s18, 24
	s_add_i32 s6, s7, s6
	v_mov_b32_e32 v8, s6
	s_waitcnt vmcnt(0)
	v_add_co_u32_e64 v32, s[6:7], s22, v24
	v_addc_co_u32_e64 v33, s[6:7], v25, v8, s[6:7]
	s_and_saveexec_b64 s[6:7], s[4:5]
	s_cbranch_execz .LBB1_94
; %bb.93:                               ;   in Loop: Header=BB1_30 Depth=1
	v_mov_b32_e32 v8, s16
	v_mov_b32_e32 v9, s17
	global_store_dwordx4 v[32:33], v[8:11], off offset:8
.LBB1_94:                               ;   in Loop: Header=BB1_30 Depth=1
	s_or_b64 exec, exec, s[6:7]
	s_lshl_b64 s[6:7], s[18:19], 12
	v_cndmask_b32_e32 v39, 0, v29, vcc
	v_mov_b32_e32 v8, s7
	v_add_co_u32_e32 v26, vcc, s6, v26
	v_addc_co_u32_e32 v27, vcc, v27, v8, vcc
	v_cmp_gt_u64_e32 vcc, 57, v[28:29]
	v_and_b32_e32 v0, 0xffffff1f, v0
	v_cndmask_b32_e32 v8, 0, v36, vcc
	v_lshl_add_u32 v9, v38, 2, 28
	v_or_b32_e32 v0, v0, v8
	v_and_or_b32 v0, v9, s21, v0
	v_readfirstlane_b32 s6, v26
	v_readfirstlane_b32 s7, v27
	s_nop 4
	global_store_dwordx4 v35, v[0:3], s[6:7]
	global_store_dwordx4 v35, v[12:15], s[6:7] offset:16
	global_store_dwordx4 v35, v[16:19], s[6:7] offset:32
	global_store_dwordx4 v35, v[20:23], s[6:7] offset:48
	s_and_saveexec_b64 s[6:7], s[4:5]
	s_cbranch_execz .LBB1_102
; %bb.95:                               ;   in Loop: Header=BB1_30 Depth=1
	global_load_dwordx2 v[14:15], v31, s[10:11] offset:32 glc
	global_load_dwordx2 v[0:1], v31, s[10:11] offset:40
	v_mov_b32_e32 v12, s14
	v_mov_b32_e32 v13, s15
	s_waitcnt vmcnt(0)
	v_readfirstlane_b32 s16, v0
	v_readfirstlane_b32 s17, v1
	s_and_b64 s[16:17], s[16:17], s[14:15]
	s_mul_i32 s17, s17, 24
	s_mul_hi_u32 s18, s16, 24
	s_mul_i32 s16, s16, 24
	s_add_i32 s17, s18, s17
	v_mov_b32_e32 v0, s17
	v_add_co_u32_e32 v8, vcc, s16, v24
	v_addc_co_u32_e32 v9, vcc, v25, v0, vcc
	global_store_dwordx2 v[8:9], v[14:15], off
	s_waitcnt vmcnt(0)
	global_atomic_cmpswap_x2 v[2:3], v31, v[12:15], s[10:11] offset:32 glc
	s_waitcnt vmcnt(0)
	v_cmp_ne_u64_e32 vcc, v[2:3], v[14:15]
	s_and_saveexec_b64 s[16:17], vcc
	s_cbranch_execz .LBB1_98
; %bb.96:                               ;   in Loop: Header=BB1_30 Depth=1
	s_mov_b64 s[18:19], 0
.LBB1_97:                               ;   Parent Loop BB1_30 Depth=1
                                        ; =>  This Inner Loop Header: Depth=2
	s_sleep 1
	global_store_dwordx2 v[8:9], v[2:3], off
	v_mov_b32_e32 v0, s14
	v_mov_b32_e32 v1, s15
	s_waitcnt vmcnt(0)
	global_atomic_cmpswap_x2 v[0:1], v31, v[0:3], s[10:11] offset:32 glc
	s_waitcnt vmcnt(0)
	v_cmp_eq_u64_e32 vcc, v[0:1], v[2:3]
	v_mov_b32_e32 v3, v1
	s_or_b64 s[18:19], vcc, s[18:19]
	v_mov_b32_e32 v2, v0
	s_andn2_b64 exec, exec, s[18:19]
	s_cbranch_execnz .LBB1_97
.LBB1_98:                               ;   in Loop: Header=BB1_30 Depth=1
	s_or_b64 exec, exec, s[16:17]
	global_load_dwordx2 v[0:1], v31, s[10:11] offset:16
	s_mov_b64 s[18:19], exec
	v_mbcnt_lo_u32_b32 v2, s18, 0
	v_mbcnt_hi_u32_b32 v2, s19, v2
	v_cmp_eq_u32_e32 vcc, 0, v2
	s_and_saveexec_b64 s[16:17], vcc
	s_cbranch_execz .LBB1_100
; %bb.99:                               ;   in Loop: Header=BB1_30 Depth=1
	s_bcnt1_i32_b64 s18, s[18:19]
	v_mov_b32_e32 v30, s18
	s_waitcnt vmcnt(0)
	global_atomic_add_x2 v[0:1], v[30:31], off offset:8
.LBB1_100:                              ;   in Loop: Header=BB1_30 Depth=1
	s_or_b64 exec, exec, s[16:17]
	s_waitcnt vmcnt(0)
	global_load_dwordx2 v[2:3], v[0:1], off offset:16
	s_waitcnt vmcnt(0)
	v_cmp_eq_u64_e32 vcc, 0, v[2:3]
	s_cbranch_vccnz .LBB1_102
; %bb.101:                              ;   in Loop: Header=BB1_30 Depth=1
	global_load_dword v30, v[0:1], off offset:24
	s_waitcnt vmcnt(0)
	v_readfirstlane_b32 s16, v30
	s_and_b32 m0, s16, 0xffffff
	global_store_dwordx2 v[2:3], v[30:31], off
	s_sendmsg sendmsg(MSG_INTERRUPT)
.LBB1_102:                              ;   in Loop: Header=BB1_30 Depth=1
	s_or_b64 exec, exec, s[6:7]
	v_add_co_u32_e32 v0, vcc, v26, v35
	v_addc_co_u32_e32 v1, vcc, 0, v27, vcc
	s_branch .LBB1_106
.LBB1_103:                              ;   in Loop: Header=BB1_106 Depth=2
	s_or_b64 exec, exec, s[6:7]
	v_readfirstlane_b32 s6, v2
	s_cmp_eq_u32 s6, 0
	s_cbranch_scc1 .LBB1_105
; %bb.104:                              ;   in Loop: Header=BB1_106 Depth=2
	s_sleep 1
	s_cbranch_execnz .LBB1_106
	s_branch .LBB1_108
.LBB1_105:                              ;   in Loop: Header=BB1_30 Depth=1
	s_branch .LBB1_108
.LBB1_106:                              ;   Parent Loop BB1_30 Depth=1
                                        ; =>  This Inner Loop Header: Depth=2
	v_mov_b32_e32 v2, 1
	s_and_saveexec_b64 s[6:7], s[4:5]
	s_cbranch_execz .LBB1_103
; %bb.107:                              ;   in Loop: Header=BB1_106 Depth=2
	global_load_dword v2, v[32:33], off offset:20 glc
	s_waitcnt vmcnt(0)
	buffer_wbinvl1_vol
	v_and_b32_e32 v2, 1, v2
	s_branch .LBB1_103
.LBB1_108:                              ;   in Loop: Header=BB1_30 Depth=1
	global_load_dwordx2 v[0:1], v[0:1], off
	s_and_saveexec_b64 s[6:7], s[4:5]
	s_cbranch_execz .LBB1_29
; %bb.109:                              ;   in Loop: Header=BB1_30 Depth=1
	global_load_dwordx2 v[2:3], v31, s[10:11] offset:40
	global_load_dwordx2 v[16:17], v31, s[10:11] offset:24 glc
	global_load_dwordx2 v[8:9], v31, s[10:11]
	s_waitcnt vmcnt(2)
	v_readfirstlane_b32 s16, v2
	v_readfirstlane_b32 s17, v3
	s_add_u32 s18, s16, 1
	s_addc_u32 s19, s17, 0
	s_add_u32 s4, s18, s14
	s_addc_u32 s5, s19, s15
	s_cmp_eq_u64 s[4:5], 0
	s_cselect_b32 s5, s19, s5
	s_cselect_b32 s4, s18, s4
	s_and_b64 s[14:15], s[4:5], s[16:17]
	s_mul_i32 s15, s15, 24
	s_mul_hi_u32 s16, s14, 24
	s_mul_i32 s14, s14, 24
	s_add_i32 s15, s16, s15
	v_mov_b32_e32 v3, s15
	s_waitcnt vmcnt(0)
	v_add_co_u32_e32 v2, vcc, s14, v8
	v_addc_co_u32_e32 v3, vcc, v9, v3, vcc
	v_mov_b32_e32 v14, s4
	global_store_dwordx2 v[2:3], v[16:17], off
	v_mov_b32_e32 v15, s5
	s_waitcnt vmcnt(0)
	global_atomic_cmpswap_x2 v[14:15], v31, v[14:17], s[10:11] offset:24 glc
	s_waitcnt vmcnt(0)
	v_cmp_ne_u64_e32 vcc, v[14:15], v[16:17]
	s_and_b64 exec, exec, vcc
	s_cbranch_execz .LBB1_29
; %bb.110:                              ;   in Loop: Header=BB1_30 Depth=1
	s_mov_b64 s[14:15], 0
.LBB1_111:                              ;   Parent Loop BB1_30 Depth=1
                                        ; =>  This Inner Loop Header: Depth=2
	s_sleep 1
	global_store_dwordx2 v[2:3], v[14:15], off
	v_mov_b32_e32 v12, s4
	v_mov_b32_e32 v13, s5
	s_waitcnt vmcnt(0)
	global_atomic_cmpswap_x2 v[8:9], v31, v[12:15], s[10:11] offset:24 glc
	s_waitcnt vmcnt(0)
	v_cmp_eq_u64_e32 vcc, v[8:9], v[14:15]
	v_mov_b32_e32 v15, v9
	s_or_b64 s[14:15], vcc, s[14:15]
	v_mov_b32_e32 v14, v8
	s_andn2_b64 exec, exec, s[14:15]
	s_cbranch_execnz .LBB1_111
	s_branch .LBB1_29
.LBB1_112:
                                        ; implicit-def: $vgpr0_vgpr1
	s_cbranch_execnz .LBB1_114
	s_branch .LBB1_140
.LBB1_113:
	s_or_b64 exec, exec, s[12:13]
	s_branch .LBB1_140
.LBB1_114:
	v_readfirstlane_b32 s4, v34
	v_mov_b32_e32 v9, 0
	v_mov_b32_e32 v10, 0
	v_cmp_eq_u32_e64 s[4:5], s4, v34
	s_and_saveexec_b64 s[6:7], s[4:5]
	s_cbranch_execz .LBB1_120
; %bb.115:
	s_waitcnt vmcnt(0)
	v_mov_b32_e32 v0, 0
	global_load_dwordx2 v[11:12], v0, s[10:11] offset:24 glc
	s_waitcnt vmcnt(0)
	buffer_wbinvl1_vol
	global_load_dwordx2 v[1:2], v0, s[10:11] offset:40
	global_load_dwordx2 v[8:9], v0, s[10:11]
	s_waitcnt vmcnt(1)
	v_and_b32_e32 v1, v1, v11
	v_and_b32_e32 v2, v2, v12
	v_mul_lo_u32 v2, v2, 24
	v_mul_hi_u32 v3, v1, 24
	v_mul_lo_u32 v1, v1, 24
	v_add_u32_e32 v2, v3, v2
	s_waitcnt vmcnt(0)
	v_add_co_u32_e32 v1, vcc, v8, v1
	v_addc_co_u32_e32 v2, vcc, v9, v2, vcc
	global_load_dwordx2 v[9:10], v[1:2], off glc
	s_waitcnt vmcnt(0)
	global_atomic_cmpswap_x2 v[9:10], v0, v[9:12], s[10:11] offset:24 glc
	s_waitcnt vmcnt(0)
	buffer_wbinvl1_vol
	v_cmp_ne_u64_e32 vcc, v[9:10], v[11:12]
	s_and_saveexec_b64 s[12:13], vcc
	s_cbranch_execz .LBB1_119
; %bb.116:
	s_mov_b64 s[14:15], 0
.LBB1_117:                              ; =>This Inner Loop Header: Depth=1
	s_sleep 1
	global_load_dwordx2 v[1:2], v0, s[10:11] offset:40
	global_load_dwordx2 v[13:14], v0, s[10:11]
	v_mov_b32_e32 v12, v10
	v_mov_b32_e32 v11, v9
	s_waitcnt vmcnt(1)
	v_and_b32_e32 v1, v1, v11
	s_waitcnt vmcnt(0)
	v_mad_u64_u32 v[8:9], s[16:17], v1, 24, v[13:14]
	v_and_b32_e32 v2, v2, v12
	v_mov_b32_e32 v1, v9
	v_mad_u64_u32 v[1:2], s[16:17], v2, 24, v[1:2]
	v_mov_b32_e32 v9, v1
	global_load_dwordx2 v[9:10], v[8:9], off glc
	s_waitcnt vmcnt(0)
	global_atomic_cmpswap_x2 v[9:10], v0, v[9:12], s[10:11] offset:24 glc
	s_waitcnt vmcnt(0)
	buffer_wbinvl1_vol
	v_cmp_eq_u64_e32 vcc, v[9:10], v[11:12]
	s_or_b64 s[14:15], vcc, s[14:15]
	s_andn2_b64 exec, exec, s[14:15]
	s_cbranch_execnz .LBB1_117
; %bb.118:
	s_or_b64 exec, exec, s[14:15]
.LBB1_119:
	s_or_b64 exec, exec, s[12:13]
.LBB1_120:
	s_or_b64 exec, exec, s[6:7]
	v_mov_b32_e32 v8, 0
	global_load_dwordx2 v[11:12], v8, s[10:11] offset:40
	global_load_dwordx4 v[0:3], v8, s[10:11]
	v_readfirstlane_b32 s7, v10
	v_readfirstlane_b32 s6, v9
	s_mov_b64 s[12:13], exec
	s_waitcnt vmcnt(1)
	v_readfirstlane_b32 s14, v11
	v_readfirstlane_b32 s15, v12
	s_and_b64 s[14:15], s[14:15], s[6:7]
	s_mul_i32 s16, s15, 24
	s_mul_hi_u32 s17, s14, 24
	s_mul_i32 s18, s14, 24
	s_add_i32 s16, s17, s16
	v_mov_b32_e32 v9, s16
	s_waitcnt vmcnt(0)
	v_add_co_u32_e32 v10, vcc, s18, v0
	v_addc_co_u32_e32 v11, vcc, v1, v9, vcc
	s_and_saveexec_b64 s[16:17], s[4:5]
	s_cbranch_execz .LBB1_122
; %bb.121:
	v_mov_b32_e32 v12, s12
	v_mov_b32_e32 v13, s13
	;; [unrolled: 1-line block ×4, first 2 shown]
	global_store_dwordx4 v[10:11], v[12:15], off offset:8
.LBB1_122:
	s_or_b64 exec, exec, s[16:17]
	s_lshl_b64 s[12:13], s[14:15], 12
	v_mov_b32_e32 v9, s13
	v_add_co_u32_e32 v2, vcc, s12, v2
	v_addc_co_u32_e32 v3, vcc, v3, v9, vcc
	s_movk_i32 s12, 0xff1f
	v_and_or_b32 v6, v6, s12, 32
	s_mov_b32 s12, 0
	v_mov_b32_e32 v9, v8
	v_readfirstlane_b32 s16, v2
	v_readfirstlane_b32 s17, v3
	v_add_co_u32_e32 v12, vcc, v2, v35
	s_mov_b32 s13, s12
	s_mov_b32 s14, s12
	;; [unrolled: 1-line block ×3, first 2 shown]
	s_nop 0
	global_store_dwordx4 v35, v[6:9], s[16:17]
	v_addc_co_u32_e32 v13, vcc, 0, v3, vcc
	v_mov_b32_e32 v6, s12
	v_mov_b32_e32 v7, s13
	;; [unrolled: 1-line block ×4, first 2 shown]
	global_store_dwordx4 v35, v[6:9], s[16:17] offset:16
	global_store_dwordx4 v35, v[6:9], s[16:17] offset:32
	;; [unrolled: 1-line block ×3, first 2 shown]
	s_and_saveexec_b64 s[12:13], s[4:5]
	s_cbranch_execz .LBB1_130
; %bb.123:
	v_mov_b32_e32 v8, 0
	global_load_dwordx2 v[16:17], v8, s[10:11] offset:32 glc
	global_load_dwordx2 v[2:3], v8, s[10:11] offset:40
	v_mov_b32_e32 v14, s6
	v_mov_b32_e32 v15, s7
	s_waitcnt vmcnt(0)
	v_readfirstlane_b32 s14, v2
	v_readfirstlane_b32 s15, v3
	s_and_b64 s[14:15], s[14:15], s[6:7]
	s_mul_i32 s15, s15, 24
	s_mul_hi_u32 s16, s14, 24
	s_mul_i32 s14, s14, 24
	s_add_i32 s15, s16, s15
	v_mov_b32_e32 v2, s15
	v_add_co_u32_e32 v6, vcc, s14, v0
	v_addc_co_u32_e32 v7, vcc, v1, v2, vcc
	global_store_dwordx2 v[6:7], v[16:17], off
	s_waitcnt vmcnt(0)
	global_atomic_cmpswap_x2 v[2:3], v8, v[14:17], s[10:11] offset:32 glc
	s_waitcnt vmcnt(0)
	v_cmp_ne_u64_e32 vcc, v[2:3], v[16:17]
	s_and_saveexec_b64 s[14:15], vcc
	s_cbranch_execz .LBB1_126
; %bb.124:
	s_mov_b64 s[16:17], 0
.LBB1_125:                              ; =>This Inner Loop Header: Depth=1
	s_sleep 1
	global_store_dwordx2 v[6:7], v[2:3], off
	v_mov_b32_e32 v0, s6
	v_mov_b32_e32 v1, s7
	s_waitcnt vmcnt(0)
	global_atomic_cmpswap_x2 v[0:1], v8, v[0:3], s[10:11] offset:32 glc
	s_waitcnt vmcnt(0)
	v_cmp_eq_u64_e32 vcc, v[0:1], v[2:3]
	v_mov_b32_e32 v3, v1
	s_or_b64 s[16:17], vcc, s[16:17]
	v_mov_b32_e32 v2, v0
	s_andn2_b64 exec, exec, s[16:17]
	s_cbranch_execnz .LBB1_125
.LBB1_126:
	s_or_b64 exec, exec, s[14:15]
	v_mov_b32_e32 v3, 0
	global_load_dwordx2 v[0:1], v3, s[10:11] offset:16
	s_mov_b64 s[14:15], exec
	v_mbcnt_lo_u32_b32 v2, s14, 0
	v_mbcnt_hi_u32_b32 v2, s15, v2
	v_cmp_eq_u32_e32 vcc, 0, v2
	s_and_saveexec_b64 s[16:17], vcc
	s_cbranch_execz .LBB1_128
; %bb.127:
	s_bcnt1_i32_b64 s14, s[14:15]
	v_mov_b32_e32 v2, s14
	s_waitcnt vmcnt(0)
	global_atomic_add_x2 v[0:1], v[2:3], off offset:8
.LBB1_128:
	s_or_b64 exec, exec, s[16:17]
	s_waitcnt vmcnt(0)
	global_load_dwordx2 v[2:3], v[0:1], off offset:16
	s_waitcnt vmcnt(0)
	v_cmp_eq_u64_e32 vcc, 0, v[2:3]
	s_cbranch_vccnz .LBB1_130
; %bb.129:
	global_load_dword v0, v[0:1], off offset:24
	v_mov_b32_e32 v1, 0
	s_waitcnt vmcnt(0)
	v_readfirstlane_b32 s14, v0
	s_and_b32 m0, s14, 0xffffff
	global_store_dwordx2 v[2:3], v[0:1], off
	s_sendmsg sendmsg(MSG_INTERRUPT)
.LBB1_130:
	s_or_b64 exec, exec, s[12:13]
	s_branch .LBB1_134
.LBB1_131:                              ;   in Loop: Header=BB1_134 Depth=1
	s_or_b64 exec, exec, s[12:13]
	v_readfirstlane_b32 s12, v0
	s_cmp_eq_u32 s12, 0
	s_cbranch_scc1 .LBB1_133
; %bb.132:                              ;   in Loop: Header=BB1_134 Depth=1
	s_sleep 1
	s_cbranch_execnz .LBB1_134
	s_branch .LBB1_136
.LBB1_133:
	s_branch .LBB1_136
.LBB1_134:                              ; =>This Inner Loop Header: Depth=1
	v_mov_b32_e32 v0, 1
	s_and_saveexec_b64 s[12:13], s[4:5]
	s_cbranch_execz .LBB1_131
; %bb.135:                              ;   in Loop: Header=BB1_134 Depth=1
	global_load_dword v0, v[10:11], off offset:20 glc
	s_waitcnt vmcnt(0)
	buffer_wbinvl1_vol
	v_and_b32_e32 v0, 1, v0
	s_branch .LBB1_131
.LBB1_136:
	global_load_dwordx2 v[0:1], v[12:13], off
	s_and_saveexec_b64 s[12:13], s[4:5]
	s_cbranch_execz .LBB1_139
; %bb.137:
	v_mov_b32_e32 v10, 0
	global_load_dwordx2 v[2:3], v10, s[10:11] offset:40
	global_load_dwordx2 v[13:14], v10, s[10:11] offset:24 glc
	global_load_dwordx2 v[6:7], v10, s[10:11]
	s_waitcnt vmcnt(2)
	v_readfirstlane_b32 s14, v2
	v_readfirstlane_b32 s15, v3
	s_add_u32 s16, s14, 1
	s_addc_u32 s17, s15, 0
	s_add_u32 s4, s16, s6
	s_addc_u32 s5, s17, s7
	s_cmp_eq_u64 s[4:5], 0
	s_cselect_b32 s5, s17, s5
	s_cselect_b32 s4, s16, s4
	s_and_b64 s[6:7], s[4:5], s[14:15]
	s_mul_i32 s7, s7, 24
	s_mul_hi_u32 s14, s6, 24
	s_mul_i32 s6, s6, 24
	s_add_i32 s7, s14, s7
	v_mov_b32_e32 v3, s7
	s_waitcnt vmcnt(0)
	v_add_co_u32_e32 v2, vcc, s6, v6
	v_addc_co_u32_e32 v3, vcc, v7, v3, vcc
	v_mov_b32_e32 v11, s4
	global_store_dwordx2 v[2:3], v[13:14], off
	v_mov_b32_e32 v12, s5
	s_waitcnt vmcnt(0)
	global_atomic_cmpswap_x2 v[8:9], v10, v[11:14], s[10:11] offset:24 glc
	s_mov_b64 s[6:7], 0
	s_waitcnt vmcnt(0)
	v_cmp_ne_u64_e32 vcc, v[8:9], v[13:14]
	s_and_b64 exec, exec, vcc
	s_cbranch_execz .LBB1_139
.LBB1_138:                              ; =>This Inner Loop Header: Depth=1
	s_sleep 1
	global_store_dwordx2 v[2:3], v[8:9], off
	v_mov_b32_e32 v6, s4
	v_mov_b32_e32 v7, s5
	s_waitcnt vmcnt(0)
	global_atomic_cmpswap_x2 v[6:7], v10, v[6:9], s[10:11] offset:24 glc
	s_waitcnt vmcnt(0)
	v_cmp_eq_u64_e32 vcc, v[6:7], v[8:9]
	v_mov_b32_e32 v9, v7
	s_or_b64 s[6:7], vcc, s[6:7]
	v_mov_b32_e32 v8, v6
	s_andn2_b64 exec, exec, s[6:7]
	s_cbranch_execnz .LBB1_138
.LBB1_139:
	s_or_b64 exec, exec, s[12:13]
.LBB1_140:
	s_getpc_b64 s[6:7]
	s_add_u32 s6, s6, .str.4@rel32@lo+4
	s_addc_u32 s7, s7, .str.4@rel32@hi+12
	s_cmp_lg_u64 s[6:7], 0
	s_cbranch_scc0 .LBB1_225
; %bb.141:
	s_getpc_b64 s[4:5]
	s_add_u32 s4, s4, .str.4@rel32@lo+80
	s_addc_u32 s5, s5, .str.4@rel32@hi+88
	s_sub_i32 s12, s4, s6
	s_ashr_i32 s13, s12, 31
	s_waitcnt vmcnt(0)
	v_and_b32_e32 v32, 2, v0
	v_mov_b32_e32 v3, 0
	v_and_b32_e32 v6, -3, v0
	v_mov_b32_e32 v7, v1
	v_mov_b32_e32 v12, 2
	;; [unrolled: 1-line block ×3, first 2 shown]
	s_branch .LBB1_143
.LBB1_142:                              ;   in Loop: Header=BB1_143 Depth=1
	s_or_b64 exec, exec, s[18:19]
	s_sub_u32 s12, s12, s14
	s_subb_u32 s13, s13, s15
	s_add_u32 s6, s6, s14
	s_addc_u32 s7, s7, s15
	s_cmp_lg_u64 s[12:13], 0
	s_cbranch_scc0 .LBB1_226
.LBB1_143:                              ; =>This Loop Header: Depth=1
                                        ;     Child Loop BB1_146 Depth 2
                                        ;     Child Loop BB1_154 Depth 2
                                        ;     Child Loop BB1_162 Depth 2
                                        ;     Child Loop BB1_170 Depth 2
                                        ;     Child Loop BB1_178 Depth 2
                                        ;     Child Loop BB1_186 Depth 2
                                        ;     Child Loop BB1_194 Depth 2
                                        ;     Child Loop BB1_202 Depth 2
                                        ;     Child Loop BB1_210 Depth 2
                                        ;     Child Loop BB1_219 Depth 2
                                        ;     Child Loop BB1_224 Depth 2
	v_cmp_lt_u64_e64 s[4:5], s[12:13], 56
	v_cmp_gt_u64_e64 s[16:17], s[12:13], 7
	s_and_b64 s[4:5], s[4:5], exec
	s_cselect_b32 s15, s13, 0
	s_cselect_b32 s14, s12, 56
	s_add_u32 s4, s6, 8
	s_addc_u32 s5, s7, 0
	s_and_b64 vcc, exec, s[16:17]
	s_cbranch_vccnz .LBB1_147
; %bb.144:                              ;   in Loop: Header=BB1_143 Depth=1
	s_cmp_eq_u64 s[12:13], 0
	s_cbranch_scc1 .LBB1_148
; %bb.145:                              ;   in Loop: Header=BB1_143 Depth=1
	v_mov_b32_e32 v8, 0
	s_lshl_b64 s[4:5], s[14:15], 3
	s_mov_b64 s[16:17], 0
	v_mov_b32_e32 v9, 0
	s_mov_b64 s[18:19], s[6:7]
.LBB1_146:                              ;   Parent Loop BB1_143 Depth=1
                                        ; =>  This Inner Loop Header: Depth=2
	global_load_ubyte v2, v3, s[18:19]
	s_waitcnt vmcnt(0)
	v_and_b32_e32 v2, 0xffff, v2
	v_lshlrev_b64 v[10:11], s16, v[2:3]
	s_add_u32 s16, s16, 8
	s_addc_u32 s17, s17, 0
	s_add_u32 s18, s18, 1
	s_addc_u32 s19, s19, 0
	v_or_b32_e32 v8, v10, v8
	s_cmp_lg_u32 s4, s16
	v_or_b32_e32 v9, v11, v9
	s_cbranch_scc1 .LBB1_146
	s_branch .LBB1_149
.LBB1_147:                              ;   in Loop: Header=BB1_143 Depth=1
	s_mov_b32 s20, 0
	s_branch .LBB1_150
.LBB1_148:                              ;   in Loop: Header=BB1_143 Depth=1
	v_mov_b32_e32 v8, 0
	v_mov_b32_e32 v9, 0
.LBB1_149:                              ;   in Loop: Header=BB1_143 Depth=1
	s_mov_b64 s[4:5], s[6:7]
	s_mov_b32 s20, 0
	s_cbranch_execnz .LBB1_151
.LBB1_150:                              ;   in Loop: Header=BB1_143 Depth=1
	global_load_dwordx2 v[8:9], v3, s[6:7]
	s_add_i32 s20, s14, -8
.LBB1_151:                              ;   in Loop: Header=BB1_143 Depth=1
	s_add_u32 s16, s4, 8
	s_addc_u32 s17, s5, 0
	s_cmp_gt_u32 s20, 7
	s_cbranch_scc1 .LBB1_155
; %bb.152:                              ;   in Loop: Header=BB1_143 Depth=1
	s_cmp_eq_u32 s20, 0
	s_cbranch_scc1 .LBB1_156
; %bb.153:                              ;   in Loop: Header=BB1_143 Depth=1
	v_mov_b32_e32 v14, 0
	s_mov_b64 s[16:17], 0
	v_mov_b32_e32 v15, 0
	s_mov_b64 s[18:19], 0
.LBB1_154:                              ;   Parent Loop BB1_143 Depth=1
                                        ; =>  This Inner Loop Header: Depth=2
	s_add_u32 s22, s4, s18
	s_addc_u32 s23, s5, s19
	global_load_ubyte v2, v3, s[22:23]
	s_add_u32 s18, s18, 1
	s_addc_u32 s19, s19, 0
	s_waitcnt vmcnt(0)
	v_and_b32_e32 v2, 0xffff, v2
	v_lshlrev_b64 v[10:11], s16, v[2:3]
	s_add_u32 s16, s16, 8
	s_addc_u32 s17, s17, 0
	v_or_b32_e32 v14, v10, v14
	s_cmp_lg_u32 s20, s18
	v_or_b32_e32 v15, v11, v15
	s_cbranch_scc1 .LBB1_154
	s_branch .LBB1_157
.LBB1_155:                              ;   in Loop: Header=BB1_143 Depth=1
                                        ; implicit-def: $vgpr14_vgpr15
	s_mov_b32 s21, 0
	s_branch .LBB1_158
.LBB1_156:                              ;   in Loop: Header=BB1_143 Depth=1
	v_mov_b32_e32 v14, 0
	v_mov_b32_e32 v15, 0
.LBB1_157:                              ;   in Loop: Header=BB1_143 Depth=1
	s_mov_b64 s[16:17], s[4:5]
	s_mov_b32 s21, 0
	s_cbranch_execnz .LBB1_159
.LBB1_158:                              ;   in Loop: Header=BB1_143 Depth=1
	global_load_dwordx2 v[14:15], v3, s[4:5]
	s_add_i32 s21, s20, -8
.LBB1_159:                              ;   in Loop: Header=BB1_143 Depth=1
	s_add_u32 s4, s16, 8
	s_addc_u32 s5, s17, 0
	s_cmp_gt_u32 s21, 7
	s_cbranch_scc1 .LBB1_163
; %bb.160:                              ;   in Loop: Header=BB1_143 Depth=1
	s_cmp_eq_u32 s21, 0
	s_cbranch_scc1 .LBB1_164
; %bb.161:                              ;   in Loop: Header=BB1_143 Depth=1
	v_mov_b32_e32 v16, 0
	s_mov_b64 s[4:5], 0
	v_mov_b32_e32 v17, 0
	s_mov_b64 s[18:19], 0
.LBB1_162:                              ;   Parent Loop BB1_143 Depth=1
                                        ; =>  This Inner Loop Header: Depth=2
	s_add_u32 s22, s16, s18
	s_addc_u32 s23, s17, s19
	global_load_ubyte v2, v3, s[22:23]
	s_add_u32 s18, s18, 1
	s_addc_u32 s19, s19, 0
	s_waitcnt vmcnt(0)
	v_and_b32_e32 v2, 0xffff, v2
	v_lshlrev_b64 v[10:11], s4, v[2:3]
	s_add_u32 s4, s4, 8
	s_addc_u32 s5, s5, 0
	v_or_b32_e32 v16, v10, v16
	s_cmp_lg_u32 s21, s18
	v_or_b32_e32 v17, v11, v17
	s_cbranch_scc1 .LBB1_162
	s_branch .LBB1_165
.LBB1_163:                              ;   in Loop: Header=BB1_143 Depth=1
	s_mov_b32 s20, 0
	s_branch .LBB1_166
.LBB1_164:                              ;   in Loop: Header=BB1_143 Depth=1
	v_mov_b32_e32 v16, 0
	v_mov_b32_e32 v17, 0
.LBB1_165:                              ;   in Loop: Header=BB1_143 Depth=1
	s_mov_b64 s[4:5], s[16:17]
	s_mov_b32 s20, 0
	s_cbranch_execnz .LBB1_167
.LBB1_166:                              ;   in Loop: Header=BB1_143 Depth=1
	global_load_dwordx2 v[16:17], v3, s[16:17]
	s_add_i32 s20, s21, -8
.LBB1_167:                              ;   in Loop: Header=BB1_143 Depth=1
	s_add_u32 s16, s4, 8
	s_addc_u32 s17, s5, 0
	s_cmp_gt_u32 s20, 7
	s_cbranch_scc1 .LBB1_171
; %bb.168:                              ;   in Loop: Header=BB1_143 Depth=1
	s_cmp_eq_u32 s20, 0
	s_cbranch_scc1 .LBB1_172
; %bb.169:                              ;   in Loop: Header=BB1_143 Depth=1
	v_mov_b32_e32 v18, 0
	s_mov_b64 s[16:17], 0
	v_mov_b32_e32 v19, 0
	s_mov_b64 s[18:19], 0
.LBB1_170:                              ;   Parent Loop BB1_143 Depth=1
                                        ; =>  This Inner Loop Header: Depth=2
	s_add_u32 s22, s4, s18
	s_addc_u32 s23, s5, s19
	global_load_ubyte v2, v3, s[22:23]
	s_add_u32 s18, s18, 1
	s_addc_u32 s19, s19, 0
	s_waitcnt vmcnt(0)
	v_and_b32_e32 v2, 0xffff, v2
	v_lshlrev_b64 v[10:11], s16, v[2:3]
	s_add_u32 s16, s16, 8
	s_addc_u32 s17, s17, 0
	v_or_b32_e32 v18, v10, v18
	s_cmp_lg_u32 s20, s18
	v_or_b32_e32 v19, v11, v19
	s_cbranch_scc1 .LBB1_170
	s_branch .LBB1_173
.LBB1_171:                              ;   in Loop: Header=BB1_143 Depth=1
                                        ; implicit-def: $vgpr18_vgpr19
	s_mov_b32 s21, 0
	s_branch .LBB1_174
.LBB1_172:                              ;   in Loop: Header=BB1_143 Depth=1
	v_mov_b32_e32 v18, 0
	v_mov_b32_e32 v19, 0
.LBB1_173:                              ;   in Loop: Header=BB1_143 Depth=1
	s_mov_b64 s[16:17], s[4:5]
	s_mov_b32 s21, 0
	s_cbranch_execnz .LBB1_175
.LBB1_174:                              ;   in Loop: Header=BB1_143 Depth=1
	global_load_dwordx2 v[18:19], v3, s[4:5]
	s_add_i32 s21, s20, -8
.LBB1_175:                              ;   in Loop: Header=BB1_143 Depth=1
	s_add_u32 s4, s16, 8
	s_addc_u32 s5, s17, 0
	s_cmp_gt_u32 s21, 7
	s_cbranch_scc1 .LBB1_179
; %bb.176:                              ;   in Loop: Header=BB1_143 Depth=1
	s_cmp_eq_u32 s21, 0
	s_cbranch_scc1 .LBB1_180
; %bb.177:                              ;   in Loop: Header=BB1_143 Depth=1
	v_mov_b32_e32 v20, 0
	s_mov_b64 s[4:5], 0
	v_mov_b32_e32 v21, 0
	s_mov_b64 s[18:19], 0
.LBB1_178:                              ;   Parent Loop BB1_143 Depth=1
                                        ; =>  This Inner Loop Header: Depth=2
	s_add_u32 s22, s16, s18
	s_addc_u32 s23, s17, s19
	global_load_ubyte v2, v3, s[22:23]
	s_add_u32 s18, s18, 1
	s_addc_u32 s19, s19, 0
	s_waitcnt vmcnt(0)
	v_and_b32_e32 v2, 0xffff, v2
	v_lshlrev_b64 v[10:11], s4, v[2:3]
	s_add_u32 s4, s4, 8
	s_addc_u32 s5, s5, 0
	v_or_b32_e32 v20, v10, v20
	s_cmp_lg_u32 s21, s18
	v_or_b32_e32 v21, v11, v21
	s_cbranch_scc1 .LBB1_178
	s_branch .LBB1_181
.LBB1_179:                              ;   in Loop: Header=BB1_143 Depth=1
	s_mov_b32 s20, 0
	s_branch .LBB1_182
.LBB1_180:                              ;   in Loop: Header=BB1_143 Depth=1
	v_mov_b32_e32 v20, 0
	v_mov_b32_e32 v21, 0
.LBB1_181:                              ;   in Loop: Header=BB1_143 Depth=1
	s_mov_b64 s[4:5], s[16:17]
	s_mov_b32 s20, 0
	s_cbranch_execnz .LBB1_183
.LBB1_182:                              ;   in Loop: Header=BB1_143 Depth=1
	global_load_dwordx2 v[20:21], v3, s[16:17]
	s_add_i32 s20, s21, -8
.LBB1_183:                              ;   in Loop: Header=BB1_143 Depth=1
	s_add_u32 s16, s4, 8
	s_addc_u32 s17, s5, 0
	s_cmp_gt_u32 s20, 7
	s_cbranch_scc1 .LBB1_187
; %bb.184:                              ;   in Loop: Header=BB1_143 Depth=1
	s_cmp_eq_u32 s20, 0
	s_cbranch_scc1 .LBB1_188
; %bb.185:                              ;   in Loop: Header=BB1_143 Depth=1
	v_mov_b32_e32 v22, 0
	s_mov_b64 s[16:17], 0
	v_mov_b32_e32 v23, 0
	s_mov_b64 s[18:19], 0
.LBB1_186:                              ;   Parent Loop BB1_143 Depth=1
                                        ; =>  This Inner Loop Header: Depth=2
	s_add_u32 s22, s4, s18
	s_addc_u32 s23, s5, s19
	global_load_ubyte v2, v3, s[22:23]
	s_add_u32 s18, s18, 1
	s_addc_u32 s19, s19, 0
	s_waitcnt vmcnt(0)
	v_and_b32_e32 v2, 0xffff, v2
	v_lshlrev_b64 v[10:11], s16, v[2:3]
	s_add_u32 s16, s16, 8
	s_addc_u32 s17, s17, 0
	v_or_b32_e32 v22, v10, v22
	s_cmp_lg_u32 s20, s18
	v_or_b32_e32 v23, v11, v23
	s_cbranch_scc1 .LBB1_186
	s_branch .LBB1_189
.LBB1_187:                              ;   in Loop: Header=BB1_143 Depth=1
                                        ; implicit-def: $vgpr22_vgpr23
	s_mov_b32 s21, 0
	s_branch .LBB1_190
.LBB1_188:                              ;   in Loop: Header=BB1_143 Depth=1
	v_mov_b32_e32 v22, 0
	v_mov_b32_e32 v23, 0
.LBB1_189:                              ;   in Loop: Header=BB1_143 Depth=1
	s_mov_b64 s[16:17], s[4:5]
	s_mov_b32 s21, 0
	s_cbranch_execnz .LBB1_191
.LBB1_190:                              ;   in Loop: Header=BB1_143 Depth=1
	global_load_dwordx2 v[22:23], v3, s[4:5]
	s_add_i32 s21, s20, -8
.LBB1_191:                              ;   in Loop: Header=BB1_143 Depth=1
	s_cmp_gt_u32 s21, 7
	s_cbranch_scc1 .LBB1_195
; %bb.192:                              ;   in Loop: Header=BB1_143 Depth=1
	s_cmp_eq_u32 s21, 0
	s_cbranch_scc1 .LBB1_196
; %bb.193:                              ;   in Loop: Header=BB1_143 Depth=1
	v_mov_b32_e32 v24, 0
	s_mov_b64 s[4:5], 0
	v_mov_b32_e32 v25, 0
	s_mov_b64 s[18:19], s[16:17]
.LBB1_194:                              ;   Parent Loop BB1_143 Depth=1
                                        ; =>  This Inner Loop Header: Depth=2
	global_load_ubyte v2, v3, s[18:19]
	s_add_i32 s21, s21, -1
	s_waitcnt vmcnt(0)
	v_and_b32_e32 v2, 0xffff, v2
	v_lshlrev_b64 v[10:11], s4, v[2:3]
	s_add_u32 s4, s4, 8
	s_addc_u32 s5, s5, 0
	s_add_u32 s18, s18, 1
	s_addc_u32 s19, s19, 0
	v_or_b32_e32 v24, v10, v24
	s_cmp_lg_u32 s21, 0
	v_or_b32_e32 v25, v11, v25
	s_cbranch_scc1 .LBB1_194
	s_branch .LBB1_197
.LBB1_195:                              ;   in Loop: Header=BB1_143 Depth=1
	s_branch .LBB1_198
.LBB1_196:                              ;   in Loop: Header=BB1_143 Depth=1
	v_mov_b32_e32 v24, 0
	v_mov_b32_e32 v25, 0
.LBB1_197:                              ;   in Loop: Header=BB1_143 Depth=1
	s_cbranch_execnz .LBB1_199
.LBB1_198:                              ;   in Loop: Header=BB1_143 Depth=1
	global_load_dwordx2 v[24:25], v3, s[16:17]
.LBB1_199:                              ;   in Loop: Header=BB1_143 Depth=1
	v_readfirstlane_b32 s4, v34
	v_mov_b32_e32 v10, 0
	v_mov_b32_e32 v11, 0
	v_cmp_eq_u32_e64 s[4:5], s4, v34
	s_and_saveexec_b64 s[16:17], s[4:5]
	s_cbranch_execz .LBB1_205
; %bb.200:                              ;   in Loop: Header=BB1_143 Depth=1
	global_load_dwordx2 v[28:29], v3, s[10:11] offset:24 glc
	s_waitcnt vmcnt(0)
	buffer_wbinvl1_vol
	global_load_dwordx2 v[10:11], v3, s[10:11] offset:40
	global_load_dwordx2 v[26:27], v3, s[10:11]
	s_waitcnt vmcnt(1)
	v_and_b32_e32 v2, v10, v28
	v_and_b32_e32 v10, v11, v29
	v_mul_lo_u32 v10, v10, 24
	v_mul_hi_u32 v11, v2, 24
	v_mul_lo_u32 v2, v2, 24
	v_add_u32_e32 v11, v11, v10
	s_waitcnt vmcnt(0)
	v_add_co_u32_e32 v10, vcc, v26, v2
	v_addc_co_u32_e32 v11, vcc, v27, v11, vcc
	global_load_dwordx2 v[26:27], v[10:11], off glc
	s_waitcnt vmcnt(0)
	global_atomic_cmpswap_x2 v[10:11], v3, v[26:29], s[10:11] offset:24 glc
	s_waitcnt vmcnt(0)
	buffer_wbinvl1_vol
	v_cmp_ne_u64_e32 vcc, v[10:11], v[28:29]
	s_and_saveexec_b64 s[18:19], vcc
	s_cbranch_execz .LBB1_204
; %bb.201:                              ;   in Loop: Header=BB1_143 Depth=1
	s_mov_b64 s[20:21], 0
.LBB1_202:                              ;   Parent Loop BB1_143 Depth=1
                                        ; =>  This Inner Loop Header: Depth=2
	s_sleep 1
	global_load_dwordx2 v[26:27], v3, s[10:11] offset:40
	global_load_dwordx2 v[30:31], v3, s[10:11]
	v_mov_b32_e32 v29, v11
	v_mov_b32_e32 v28, v10
	s_waitcnt vmcnt(1)
	v_and_b32_e32 v2, v26, v28
	s_waitcnt vmcnt(0)
	v_mad_u64_u32 v[10:11], s[22:23], v2, 24, v[30:31]
	v_and_b32_e32 v26, v27, v29
	v_mov_b32_e32 v2, v11
	v_mad_u64_u32 v[26:27], s[22:23], v26, 24, v[2:3]
	v_mov_b32_e32 v11, v26
	global_load_dwordx2 v[26:27], v[10:11], off glc
	s_waitcnt vmcnt(0)
	global_atomic_cmpswap_x2 v[10:11], v3, v[26:29], s[10:11] offset:24 glc
	s_waitcnt vmcnt(0)
	buffer_wbinvl1_vol
	v_cmp_eq_u64_e32 vcc, v[10:11], v[28:29]
	s_or_b64 s[20:21], vcc, s[20:21]
	s_andn2_b64 exec, exec, s[20:21]
	s_cbranch_execnz .LBB1_202
; %bb.203:                              ;   in Loop: Header=BB1_143 Depth=1
	s_or_b64 exec, exec, s[20:21]
.LBB1_204:                              ;   in Loop: Header=BB1_143 Depth=1
	s_or_b64 exec, exec, s[18:19]
.LBB1_205:                              ;   in Loop: Header=BB1_143 Depth=1
	s_or_b64 exec, exec, s[16:17]
	global_load_dwordx2 v[30:31], v3, s[10:11] offset:40
	global_load_dwordx4 v[26:29], v3, s[10:11]
	v_readfirstlane_b32 s17, v11
	v_readfirstlane_b32 s16, v10
	s_mov_b64 s[18:19], exec
	s_waitcnt vmcnt(1)
	v_readfirstlane_b32 s20, v30
	v_readfirstlane_b32 s21, v31
	s_and_b64 s[20:21], s[20:21], s[16:17]
	s_mul_i32 s22, s21, 24
	s_mul_hi_u32 s23, s20, 24
	s_mul_i32 s24, s20, 24
	s_add_i32 s22, s23, s22
	v_mov_b32_e32 v2, s22
	s_waitcnt vmcnt(0)
	v_add_co_u32_e32 v30, vcc, s24, v26
	v_addc_co_u32_e32 v31, vcc, v27, v2, vcc
	s_and_saveexec_b64 s[22:23], s[4:5]
	s_cbranch_execz .LBB1_207
; %bb.206:                              ;   in Loop: Header=BB1_143 Depth=1
	v_mov_b32_e32 v10, s18
	v_mov_b32_e32 v11, s19
	global_store_dwordx4 v[30:31], v[10:13], off offset:8
.LBB1_207:                              ;   in Loop: Header=BB1_143 Depth=1
	s_or_b64 exec, exec, s[22:23]
	s_lshl_b64 s[18:19], s[20:21], 12
	v_mov_b32_e32 v2, s19
	v_add_co_u32_e32 v28, vcc, s18, v28
	v_addc_co_u32_e32 v29, vcc, v29, v2, vcc
	v_cmp_lt_u64_e64 vcc, s[12:13], 57
	s_lshl_b32 s18, s14, 2
	v_cndmask_b32_e32 v2, 0, v32, vcc
	s_add_i32 s18, s18, 28
	v_and_b32_e32 v6, 0xffffff1f, v6
	s_and_b32 s18, s18, 0x1e0
	v_or_b32_e32 v2, v6, v2
	v_or_b32_e32 v6, s18, v2
	v_readfirstlane_b32 s18, v28
	v_readfirstlane_b32 s19, v29
	s_nop 4
	global_store_dwordx4 v35, v[6:9], s[18:19]
	global_store_dwordx4 v35, v[14:17], s[18:19] offset:16
	global_store_dwordx4 v35, v[18:21], s[18:19] offset:32
	;; [unrolled: 1-line block ×3, first 2 shown]
	s_and_saveexec_b64 s[18:19], s[4:5]
	s_cbranch_execz .LBB1_215
; %bb.208:                              ;   in Loop: Header=BB1_143 Depth=1
	global_load_dwordx2 v[16:17], v3, s[10:11] offset:32 glc
	global_load_dwordx2 v[6:7], v3, s[10:11] offset:40
	v_mov_b32_e32 v14, s16
	v_mov_b32_e32 v15, s17
	s_waitcnt vmcnt(0)
	v_readfirstlane_b32 s20, v6
	v_readfirstlane_b32 s21, v7
	s_and_b64 s[20:21], s[20:21], s[16:17]
	s_mul_i32 s21, s21, 24
	s_mul_hi_u32 s22, s20, 24
	s_mul_i32 s20, s20, 24
	s_add_i32 s21, s22, s21
	v_mov_b32_e32 v2, s21
	v_add_co_u32_e32 v10, vcc, s20, v26
	v_addc_co_u32_e32 v11, vcc, v27, v2, vcc
	global_store_dwordx2 v[10:11], v[16:17], off
	s_waitcnt vmcnt(0)
	global_atomic_cmpswap_x2 v[8:9], v3, v[14:17], s[10:11] offset:32 glc
	s_waitcnt vmcnt(0)
	v_cmp_ne_u64_e32 vcc, v[8:9], v[16:17]
	s_and_saveexec_b64 s[20:21], vcc
	s_cbranch_execz .LBB1_211
; %bb.209:                              ;   in Loop: Header=BB1_143 Depth=1
	s_mov_b64 s[22:23], 0
.LBB1_210:                              ;   Parent Loop BB1_143 Depth=1
                                        ; =>  This Inner Loop Header: Depth=2
	s_sleep 1
	global_store_dwordx2 v[10:11], v[8:9], off
	v_mov_b32_e32 v6, s16
	v_mov_b32_e32 v7, s17
	s_waitcnt vmcnt(0)
	global_atomic_cmpswap_x2 v[6:7], v3, v[6:9], s[10:11] offset:32 glc
	s_waitcnt vmcnt(0)
	v_cmp_eq_u64_e32 vcc, v[6:7], v[8:9]
	v_mov_b32_e32 v9, v7
	s_or_b64 s[22:23], vcc, s[22:23]
	v_mov_b32_e32 v8, v6
	s_andn2_b64 exec, exec, s[22:23]
	s_cbranch_execnz .LBB1_210
.LBB1_211:                              ;   in Loop: Header=BB1_143 Depth=1
	s_or_b64 exec, exec, s[20:21]
	global_load_dwordx2 v[6:7], v3, s[10:11] offset:16
	s_mov_b64 s[22:23], exec
	v_mbcnt_lo_u32_b32 v2, s22, 0
	v_mbcnt_hi_u32_b32 v2, s23, v2
	v_cmp_eq_u32_e32 vcc, 0, v2
	s_and_saveexec_b64 s[20:21], vcc
	s_cbranch_execz .LBB1_213
; %bb.212:                              ;   in Loop: Header=BB1_143 Depth=1
	s_bcnt1_i32_b64 s22, s[22:23]
	v_mov_b32_e32 v2, s22
	s_waitcnt vmcnt(0)
	global_atomic_add_x2 v[6:7], v[2:3], off offset:8
.LBB1_213:                              ;   in Loop: Header=BB1_143 Depth=1
	s_or_b64 exec, exec, s[20:21]
	s_waitcnt vmcnt(0)
	global_load_dwordx2 v[8:9], v[6:7], off offset:16
	s_waitcnt vmcnt(0)
	v_cmp_eq_u64_e32 vcc, 0, v[8:9]
	s_cbranch_vccnz .LBB1_215
; %bb.214:                              ;   in Loop: Header=BB1_143 Depth=1
	global_load_dword v2, v[6:7], off offset:24
	s_waitcnt vmcnt(0)
	v_readfirstlane_b32 s20, v2
	s_and_b32 m0, s20, 0xffffff
	global_store_dwordx2 v[8:9], v[2:3], off
	s_sendmsg sendmsg(MSG_INTERRUPT)
.LBB1_215:                              ;   in Loop: Header=BB1_143 Depth=1
	s_or_b64 exec, exec, s[18:19]
	v_add_co_u32_e32 v6, vcc, v28, v35
	v_addc_co_u32_e32 v7, vcc, 0, v29, vcc
	s_branch .LBB1_219
.LBB1_216:                              ;   in Loop: Header=BB1_219 Depth=2
	s_or_b64 exec, exec, s[18:19]
	v_readfirstlane_b32 s18, v2
	s_cmp_eq_u32 s18, 0
	s_cbranch_scc1 .LBB1_218
; %bb.217:                              ;   in Loop: Header=BB1_219 Depth=2
	s_sleep 1
	s_cbranch_execnz .LBB1_219
	s_branch .LBB1_221
.LBB1_218:                              ;   in Loop: Header=BB1_143 Depth=1
	s_branch .LBB1_221
.LBB1_219:                              ;   Parent Loop BB1_143 Depth=1
                                        ; =>  This Inner Loop Header: Depth=2
	v_mov_b32_e32 v2, 1
	s_and_saveexec_b64 s[18:19], s[4:5]
	s_cbranch_execz .LBB1_216
; %bb.220:                              ;   in Loop: Header=BB1_219 Depth=2
	global_load_dword v2, v[30:31], off offset:20 glc
	s_waitcnt vmcnt(0)
	buffer_wbinvl1_vol
	v_and_b32_e32 v2, 1, v2
	s_branch .LBB1_216
.LBB1_221:                              ;   in Loop: Header=BB1_143 Depth=1
	global_load_dwordx2 v[6:7], v[6:7], off
	s_and_saveexec_b64 s[18:19], s[4:5]
	s_cbranch_execz .LBB1_142
; %bb.222:                              ;   in Loop: Header=BB1_143 Depth=1
	global_load_dwordx2 v[8:9], v3, s[10:11] offset:40
	global_load_dwordx2 v[18:19], v3, s[10:11] offset:24 glc
	global_load_dwordx2 v[10:11], v3, s[10:11]
	s_waitcnt vmcnt(2)
	v_readfirstlane_b32 s20, v8
	v_readfirstlane_b32 s21, v9
	s_add_u32 s22, s20, 1
	s_addc_u32 s23, s21, 0
	s_add_u32 s4, s22, s16
	s_addc_u32 s5, s23, s17
	s_cmp_eq_u64 s[4:5], 0
	s_cselect_b32 s5, s23, s5
	s_cselect_b32 s4, s22, s4
	s_and_b64 s[16:17], s[4:5], s[20:21]
	s_mul_i32 s17, s17, 24
	s_mul_hi_u32 s20, s16, 24
	s_mul_i32 s16, s16, 24
	s_add_i32 s17, s20, s17
	v_mov_b32_e32 v2, s17
	s_waitcnt vmcnt(0)
	v_add_co_u32_e32 v14, vcc, s16, v10
	v_addc_co_u32_e32 v15, vcc, v11, v2, vcc
	v_mov_b32_e32 v16, s4
	global_store_dwordx2 v[14:15], v[18:19], off
	v_mov_b32_e32 v17, s5
	s_waitcnt vmcnt(0)
	global_atomic_cmpswap_x2 v[10:11], v3, v[16:19], s[10:11] offset:24 glc
	s_waitcnt vmcnt(0)
	v_cmp_ne_u64_e32 vcc, v[10:11], v[18:19]
	s_and_b64 exec, exec, vcc
	s_cbranch_execz .LBB1_142
; %bb.223:                              ;   in Loop: Header=BB1_143 Depth=1
	s_mov_b64 s[16:17], 0
.LBB1_224:                              ;   Parent Loop BB1_143 Depth=1
                                        ; =>  This Inner Loop Header: Depth=2
	s_sleep 1
	global_store_dwordx2 v[14:15], v[10:11], off
	v_mov_b32_e32 v8, s4
	v_mov_b32_e32 v9, s5
	s_waitcnt vmcnt(0)
	global_atomic_cmpswap_x2 v[8:9], v3, v[8:11], s[10:11] offset:24 glc
	s_waitcnt vmcnt(0)
	v_cmp_eq_u64_e32 vcc, v[8:9], v[10:11]
	v_mov_b32_e32 v11, v9
	s_or_b64 s[16:17], vcc, s[16:17]
	v_mov_b32_e32 v10, v8
	s_andn2_b64 exec, exec, s[16:17]
	s_cbranch_execnz .LBB1_224
	s_branch .LBB1_142
.LBB1_225:
                                        ; implicit-def: $vgpr6_vgpr7
	s_cbranch_execnz .LBB1_227
	s_branch .LBB1_253
.LBB1_226:
	s_branch .LBB1_253
.LBB1_227:
	v_readfirstlane_b32 s4, v34
	v_mov_b32_e32 v10, 0
	v_mov_b32_e32 v11, 0
	v_cmp_eq_u32_e64 s[4:5], s4, v34
	s_and_saveexec_b64 s[6:7], s[4:5]
	s_cbranch_execz .LBB1_233
; %bb.228:
	v_mov_b32_e32 v2, 0
	global_load_dwordx2 v[8:9], v2, s[10:11] offset:24 glc
	s_waitcnt vmcnt(0)
	buffer_wbinvl1_vol
	global_load_dwordx2 v[6:7], v2, s[10:11] offset:40
	global_load_dwordx2 v[10:11], v2, s[10:11]
	s_waitcnt vmcnt(1)
	v_and_b32_e32 v3, v6, v8
	v_and_b32_e32 v6, v7, v9
	v_mul_lo_u32 v6, v6, 24
	v_mul_hi_u32 v7, v3, 24
	v_mul_lo_u32 v3, v3, 24
	v_add_u32_e32 v7, v7, v6
	s_waitcnt vmcnt(0)
	v_add_co_u32_e32 v6, vcc, v10, v3
	v_addc_co_u32_e32 v7, vcc, v11, v7, vcc
	global_load_dwordx2 v[6:7], v[6:7], off glc
	s_waitcnt vmcnt(0)
	global_atomic_cmpswap_x2 v[10:11], v2, v[6:9], s[10:11] offset:24 glc
	s_waitcnt vmcnt(0)
	buffer_wbinvl1_vol
	v_cmp_ne_u64_e32 vcc, v[10:11], v[8:9]
	s_and_saveexec_b64 s[12:13], vcc
	s_cbranch_execz .LBB1_232
; %bb.229:
	s_mov_b64 s[14:15], 0
.LBB1_230:                              ; =>This Inner Loop Header: Depth=1
	s_sleep 1
	global_load_dwordx2 v[6:7], v2, s[10:11] offset:40
	global_load_dwordx2 v[12:13], v2, s[10:11]
	v_mov_b32_e32 v8, v10
	v_mov_b32_e32 v9, v11
	s_waitcnt vmcnt(1)
	v_and_b32_e32 v3, v6, v8
	s_waitcnt vmcnt(0)
	v_mad_u64_u32 v[10:11], s[16:17], v3, 24, v[12:13]
	v_and_b32_e32 v6, v7, v9
	v_mov_b32_e32 v3, v11
	v_mad_u64_u32 v[6:7], s[16:17], v6, 24, v[3:4]
	v_mov_b32_e32 v11, v6
	global_load_dwordx2 v[6:7], v[10:11], off glc
	s_waitcnt vmcnt(0)
	global_atomic_cmpswap_x2 v[10:11], v2, v[6:9], s[10:11] offset:24 glc
	s_waitcnt vmcnt(0)
	buffer_wbinvl1_vol
	v_cmp_eq_u64_e32 vcc, v[10:11], v[8:9]
	s_or_b64 s[14:15], vcc, s[14:15]
	s_andn2_b64 exec, exec, s[14:15]
	s_cbranch_execnz .LBB1_230
; %bb.231:
	s_or_b64 exec, exec, s[14:15]
.LBB1_232:
	s_or_b64 exec, exec, s[12:13]
.LBB1_233:
	s_or_b64 exec, exec, s[6:7]
	v_mov_b32_e32 v2, 0
	global_load_dwordx2 v[12:13], v2, s[10:11] offset:40
	global_load_dwordx4 v[6:9], v2, s[10:11]
	v_readfirstlane_b32 s7, v11
	v_readfirstlane_b32 s6, v10
	s_mov_b64 s[12:13], exec
	s_waitcnt vmcnt(1)
	v_readfirstlane_b32 s14, v12
	v_readfirstlane_b32 s15, v13
	s_and_b64 s[14:15], s[14:15], s[6:7]
	s_mul_i32 s16, s15, 24
	s_mul_hi_u32 s17, s14, 24
	s_mul_i32 s18, s14, 24
	s_add_i32 s16, s17, s16
	v_mov_b32_e32 v3, s16
	s_waitcnt vmcnt(0)
	v_add_co_u32_e32 v10, vcc, s18, v6
	v_addc_co_u32_e32 v11, vcc, v7, v3, vcc
	s_and_saveexec_b64 s[16:17], s[4:5]
	s_cbranch_execz .LBB1_235
; %bb.234:
	v_mov_b32_e32 v12, s12
	v_mov_b32_e32 v13, s13
	v_mov_b32_e32 v14, 2
	v_mov_b32_e32 v15, 1
	global_store_dwordx4 v[10:11], v[12:15], off offset:8
.LBB1_235:
	s_or_b64 exec, exec, s[16:17]
	s_lshl_b64 s[12:13], s[14:15], 12
	v_mov_b32_e32 v3, s13
	v_add_co_u32_e32 v12, vcc, s12, v8
	v_addc_co_u32_e32 v13, vcc, v9, v3, vcc
	s_movk_i32 s12, 0xff1f
	v_and_or_b32 v0, v0, s12, 32
	s_mov_b32 s12, 0
	v_mov_b32_e32 v3, v2
	v_readfirstlane_b32 s16, v12
	v_readfirstlane_b32 s17, v13
	v_add_co_u32_e32 v8, vcc, v12, v35
	s_mov_b32 s13, s12
	s_mov_b32 s14, s12
	;; [unrolled: 1-line block ×3, first 2 shown]
	s_nop 0
	global_store_dwordx4 v35, v[0:3], s[16:17]
	v_addc_co_u32_e32 v9, vcc, 0, v13, vcc
	v_mov_b32_e32 v0, s12
	v_mov_b32_e32 v1, s13
	;; [unrolled: 1-line block ×4, first 2 shown]
	global_store_dwordx4 v35, v[0:3], s[16:17] offset:16
	global_store_dwordx4 v35, v[0:3], s[16:17] offset:32
	;; [unrolled: 1-line block ×3, first 2 shown]
	s_and_saveexec_b64 s[12:13], s[4:5]
	s_cbranch_execz .LBB1_243
; %bb.236:
	v_mov_b32_e32 v12, 0
	global_load_dwordx2 v[15:16], v12, s[10:11] offset:32 glc
	global_load_dwordx2 v[0:1], v12, s[10:11] offset:40
	v_mov_b32_e32 v13, s6
	v_mov_b32_e32 v14, s7
	s_waitcnt vmcnt(0)
	v_readfirstlane_b32 s14, v0
	v_readfirstlane_b32 s15, v1
	s_and_b64 s[14:15], s[14:15], s[6:7]
	s_mul_i32 s15, s15, 24
	s_mul_hi_u32 s16, s14, 24
	s_mul_i32 s14, s14, 24
	s_add_i32 s15, s16, s15
	v_mov_b32_e32 v0, s15
	v_add_co_u32_e32 v6, vcc, s14, v6
	v_addc_co_u32_e32 v7, vcc, v7, v0, vcc
	global_store_dwordx2 v[6:7], v[15:16], off
	s_waitcnt vmcnt(0)
	global_atomic_cmpswap_x2 v[2:3], v12, v[13:16], s[10:11] offset:32 glc
	s_waitcnt vmcnt(0)
	v_cmp_ne_u64_e32 vcc, v[2:3], v[15:16]
	s_and_saveexec_b64 s[14:15], vcc
	s_cbranch_execz .LBB1_239
; %bb.237:
	s_mov_b64 s[16:17], 0
.LBB1_238:                              ; =>This Inner Loop Header: Depth=1
	s_sleep 1
	global_store_dwordx2 v[6:7], v[2:3], off
	v_mov_b32_e32 v0, s6
	v_mov_b32_e32 v1, s7
	s_waitcnt vmcnt(0)
	global_atomic_cmpswap_x2 v[0:1], v12, v[0:3], s[10:11] offset:32 glc
	s_waitcnt vmcnt(0)
	v_cmp_eq_u64_e32 vcc, v[0:1], v[2:3]
	v_mov_b32_e32 v3, v1
	s_or_b64 s[16:17], vcc, s[16:17]
	v_mov_b32_e32 v2, v0
	s_andn2_b64 exec, exec, s[16:17]
	s_cbranch_execnz .LBB1_238
.LBB1_239:
	s_or_b64 exec, exec, s[14:15]
	v_mov_b32_e32 v3, 0
	global_load_dwordx2 v[0:1], v3, s[10:11] offset:16
	s_mov_b64 s[14:15], exec
	v_mbcnt_lo_u32_b32 v2, s14, 0
	v_mbcnt_hi_u32_b32 v2, s15, v2
	v_cmp_eq_u32_e32 vcc, 0, v2
	s_and_saveexec_b64 s[16:17], vcc
	s_cbranch_execz .LBB1_241
; %bb.240:
	s_bcnt1_i32_b64 s14, s[14:15]
	v_mov_b32_e32 v2, s14
	s_waitcnt vmcnt(0)
	global_atomic_add_x2 v[0:1], v[2:3], off offset:8
.LBB1_241:
	s_or_b64 exec, exec, s[16:17]
	s_waitcnt vmcnt(0)
	global_load_dwordx2 v[2:3], v[0:1], off offset:16
	s_waitcnt vmcnt(0)
	v_cmp_eq_u64_e32 vcc, 0, v[2:3]
	s_cbranch_vccnz .LBB1_243
; %bb.242:
	global_load_dword v0, v[0:1], off offset:24
	v_mov_b32_e32 v1, 0
	s_waitcnt vmcnt(0)
	v_readfirstlane_b32 s14, v0
	s_and_b32 m0, s14, 0xffffff
	global_store_dwordx2 v[2:3], v[0:1], off
	s_sendmsg sendmsg(MSG_INTERRUPT)
.LBB1_243:
	s_or_b64 exec, exec, s[12:13]
	s_branch .LBB1_247
.LBB1_244:                              ;   in Loop: Header=BB1_247 Depth=1
	s_or_b64 exec, exec, s[12:13]
	v_readfirstlane_b32 s12, v0
	s_cmp_eq_u32 s12, 0
	s_cbranch_scc1 .LBB1_246
; %bb.245:                              ;   in Loop: Header=BB1_247 Depth=1
	s_sleep 1
	s_cbranch_execnz .LBB1_247
	s_branch .LBB1_249
.LBB1_246:
	s_branch .LBB1_249
.LBB1_247:                              ; =>This Inner Loop Header: Depth=1
	v_mov_b32_e32 v0, 1
	s_and_saveexec_b64 s[12:13], s[4:5]
	s_cbranch_execz .LBB1_244
; %bb.248:                              ;   in Loop: Header=BB1_247 Depth=1
	global_load_dword v0, v[10:11], off offset:20 glc
	s_waitcnt vmcnt(0)
	buffer_wbinvl1_vol
	v_and_b32_e32 v0, 1, v0
	s_branch .LBB1_244
.LBB1_249:
	global_load_dwordx2 v[6:7], v[8:9], off
	s_and_saveexec_b64 s[12:13], s[4:5]
	s_cbranch_execz .LBB1_252
; %bb.250:
	v_mov_b32_e32 v10, 0
	global_load_dwordx2 v[0:1], v10, s[10:11] offset:40
	global_load_dwordx2 v[13:14], v10, s[10:11] offset:24 glc
	global_load_dwordx2 v[2:3], v10, s[10:11]
	s_waitcnt vmcnt(2)
	v_readfirstlane_b32 s14, v0
	v_readfirstlane_b32 s15, v1
	s_add_u32 s16, s14, 1
	s_addc_u32 s17, s15, 0
	s_add_u32 s4, s16, s6
	s_addc_u32 s5, s17, s7
	s_cmp_eq_u64 s[4:5], 0
	s_cselect_b32 s5, s17, s5
	s_cselect_b32 s4, s16, s4
	s_and_b64 s[6:7], s[4:5], s[14:15]
	s_mul_i32 s7, s7, 24
	s_mul_hi_u32 s14, s6, 24
	s_mul_i32 s6, s6, 24
	s_add_i32 s7, s14, s7
	v_mov_b32_e32 v0, s7
	s_waitcnt vmcnt(0)
	v_add_co_u32_e32 v8, vcc, s6, v2
	v_addc_co_u32_e32 v9, vcc, v3, v0, vcc
	v_mov_b32_e32 v11, s4
	global_store_dwordx2 v[8:9], v[13:14], off
	v_mov_b32_e32 v12, s5
	s_waitcnt vmcnt(0)
	global_atomic_cmpswap_x2 v[2:3], v10, v[11:14], s[10:11] offset:24 glc
	s_mov_b64 s[6:7], 0
	s_waitcnt vmcnt(0)
	v_cmp_ne_u64_e32 vcc, v[2:3], v[13:14]
	s_and_b64 exec, exec, vcc
	s_cbranch_execz .LBB1_252
.LBB1_251:                              ; =>This Inner Loop Header: Depth=1
	s_sleep 1
	global_store_dwordx2 v[8:9], v[2:3], off
	v_mov_b32_e32 v0, s4
	v_mov_b32_e32 v1, s5
	s_waitcnt vmcnt(0)
	global_atomic_cmpswap_x2 v[0:1], v10, v[0:3], s[10:11] offset:24 glc
	s_waitcnt vmcnt(0)
	v_cmp_eq_u64_e32 vcc, v[0:1], v[2:3]
	v_mov_b32_e32 v3, v1
	s_or_b64 s[6:7], vcc, s[6:7]
	v_mov_b32_e32 v2, v0
	s_andn2_b64 exec, exec, s[6:7]
	s_cbranch_execnz .LBB1_251
.LBB1_252:
	s_or_b64 exec, exec, s[12:13]
.LBB1_253:
	v_readfirstlane_b32 s4, v34
	v_mov_b32_e32 v10, 0
	v_mov_b32_e32 v11, 0
	v_cmp_eq_u32_e64 s[4:5], s4, v34
	s_and_saveexec_b64 s[6:7], s[4:5]
	s_cbranch_execz .LBB1_259
; %bb.254:
	s_waitcnt vmcnt(0)
	v_mov_b32_e32 v0, 0
	global_load_dwordx2 v[12:13], v0, s[10:11] offset:24 glc
	s_waitcnt vmcnt(0)
	buffer_wbinvl1_vol
	global_load_dwordx2 v[1:2], v0, s[10:11] offset:40
	global_load_dwordx2 v[8:9], v0, s[10:11]
	s_waitcnt vmcnt(1)
	v_and_b32_e32 v1, v1, v12
	v_and_b32_e32 v2, v2, v13
	v_mul_lo_u32 v2, v2, 24
	v_mul_hi_u32 v3, v1, 24
	v_mul_lo_u32 v1, v1, 24
	v_add_u32_e32 v2, v3, v2
	s_waitcnt vmcnt(0)
	v_add_co_u32_e32 v1, vcc, v8, v1
	v_addc_co_u32_e32 v2, vcc, v9, v2, vcc
	global_load_dwordx2 v[10:11], v[1:2], off glc
	s_waitcnt vmcnt(0)
	global_atomic_cmpswap_x2 v[10:11], v0, v[10:13], s[10:11] offset:24 glc
	s_waitcnt vmcnt(0)
	buffer_wbinvl1_vol
	v_cmp_ne_u64_e32 vcc, v[10:11], v[12:13]
	s_and_saveexec_b64 s[12:13], vcc
	s_cbranch_execz .LBB1_258
; %bb.255:
	s_mov_b64 s[14:15], 0
.LBB1_256:                              ; =>This Inner Loop Header: Depth=1
	s_sleep 1
	global_load_dwordx2 v[1:2], v0, s[10:11] offset:40
	global_load_dwordx2 v[8:9], v0, s[10:11]
	v_mov_b32_e32 v13, v11
	v_mov_b32_e32 v12, v10
	s_waitcnt vmcnt(1)
	v_and_b32_e32 v1, v1, v12
	s_waitcnt vmcnt(0)
	v_mad_u64_u32 v[8:9], s[16:17], v1, 24, v[8:9]
	v_and_b32_e32 v2, v2, v13
	v_mov_b32_e32 v1, v9
	v_mad_u64_u32 v[1:2], s[16:17], v2, 24, v[1:2]
	v_mov_b32_e32 v9, v1
	global_load_dwordx2 v[10:11], v[8:9], off glc
	s_waitcnt vmcnt(0)
	global_atomic_cmpswap_x2 v[10:11], v0, v[10:13], s[10:11] offset:24 glc
	s_waitcnt vmcnt(0)
	buffer_wbinvl1_vol
	v_cmp_eq_u64_e32 vcc, v[10:11], v[12:13]
	s_or_b64 s[14:15], vcc, s[14:15]
	s_andn2_b64 exec, exec, s[14:15]
	s_cbranch_execnz .LBB1_256
; %bb.257:
	s_or_b64 exec, exec, s[14:15]
.LBB1_258:
	s_or_b64 exec, exec, s[12:13]
.LBB1_259:
	s_or_b64 exec, exec, s[6:7]
	v_mov_b32_e32 v9, 0
	global_load_dwordx2 v[12:13], v9, s[10:11] offset:40
	global_load_dwordx4 v[0:3], v9, s[10:11]
	v_readfirstlane_b32 s7, v11
	v_readfirstlane_b32 s6, v10
	s_mov_b64 s[12:13], exec
	s_waitcnt vmcnt(1)
	v_readfirstlane_b32 s14, v12
	v_readfirstlane_b32 s15, v13
	s_and_b64 s[14:15], s[14:15], s[6:7]
	s_mul_i32 s16, s15, 24
	s_mul_hi_u32 s17, s14, 24
	s_mul_i32 s18, s14, 24
	s_add_i32 s16, s17, s16
	v_mov_b32_e32 v8, s16
	s_waitcnt vmcnt(0)
	v_add_co_u32_e32 v10, vcc, s18, v0
	v_addc_co_u32_e32 v11, vcc, v1, v8, vcc
	s_and_saveexec_b64 s[16:17], s[4:5]
	s_cbranch_execz .LBB1_261
; %bb.260:
	v_mov_b32_e32 v12, s12
	v_mov_b32_e32 v13, s13
	v_mov_b32_e32 v14, 2
	v_mov_b32_e32 v15, 1
	global_store_dwordx4 v[10:11], v[12:15], off offset:8
.LBB1_261:
	s_or_b64 exec, exec, s[16:17]
	s_lshl_b64 s[12:13], s[14:15], 12
	v_mov_b32_e32 v8, s13
	v_add_co_u32_e32 v2, vcc, s12, v2
	v_addc_co_u32_e32 v3, vcc, v3, v8, vcc
	s_movk_i32 s12, 0xff1f
	v_and_or_b32 v6, v6, s12, 32
	s_mov_b32 s12, 0
	v_mov_b32_e32 v8, 0x331
	v_readfirstlane_b32 s16, v2
	v_readfirstlane_b32 s17, v3
	v_add_co_u32_e32 v12, vcc, v2, v35
	s_mov_b32 s13, s12
	s_mov_b32 s14, s12
	;; [unrolled: 1-line block ×3, first 2 shown]
	s_nop 0
	global_store_dwordx4 v35, v[6:9], s[16:17]
	v_addc_co_u32_e32 v13, vcc, 0, v3, vcc
	v_mov_b32_e32 v6, s12
	v_mov_b32_e32 v7, s13
	;; [unrolled: 1-line block ×4, first 2 shown]
	global_store_dwordx4 v35, v[6:9], s[16:17] offset:16
	global_store_dwordx4 v35, v[6:9], s[16:17] offset:32
	;; [unrolled: 1-line block ×3, first 2 shown]
	s_and_saveexec_b64 s[12:13], s[4:5]
	s_cbranch_execz .LBB1_269
; %bb.262:
	v_mov_b32_e32 v8, 0
	global_load_dwordx2 v[16:17], v8, s[10:11] offset:32 glc
	global_load_dwordx2 v[2:3], v8, s[10:11] offset:40
	v_mov_b32_e32 v14, s6
	v_mov_b32_e32 v15, s7
	s_waitcnt vmcnt(0)
	v_readfirstlane_b32 s14, v2
	v_readfirstlane_b32 s15, v3
	s_and_b64 s[14:15], s[14:15], s[6:7]
	s_mul_i32 s15, s15, 24
	s_mul_hi_u32 s16, s14, 24
	s_mul_i32 s14, s14, 24
	s_add_i32 s15, s16, s15
	v_mov_b32_e32 v2, s15
	v_add_co_u32_e32 v6, vcc, s14, v0
	v_addc_co_u32_e32 v7, vcc, v1, v2, vcc
	global_store_dwordx2 v[6:7], v[16:17], off
	s_waitcnt vmcnt(0)
	global_atomic_cmpswap_x2 v[2:3], v8, v[14:17], s[10:11] offset:32 glc
	s_waitcnt vmcnt(0)
	v_cmp_ne_u64_e32 vcc, v[2:3], v[16:17]
	s_and_saveexec_b64 s[14:15], vcc
	s_cbranch_execz .LBB1_265
; %bb.263:
	s_mov_b64 s[16:17], 0
.LBB1_264:                              ; =>This Inner Loop Header: Depth=1
	s_sleep 1
	global_store_dwordx2 v[6:7], v[2:3], off
	v_mov_b32_e32 v0, s6
	v_mov_b32_e32 v1, s7
	s_waitcnt vmcnt(0)
	global_atomic_cmpswap_x2 v[0:1], v8, v[0:3], s[10:11] offset:32 glc
	s_waitcnt vmcnt(0)
	v_cmp_eq_u64_e32 vcc, v[0:1], v[2:3]
	v_mov_b32_e32 v3, v1
	s_or_b64 s[16:17], vcc, s[16:17]
	v_mov_b32_e32 v2, v0
	s_andn2_b64 exec, exec, s[16:17]
	s_cbranch_execnz .LBB1_264
.LBB1_265:
	s_or_b64 exec, exec, s[14:15]
	v_mov_b32_e32 v3, 0
	global_load_dwordx2 v[0:1], v3, s[10:11] offset:16
	s_mov_b64 s[14:15], exec
	v_mbcnt_lo_u32_b32 v2, s14, 0
	v_mbcnt_hi_u32_b32 v2, s15, v2
	v_cmp_eq_u32_e32 vcc, 0, v2
	s_and_saveexec_b64 s[16:17], vcc
	s_cbranch_execz .LBB1_267
; %bb.266:
	s_bcnt1_i32_b64 s14, s[14:15]
	v_mov_b32_e32 v2, s14
	s_waitcnt vmcnt(0)
	global_atomic_add_x2 v[0:1], v[2:3], off offset:8
.LBB1_267:
	s_or_b64 exec, exec, s[16:17]
	s_waitcnt vmcnt(0)
	global_load_dwordx2 v[2:3], v[0:1], off offset:16
	s_waitcnt vmcnt(0)
	v_cmp_eq_u64_e32 vcc, 0, v[2:3]
	s_cbranch_vccnz .LBB1_269
; %bb.268:
	global_load_dword v0, v[0:1], off offset:24
	v_mov_b32_e32 v1, 0
	s_waitcnt vmcnt(0)
	v_readfirstlane_b32 s14, v0
	s_and_b32 m0, s14, 0xffffff
	global_store_dwordx2 v[2:3], v[0:1], off
	s_sendmsg sendmsg(MSG_INTERRUPT)
.LBB1_269:
	s_or_b64 exec, exec, s[12:13]
	s_branch .LBB1_273
.LBB1_270:                              ;   in Loop: Header=BB1_273 Depth=1
	s_or_b64 exec, exec, s[12:13]
	v_readfirstlane_b32 s12, v0
	s_cmp_eq_u32 s12, 0
	s_cbranch_scc1 .LBB1_272
; %bb.271:                              ;   in Loop: Header=BB1_273 Depth=1
	s_sleep 1
	s_cbranch_execnz .LBB1_273
	s_branch .LBB1_275
.LBB1_272:
	s_branch .LBB1_275
.LBB1_273:                              ; =>This Inner Loop Header: Depth=1
	v_mov_b32_e32 v0, 1
	s_and_saveexec_b64 s[12:13], s[4:5]
	s_cbranch_execz .LBB1_270
; %bb.274:                              ;   in Loop: Header=BB1_273 Depth=1
	global_load_dword v0, v[10:11], off offset:20 glc
	s_waitcnt vmcnt(0)
	buffer_wbinvl1_vol
	v_and_b32_e32 v0, 1, v0
	s_branch .LBB1_270
.LBB1_275:
	global_load_dwordx2 v[0:1], v[12:13], off
	s_and_saveexec_b64 s[12:13], s[4:5]
	s_cbranch_execz .LBB1_278
; %bb.276:
	v_mov_b32_e32 v10, 0
	global_load_dwordx2 v[2:3], v10, s[10:11] offset:40
	global_load_dwordx2 v[13:14], v10, s[10:11] offset:24 glc
	global_load_dwordx2 v[6:7], v10, s[10:11]
	s_waitcnt vmcnt(2)
	v_readfirstlane_b32 s14, v2
	v_readfirstlane_b32 s15, v3
	s_add_u32 s16, s14, 1
	s_addc_u32 s17, s15, 0
	s_add_u32 s4, s16, s6
	s_addc_u32 s5, s17, s7
	s_cmp_eq_u64 s[4:5], 0
	s_cselect_b32 s5, s17, s5
	s_cselect_b32 s4, s16, s4
	s_and_b64 s[6:7], s[4:5], s[14:15]
	s_mul_i32 s7, s7, 24
	s_mul_hi_u32 s14, s6, 24
	s_mul_i32 s6, s6, 24
	s_add_i32 s7, s14, s7
	v_mov_b32_e32 v3, s7
	s_waitcnt vmcnt(0)
	v_add_co_u32_e32 v2, vcc, s6, v6
	v_addc_co_u32_e32 v3, vcc, v7, v3, vcc
	v_mov_b32_e32 v11, s4
	global_store_dwordx2 v[2:3], v[13:14], off
	v_mov_b32_e32 v12, s5
	s_waitcnt vmcnt(0)
	global_atomic_cmpswap_x2 v[8:9], v10, v[11:14], s[10:11] offset:24 glc
	s_mov_b64 s[6:7], 0
	s_waitcnt vmcnt(0)
	v_cmp_ne_u64_e32 vcc, v[8:9], v[13:14]
	s_and_b64 exec, exec, vcc
	s_cbranch_execz .LBB1_278
.LBB1_277:                              ; =>This Inner Loop Header: Depth=1
	s_sleep 1
	global_store_dwordx2 v[2:3], v[8:9], off
	v_mov_b32_e32 v6, s4
	v_mov_b32_e32 v7, s5
	s_waitcnt vmcnt(0)
	global_atomic_cmpswap_x2 v[6:7], v10, v[6:9], s[10:11] offset:24 glc
	s_waitcnt vmcnt(0)
	v_cmp_eq_u64_e32 vcc, v[6:7], v[8:9]
	v_mov_b32_e32 v9, v7
	s_or_b64 s[6:7], vcc, s[6:7]
	v_mov_b32_e32 v8, v6
	s_andn2_b64 exec, exec, s[6:7]
	s_cbranch_execnz .LBB1_277
.LBB1_278:
	s_or_b64 exec, exec, s[12:13]
	v_mov_b32_e32 v7, v5
	s_mov_b64 s[4:5], 0
	v_mov_b32_e32 v6, v4
.LBB1_279:                              ; =>This Inner Loop Header: Depth=1
	global_load_ubyte v8, v[6:7], off
	v_add_co_u32_e32 v2, vcc, 1, v6
	v_addc_co_u32_e32 v3, vcc, 0, v7, vcc
	v_mov_b32_e32 v7, v3
	v_mov_b32_e32 v6, v2
	s_waitcnt vmcnt(0)
	v_cmp_eq_u16_e32 vcc, 0, v8
	s_or_b64 s[4:5], vcc, s[4:5]
	s_andn2_b64 exec, exec, s[4:5]
	s_cbranch_execnz .LBB1_279
; %bb.280:
	s_or_b64 exec, exec, s[4:5]
	v_cmp_ne_u64_e32 vcc, 0, v[4:5]
	s_mov_b64 s[12:13], 0
	s_and_saveexec_b64 s[4:5], vcc
	s_xor_b64 s[6:7], exec, s[4:5]
	s_cbranch_execz .LBB1_366
; %bb.281:
	v_sub_u32_e32 v26, v2, v4
	v_ashrrev_i32_e32 v27, 31, v26
	v_and_b32_e32 v36, 2, v0
	v_mov_b32_e32 v29, 0
	v_and_b32_e32 v0, -3, v0
	s_mov_b32 s22, 0
	s_movk_i32 s23, 0x1e0
	v_mov_b32_e32 v8, 2
	v_mov_b32_e32 v9, 1
	s_branch .LBB1_283
.LBB1_282:                              ;   in Loop: Header=BB1_283 Depth=1
	s_or_b64 exec, exec, s[16:17]
	v_sub_co_u32_e32 v26, vcc, v26, v30
	v_subb_co_u32_e32 v27, vcc, v27, v31, vcc
	v_cmp_eq_u64_e32 vcc, 0, v[26:27]
	s_or_b64 s[12:13], vcc, s[12:13]
	v_add_co_u32_e32 v4, vcc, v4, v30
	v_addc_co_u32_e32 v5, vcc, v5, v31, vcc
	s_andn2_b64 exec, exec, s[12:13]
	s_cbranch_execz .LBB1_365
.LBB1_283:                              ; =>This Loop Header: Depth=1
                                        ;     Child Loop BB1_286 Depth 2
                                        ;     Child Loop BB1_294 Depth 2
	;; [unrolled: 1-line block ×11, first 2 shown]
	v_cmp_gt_u64_e32 vcc, 56, v[26:27]
	v_add_co_u32_e64 v12, s[4:5], 8, v4
	v_cndmask_b32_e32 v31, 0, v27, vcc
	v_cndmask_b32_e32 v30, 56, v26, vcc
	v_cmp_gt_u64_e32 vcc, 8, v[26:27]
	v_addc_co_u32_e64 v13, s[4:5], 0, v5, s[4:5]
	s_and_saveexec_b64 s[4:5], vcc
	s_xor_b64 s[4:5], exec, s[4:5]
	s_cbranch_execz .LBB1_289
; %bb.284:                              ;   in Loop: Header=BB1_283 Depth=1
	v_mov_b32_e32 v2, 0
	v_cmp_ne_u64_e32 vcc, 0, v[26:27]
	v_mov_b32_e32 v3, 0
	s_and_saveexec_b64 s[14:15], vcc
	s_cbranch_execz .LBB1_288
; %bb.285:                              ;   in Loop: Header=BB1_283 Depth=1
	v_lshlrev_b64 v[6:7], 3, v[30:31]
	v_mov_b32_e32 v2, 0
	v_mov_b32_e32 v11, v5
	s_mov_b64 s[16:17], 0
	v_mov_b32_e32 v3, 0
	v_mov_b32_e32 v10, v4
	s_mov_b64 s[18:19], 0
.LBB1_286:                              ;   Parent Loop BB1_283 Depth=1
                                        ; =>  This Inner Loop Header: Depth=2
	global_load_ubyte v7, v[10:11], off
	v_mov_b32_e32 v13, s22
	v_add_co_u32_e32 v10, vcc, 1, v10
	v_addc_co_u32_e32 v11, vcc, 0, v11, vcc
	s_waitcnt vmcnt(0)
	v_and_b32_e32 v12, 0xffff, v7
	v_lshlrev_b64 v[12:13], s18, v[12:13]
	s_add_u32 s18, s18, 8
	s_addc_u32 s19, s19, 0
	v_cmp_eq_u32_e32 vcc, s18, v6
	v_or_b32_e32 v3, v13, v3
	s_or_b64 s[16:17], vcc, s[16:17]
	v_or_b32_e32 v2, v12, v2
	s_andn2_b64 exec, exec, s[16:17]
	s_cbranch_execnz .LBB1_286
; %bb.287:                              ;   in Loop: Header=BB1_283 Depth=1
	s_or_b64 exec, exec, s[16:17]
.LBB1_288:                              ;   in Loop: Header=BB1_283 Depth=1
	s_or_b64 exec, exec, s[14:15]
	v_mov_b32_e32 v13, v5
	v_mov_b32_e32 v12, v4
.LBB1_289:                              ;   in Loop: Header=BB1_283 Depth=1
	s_or_saveexec_b64 s[4:5], s[4:5]
	v_mov_b32_e32 v14, 0
	s_xor_b64 exec, exec, s[4:5]
	s_cbranch_execz .LBB1_291
; %bb.290:                              ;   in Loop: Header=BB1_283 Depth=1
	global_load_dwordx2 v[2:3], v[4:5], off
	v_add_u32_e32 v14, -8, v30
.LBB1_291:                              ;   in Loop: Header=BB1_283 Depth=1
	s_or_b64 exec, exec, s[4:5]
	v_add_co_u32_e64 v6, s[4:5], 8, v12
	v_cmp_gt_u32_e32 vcc, 8, v14
	v_addc_co_u32_e64 v7, s[4:5], 0, v13, s[4:5]
                                        ; implicit-def: $vgpr10_vgpr11
	s_and_saveexec_b64 s[4:5], vcc
	s_xor_b64 s[4:5], exec, s[4:5]
	s_cbranch_execz .LBB1_297
; %bb.292:                              ;   in Loop: Header=BB1_283 Depth=1
	v_mov_b32_e32 v10, 0
	v_mov_b32_e32 v11, 0
	v_cmp_ne_u32_e32 vcc, 0, v14
	s_and_saveexec_b64 s[14:15], vcc
	s_cbranch_execz .LBB1_296
; %bb.293:                              ;   in Loop: Header=BB1_283 Depth=1
	v_mov_b32_e32 v10, 0
	s_mov_b64 s[16:17], 0
	v_mov_b32_e32 v11, 0
	s_mov_b64 s[18:19], 0
	s_mov_b64 s[20:21], 0
.LBB1_294:                              ;   Parent Loop BB1_283 Depth=1
                                        ; =>  This Inner Loop Header: Depth=2
	v_mov_b32_e32 v7, s21
	v_add_co_u32_e32 v6, vcc, s20, v12
	v_addc_co_u32_e32 v7, vcc, v13, v7, vcc
	global_load_ubyte v6, v[6:7], off
	s_add_u32 s20, s20, 1
	v_mov_b32_e32 v7, s22
	s_addc_u32 s21, s21, 0
	v_cmp_eq_u32_e32 vcc, s20, v14
	s_waitcnt vmcnt(0)
	v_and_b32_e32 v6, 0xffff, v6
	v_lshlrev_b64 v[6:7], s18, v[6:7]
	s_add_u32 s18, s18, 8
	s_addc_u32 s19, s19, 0
	v_or_b32_e32 v11, v7, v11
	s_or_b64 s[16:17], vcc, s[16:17]
	v_or_b32_e32 v10, v6, v10
	s_andn2_b64 exec, exec, s[16:17]
	s_cbranch_execnz .LBB1_294
; %bb.295:                              ;   in Loop: Header=BB1_283 Depth=1
	s_or_b64 exec, exec, s[16:17]
.LBB1_296:                              ;   in Loop: Header=BB1_283 Depth=1
	s_or_b64 exec, exec, s[14:15]
	v_mov_b32_e32 v6, v12
	v_mov_b32_e32 v7, v13
                                        ; implicit-def: $vgpr14
.LBB1_297:                              ;   in Loop: Header=BB1_283 Depth=1
	s_or_saveexec_b64 s[4:5], s[4:5]
	v_mov_b32_e32 v15, 0
	s_xor_b64 exec, exec, s[4:5]
	s_cbranch_execz .LBB1_299
; %bb.298:                              ;   in Loop: Header=BB1_283 Depth=1
	global_load_dwordx2 v[10:11], v[12:13], off
	v_add_u32_e32 v15, -8, v14
.LBB1_299:                              ;   in Loop: Header=BB1_283 Depth=1
	s_or_b64 exec, exec, s[4:5]
	v_add_co_u32_e64 v16, s[4:5], 8, v6
	v_cmp_gt_u32_e32 vcc, 8, v15
	v_addc_co_u32_e64 v17, s[4:5], 0, v7, s[4:5]
	s_and_saveexec_b64 s[4:5], vcc
	s_xor_b64 s[4:5], exec, s[4:5]
	s_cbranch_execz .LBB1_305
; %bb.300:                              ;   in Loop: Header=BB1_283 Depth=1
	v_mov_b32_e32 v12, 0
	v_mov_b32_e32 v13, 0
	v_cmp_ne_u32_e32 vcc, 0, v15
	s_and_saveexec_b64 s[14:15], vcc
	s_cbranch_execz .LBB1_304
; %bb.301:                              ;   in Loop: Header=BB1_283 Depth=1
	v_mov_b32_e32 v12, 0
	s_mov_b64 s[16:17], 0
	v_mov_b32_e32 v13, 0
	s_mov_b64 s[18:19], 0
	s_mov_b64 s[20:21], 0
.LBB1_302:                              ;   Parent Loop BB1_283 Depth=1
                                        ; =>  This Inner Loop Header: Depth=2
	v_mov_b32_e32 v14, s21
	v_add_co_u32_e32 v16, vcc, s20, v6
	v_addc_co_u32_e32 v17, vcc, v7, v14, vcc
	global_load_ubyte v14, v[16:17], off
	s_add_u32 s20, s20, 1
	v_mov_b32_e32 v17, s22
	s_addc_u32 s21, s21, 0
	v_cmp_eq_u32_e32 vcc, s20, v15
	s_waitcnt vmcnt(0)
	v_and_b32_e32 v16, 0xffff, v14
	v_lshlrev_b64 v[16:17], s18, v[16:17]
	s_add_u32 s18, s18, 8
	s_addc_u32 s19, s19, 0
	v_or_b32_e32 v13, v17, v13
	s_or_b64 s[16:17], vcc, s[16:17]
	v_or_b32_e32 v12, v16, v12
	s_andn2_b64 exec, exec, s[16:17]
	s_cbranch_execnz .LBB1_302
; %bb.303:                              ;   in Loop: Header=BB1_283 Depth=1
	s_or_b64 exec, exec, s[16:17]
.LBB1_304:                              ;   in Loop: Header=BB1_283 Depth=1
	s_or_b64 exec, exec, s[14:15]
	v_mov_b32_e32 v17, v7
	v_mov_b32_e32 v16, v6
                                        ; implicit-def: $vgpr15
.LBB1_305:                              ;   in Loop: Header=BB1_283 Depth=1
	s_or_saveexec_b64 s[4:5], s[4:5]
	v_mov_b32_e32 v18, 0
	s_xor_b64 exec, exec, s[4:5]
	s_cbranch_execz .LBB1_307
; %bb.306:                              ;   in Loop: Header=BB1_283 Depth=1
	global_load_dwordx2 v[12:13], v[6:7], off
	v_add_u32_e32 v18, -8, v15
.LBB1_307:                              ;   in Loop: Header=BB1_283 Depth=1
	s_or_b64 exec, exec, s[4:5]
	v_add_co_u32_e64 v6, s[4:5], 8, v16
	v_cmp_gt_u32_e32 vcc, 8, v18
	v_addc_co_u32_e64 v7, s[4:5], 0, v17, s[4:5]
                                        ; implicit-def: $vgpr14_vgpr15
	s_and_saveexec_b64 s[4:5], vcc
	s_xor_b64 s[4:5], exec, s[4:5]
	s_cbranch_execz .LBB1_313
; %bb.308:                              ;   in Loop: Header=BB1_283 Depth=1
	v_mov_b32_e32 v14, 0
	v_mov_b32_e32 v15, 0
	v_cmp_ne_u32_e32 vcc, 0, v18
	s_and_saveexec_b64 s[14:15], vcc
	s_cbranch_execz .LBB1_312
; %bb.309:                              ;   in Loop: Header=BB1_283 Depth=1
	v_mov_b32_e32 v14, 0
	s_mov_b64 s[16:17], 0
	v_mov_b32_e32 v15, 0
	s_mov_b64 s[18:19], 0
	s_mov_b64 s[20:21], 0
.LBB1_310:                              ;   Parent Loop BB1_283 Depth=1
                                        ; =>  This Inner Loop Header: Depth=2
	v_mov_b32_e32 v7, s21
	v_add_co_u32_e32 v6, vcc, s20, v16
	v_addc_co_u32_e32 v7, vcc, v17, v7, vcc
	global_load_ubyte v6, v[6:7], off
	s_add_u32 s20, s20, 1
	v_mov_b32_e32 v7, s22
	s_addc_u32 s21, s21, 0
	v_cmp_eq_u32_e32 vcc, s20, v18
	s_waitcnt vmcnt(0)
	v_and_b32_e32 v6, 0xffff, v6
	v_lshlrev_b64 v[6:7], s18, v[6:7]
	s_add_u32 s18, s18, 8
	s_addc_u32 s19, s19, 0
	v_or_b32_e32 v15, v7, v15
	s_or_b64 s[16:17], vcc, s[16:17]
	v_or_b32_e32 v14, v6, v14
	s_andn2_b64 exec, exec, s[16:17]
	s_cbranch_execnz .LBB1_310
; %bb.311:                              ;   in Loop: Header=BB1_283 Depth=1
	s_or_b64 exec, exec, s[16:17]
.LBB1_312:                              ;   in Loop: Header=BB1_283 Depth=1
	s_or_b64 exec, exec, s[14:15]
	v_mov_b32_e32 v6, v16
	v_mov_b32_e32 v7, v17
                                        ; implicit-def: $vgpr18
.LBB1_313:                              ;   in Loop: Header=BB1_283 Depth=1
	s_or_saveexec_b64 s[4:5], s[4:5]
	v_mov_b32_e32 v19, 0
	s_xor_b64 exec, exec, s[4:5]
	s_cbranch_execz .LBB1_315
; %bb.314:                              ;   in Loop: Header=BB1_283 Depth=1
	global_load_dwordx2 v[14:15], v[16:17], off
	v_add_u32_e32 v19, -8, v18
.LBB1_315:                              ;   in Loop: Header=BB1_283 Depth=1
	s_or_b64 exec, exec, s[4:5]
	v_add_co_u32_e64 v20, s[4:5], 8, v6
	v_cmp_gt_u32_e32 vcc, 8, v19
	v_addc_co_u32_e64 v21, s[4:5], 0, v7, s[4:5]
	s_and_saveexec_b64 s[4:5], vcc
	s_xor_b64 s[4:5], exec, s[4:5]
	s_cbranch_execz .LBB1_321
; %bb.316:                              ;   in Loop: Header=BB1_283 Depth=1
	v_mov_b32_e32 v16, 0
	v_mov_b32_e32 v17, 0
	v_cmp_ne_u32_e32 vcc, 0, v19
	s_and_saveexec_b64 s[14:15], vcc
	s_cbranch_execz .LBB1_320
; %bb.317:                              ;   in Loop: Header=BB1_283 Depth=1
	v_mov_b32_e32 v16, 0
	s_mov_b64 s[16:17], 0
	v_mov_b32_e32 v17, 0
	s_mov_b64 s[18:19], 0
	s_mov_b64 s[20:21], 0
.LBB1_318:                              ;   Parent Loop BB1_283 Depth=1
                                        ; =>  This Inner Loop Header: Depth=2
	v_mov_b32_e32 v18, s21
	v_add_co_u32_e32 v20, vcc, s20, v6
	v_addc_co_u32_e32 v21, vcc, v7, v18, vcc
	global_load_ubyte v18, v[20:21], off
	s_add_u32 s20, s20, 1
	v_mov_b32_e32 v21, s22
	s_addc_u32 s21, s21, 0
	v_cmp_eq_u32_e32 vcc, s20, v19
	s_waitcnt vmcnt(0)
	v_and_b32_e32 v20, 0xffff, v18
	v_lshlrev_b64 v[20:21], s18, v[20:21]
	s_add_u32 s18, s18, 8
	s_addc_u32 s19, s19, 0
	v_or_b32_e32 v17, v21, v17
	s_or_b64 s[16:17], vcc, s[16:17]
	v_or_b32_e32 v16, v20, v16
	s_andn2_b64 exec, exec, s[16:17]
	s_cbranch_execnz .LBB1_318
; %bb.319:                              ;   in Loop: Header=BB1_283 Depth=1
	s_or_b64 exec, exec, s[16:17]
.LBB1_320:                              ;   in Loop: Header=BB1_283 Depth=1
	s_or_b64 exec, exec, s[14:15]
	v_mov_b32_e32 v21, v7
	v_mov_b32_e32 v20, v6
                                        ; implicit-def: $vgpr19
.LBB1_321:                              ;   in Loop: Header=BB1_283 Depth=1
	s_or_saveexec_b64 s[4:5], s[4:5]
	v_mov_b32_e32 v22, 0
	s_xor_b64 exec, exec, s[4:5]
	s_cbranch_execz .LBB1_323
; %bb.322:                              ;   in Loop: Header=BB1_283 Depth=1
	global_load_dwordx2 v[16:17], v[6:7], off
	v_add_u32_e32 v22, -8, v19
.LBB1_323:                              ;   in Loop: Header=BB1_283 Depth=1
	s_or_b64 exec, exec, s[4:5]
	v_add_co_u32_e64 v6, s[4:5], 8, v20
	v_cmp_gt_u32_e32 vcc, 8, v22
	v_addc_co_u32_e64 v7, s[4:5], 0, v21, s[4:5]
                                        ; implicit-def: $vgpr18_vgpr19
	s_and_saveexec_b64 s[4:5], vcc
	s_xor_b64 s[4:5], exec, s[4:5]
	s_cbranch_execz .LBB1_329
; %bb.324:                              ;   in Loop: Header=BB1_283 Depth=1
	v_mov_b32_e32 v18, 0
	v_mov_b32_e32 v19, 0
	v_cmp_ne_u32_e32 vcc, 0, v22
	s_and_saveexec_b64 s[14:15], vcc
	s_cbranch_execz .LBB1_328
; %bb.325:                              ;   in Loop: Header=BB1_283 Depth=1
	v_mov_b32_e32 v18, 0
	s_mov_b64 s[16:17], 0
	v_mov_b32_e32 v19, 0
	s_mov_b64 s[18:19], 0
	s_mov_b64 s[20:21], 0
.LBB1_326:                              ;   Parent Loop BB1_283 Depth=1
                                        ; =>  This Inner Loop Header: Depth=2
	v_mov_b32_e32 v7, s21
	v_add_co_u32_e32 v6, vcc, s20, v20
	v_addc_co_u32_e32 v7, vcc, v21, v7, vcc
	global_load_ubyte v6, v[6:7], off
	s_add_u32 s20, s20, 1
	v_mov_b32_e32 v7, s22
	s_addc_u32 s21, s21, 0
	v_cmp_eq_u32_e32 vcc, s20, v22
	s_waitcnt vmcnt(0)
	v_and_b32_e32 v6, 0xffff, v6
	v_lshlrev_b64 v[6:7], s18, v[6:7]
	s_add_u32 s18, s18, 8
	s_addc_u32 s19, s19, 0
	v_or_b32_e32 v19, v7, v19
	s_or_b64 s[16:17], vcc, s[16:17]
	v_or_b32_e32 v18, v6, v18
	s_andn2_b64 exec, exec, s[16:17]
	s_cbranch_execnz .LBB1_326
; %bb.327:                              ;   in Loop: Header=BB1_283 Depth=1
	s_or_b64 exec, exec, s[16:17]
.LBB1_328:                              ;   in Loop: Header=BB1_283 Depth=1
	s_or_b64 exec, exec, s[14:15]
	v_mov_b32_e32 v6, v20
	v_mov_b32_e32 v7, v21
                                        ; implicit-def: $vgpr22
.LBB1_329:                              ;   in Loop: Header=BB1_283 Depth=1
	s_or_saveexec_b64 s[4:5], s[4:5]
	v_mov_b32_e32 v23, 0
	s_xor_b64 exec, exec, s[4:5]
	s_cbranch_execz .LBB1_331
; %bb.330:                              ;   in Loop: Header=BB1_283 Depth=1
	global_load_dwordx2 v[18:19], v[20:21], off
	v_add_u32_e32 v23, -8, v22
.LBB1_331:                              ;   in Loop: Header=BB1_283 Depth=1
	s_or_b64 exec, exec, s[4:5]
	v_cmp_gt_u32_e32 vcc, 8, v23
	s_and_saveexec_b64 s[4:5], vcc
	s_xor_b64 s[4:5], exec, s[4:5]
	s_cbranch_execz .LBB1_337
; %bb.332:                              ;   in Loop: Header=BB1_283 Depth=1
	v_mov_b32_e32 v20, 0
	v_mov_b32_e32 v21, 0
	v_cmp_ne_u32_e32 vcc, 0, v23
	s_and_saveexec_b64 s[14:15], vcc
	s_cbranch_execz .LBB1_336
; %bb.333:                              ;   in Loop: Header=BB1_283 Depth=1
	v_mov_b32_e32 v20, 0
	s_mov_b64 s[16:17], 0
	v_mov_b32_e32 v21, 0
	s_mov_b64 s[18:19], 0
.LBB1_334:                              ;   Parent Loop BB1_283 Depth=1
                                        ; =>  This Inner Loop Header: Depth=2
	global_load_ubyte v22, v[6:7], off
	v_mov_b32_e32 v25, s22
	v_add_co_u32_e32 v6, vcc, 1, v6
	v_add_u32_e32 v23, -1, v23
	v_addc_co_u32_e32 v7, vcc, 0, v7, vcc
	v_cmp_eq_u32_e32 vcc, 0, v23
	s_waitcnt vmcnt(0)
	v_and_b32_e32 v24, 0xffff, v22
	v_lshlrev_b64 v[24:25], s18, v[24:25]
	s_add_u32 s18, s18, 8
	s_addc_u32 s19, s19, 0
	v_or_b32_e32 v21, v25, v21
	s_or_b64 s[16:17], vcc, s[16:17]
	v_or_b32_e32 v20, v24, v20
	s_andn2_b64 exec, exec, s[16:17]
	s_cbranch_execnz .LBB1_334
; %bb.335:                              ;   in Loop: Header=BB1_283 Depth=1
	s_or_b64 exec, exec, s[16:17]
.LBB1_336:                              ;   in Loop: Header=BB1_283 Depth=1
	s_or_b64 exec, exec, s[14:15]
                                        ; implicit-def: $vgpr6_vgpr7
.LBB1_337:                              ;   in Loop: Header=BB1_283 Depth=1
	s_andn2_saveexec_b64 s[4:5], s[4:5]
	s_cbranch_execz .LBB1_339
; %bb.338:                              ;   in Loop: Header=BB1_283 Depth=1
	global_load_dwordx2 v[20:21], v[6:7], off
.LBB1_339:                              ;   in Loop: Header=BB1_283 Depth=1
	s_or_b64 exec, exec, s[4:5]
	v_readfirstlane_b32 s4, v34
	v_mov_b32_e32 v6, 0
	v_mov_b32_e32 v7, 0
	v_cmp_eq_u32_e64 s[4:5], s4, v34
	s_and_saveexec_b64 s[14:15], s[4:5]
	s_cbranch_execz .LBB1_345
; %bb.340:                              ;   in Loop: Header=BB1_283 Depth=1
	global_load_dwordx2 v[24:25], v29, s[10:11] offset:24 glc
	s_waitcnt vmcnt(0)
	buffer_wbinvl1_vol
	global_load_dwordx2 v[6:7], v29, s[10:11] offset:40
	global_load_dwordx2 v[22:23], v29, s[10:11]
	s_waitcnt vmcnt(1)
	v_and_b32_e32 v6, v6, v24
	v_and_b32_e32 v7, v7, v25
	v_mul_lo_u32 v7, v7, 24
	v_mul_hi_u32 v28, v6, 24
	v_mul_lo_u32 v6, v6, 24
	v_add_u32_e32 v7, v28, v7
	s_waitcnt vmcnt(0)
	v_add_co_u32_e32 v6, vcc, v22, v6
	v_addc_co_u32_e32 v7, vcc, v23, v7, vcc
	global_load_dwordx2 v[22:23], v[6:7], off glc
	s_waitcnt vmcnt(0)
	global_atomic_cmpswap_x2 v[6:7], v29, v[22:25], s[10:11] offset:24 glc
	s_waitcnt vmcnt(0)
	buffer_wbinvl1_vol
	v_cmp_ne_u64_e32 vcc, v[6:7], v[24:25]
	s_and_saveexec_b64 s[16:17], vcc
	s_cbranch_execz .LBB1_344
; %bb.341:                              ;   in Loop: Header=BB1_283 Depth=1
	s_mov_b64 s[18:19], 0
.LBB1_342:                              ;   Parent Loop BB1_283 Depth=1
                                        ; =>  This Inner Loop Header: Depth=2
	s_sleep 1
	global_load_dwordx2 v[22:23], v29, s[10:11] offset:40
	global_load_dwordx2 v[32:33], v29, s[10:11]
	v_mov_b32_e32 v25, v7
	v_mov_b32_e32 v24, v6
	s_waitcnt vmcnt(1)
	v_and_b32_e32 v6, v22, v24
	s_waitcnt vmcnt(0)
	v_mad_u64_u32 v[6:7], s[20:21], v6, 24, v[32:33]
	v_and_b32_e32 v22, v23, v25
	v_mad_u64_u32 v[22:23], s[20:21], v22, 24, v[7:8]
	v_mov_b32_e32 v7, v22
	global_load_dwordx2 v[22:23], v[6:7], off glc
	s_waitcnt vmcnt(0)
	global_atomic_cmpswap_x2 v[6:7], v29, v[22:25], s[10:11] offset:24 glc
	s_waitcnt vmcnt(0)
	buffer_wbinvl1_vol
	v_cmp_eq_u64_e32 vcc, v[6:7], v[24:25]
	s_or_b64 s[18:19], vcc, s[18:19]
	s_andn2_b64 exec, exec, s[18:19]
	s_cbranch_execnz .LBB1_342
; %bb.343:                              ;   in Loop: Header=BB1_283 Depth=1
	s_or_b64 exec, exec, s[18:19]
.LBB1_344:                              ;   in Loop: Header=BB1_283 Depth=1
	s_or_b64 exec, exec, s[16:17]
.LBB1_345:                              ;   in Loop: Header=BB1_283 Depth=1
	s_or_b64 exec, exec, s[14:15]
	global_load_dwordx2 v[32:33], v29, s[10:11] offset:40
	global_load_dwordx4 v[22:25], v29, s[10:11]
	v_readfirstlane_b32 s15, v7
	v_readfirstlane_b32 s14, v6
	s_mov_b64 s[16:17], exec
	s_waitcnt vmcnt(1)
	v_readfirstlane_b32 s18, v32
	v_readfirstlane_b32 s19, v33
	s_and_b64 s[18:19], s[18:19], s[14:15]
	s_mul_i32 s20, s19, 24
	s_mul_hi_u32 s21, s18, 24
	s_mul_i32 s24, s18, 24
	s_add_i32 s20, s21, s20
	v_mov_b32_e32 v6, s20
	s_waitcnt vmcnt(0)
	v_add_co_u32_e32 v32, vcc, s24, v22
	v_addc_co_u32_e32 v33, vcc, v23, v6, vcc
	s_and_saveexec_b64 s[20:21], s[4:5]
	s_cbranch_execz .LBB1_347
; %bb.346:                              ;   in Loop: Header=BB1_283 Depth=1
	v_mov_b32_e32 v6, s16
	v_mov_b32_e32 v7, s17
	global_store_dwordx4 v[32:33], v[6:9], off offset:8
.LBB1_347:                              ;   in Loop: Header=BB1_283 Depth=1
	s_or_b64 exec, exec, s[20:21]
	s_lshl_b64 s[16:17], s[18:19], 12
	v_mov_b32_e32 v6, s17
	v_add_co_u32_e32 v24, vcc, s16, v24
	v_addc_co_u32_e32 v25, vcc, v25, v6, vcc
	v_cmp_gt_u64_e32 vcc, 57, v[26:27]
	v_and_b32_e32 v0, 0xffffff1f, v0
	v_cndmask_b32_e32 v6, 0, v36, vcc
	v_lshl_add_u32 v7, v30, 2, 28
	v_or_b32_e32 v0, v0, v6
	v_and_or_b32 v0, v7, s23, v0
	v_readfirstlane_b32 s16, v24
	v_readfirstlane_b32 s17, v25
	s_nop 4
	global_store_dwordx4 v35, v[0:3], s[16:17]
	global_store_dwordx4 v35, v[10:13], s[16:17] offset:16
	global_store_dwordx4 v35, v[14:17], s[16:17] offset:32
	;; [unrolled: 1-line block ×3, first 2 shown]
	s_and_saveexec_b64 s[16:17], s[4:5]
	s_cbranch_execz .LBB1_355
; %bb.348:                              ;   in Loop: Header=BB1_283 Depth=1
	global_load_dwordx2 v[12:13], v29, s[10:11] offset:32 glc
	global_load_dwordx2 v[0:1], v29, s[10:11] offset:40
	v_mov_b32_e32 v10, s14
	v_mov_b32_e32 v11, s15
	s_waitcnt vmcnt(0)
	v_readfirstlane_b32 s18, v0
	v_readfirstlane_b32 s19, v1
	s_and_b64 s[18:19], s[18:19], s[14:15]
	s_mul_i32 s19, s19, 24
	s_mul_hi_u32 s20, s18, 24
	s_mul_i32 s18, s18, 24
	s_add_i32 s19, s20, s19
	v_mov_b32_e32 v0, s19
	v_add_co_u32_e32 v6, vcc, s18, v22
	v_addc_co_u32_e32 v7, vcc, v23, v0, vcc
	global_store_dwordx2 v[6:7], v[12:13], off
	s_waitcnt vmcnt(0)
	global_atomic_cmpswap_x2 v[2:3], v29, v[10:13], s[10:11] offset:32 glc
	s_waitcnt vmcnt(0)
	v_cmp_ne_u64_e32 vcc, v[2:3], v[12:13]
	s_and_saveexec_b64 s[18:19], vcc
	s_cbranch_execz .LBB1_351
; %bb.349:                              ;   in Loop: Header=BB1_283 Depth=1
	s_mov_b64 s[20:21], 0
.LBB1_350:                              ;   Parent Loop BB1_283 Depth=1
                                        ; =>  This Inner Loop Header: Depth=2
	s_sleep 1
	global_store_dwordx2 v[6:7], v[2:3], off
	v_mov_b32_e32 v0, s14
	v_mov_b32_e32 v1, s15
	s_waitcnt vmcnt(0)
	global_atomic_cmpswap_x2 v[0:1], v29, v[0:3], s[10:11] offset:32 glc
	s_waitcnt vmcnt(0)
	v_cmp_eq_u64_e32 vcc, v[0:1], v[2:3]
	v_mov_b32_e32 v3, v1
	s_or_b64 s[20:21], vcc, s[20:21]
	v_mov_b32_e32 v2, v0
	s_andn2_b64 exec, exec, s[20:21]
	s_cbranch_execnz .LBB1_350
.LBB1_351:                              ;   in Loop: Header=BB1_283 Depth=1
	s_or_b64 exec, exec, s[18:19]
	global_load_dwordx2 v[0:1], v29, s[10:11] offset:16
	s_mov_b64 s[20:21], exec
	v_mbcnt_lo_u32_b32 v2, s20, 0
	v_mbcnt_hi_u32_b32 v2, s21, v2
	v_cmp_eq_u32_e32 vcc, 0, v2
	s_and_saveexec_b64 s[18:19], vcc
	s_cbranch_execz .LBB1_353
; %bb.352:                              ;   in Loop: Header=BB1_283 Depth=1
	s_bcnt1_i32_b64 s20, s[20:21]
	v_mov_b32_e32 v28, s20
	s_waitcnt vmcnt(0)
	global_atomic_add_x2 v[0:1], v[28:29], off offset:8
.LBB1_353:                              ;   in Loop: Header=BB1_283 Depth=1
	s_or_b64 exec, exec, s[18:19]
	s_waitcnt vmcnt(0)
	global_load_dwordx2 v[2:3], v[0:1], off offset:16
	s_waitcnt vmcnt(0)
	v_cmp_eq_u64_e32 vcc, 0, v[2:3]
	s_cbranch_vccnz .LBB1_355
; %bb.354:                              ;   in Loop: Header=BB1_283 Depth=1
	global_load_dword v28, v[0:1], off offset:24
	s_waitcnt vmcnt(0)
	v_readfirstlane_b32 s18, v28
	s_and_b32 m0, s18, 0xffffff
	global_store_dwordx2 v[2:3], v[28:29], off
	s_sendmsg sendmsg(MSG_INTERRUPT)
.LBB1_355:                              ;   in Loop: Header=BB1_283 Depth=1
	s_or_b64 exec, exec, s[16:17]
	v_add_co_u32_e32 v0, vcc, v24, v35
	v_addc_co_u32_e32 v1, vcc, 0, v25, vcc
	s_branch .LBB1_359
.LBB1_356:                              ;   in Loop: Header=BB1_359 Depth=2
	s_or_b64 exec, exec, s[16:17]
	v_readfirstlane_b32 s16, v2
	s_cmp_eq_u32 s16, 0
	s_cbranch_scc1 .LBB1_358
; %bb.357:                              ;   in Loop: Header=BB1_359 Depth=2
	s_sleep 1
	s_cbranch_execnz .LBB1_359
	s_branch .LBB1_361
.LBB1_358:                              ;   in Loop: Header=BB1_283 Depth=1
	s_branch .LBB1_361
.LBB1_359:                              ;   Parent Loop BB1_283 Depth=1
                                        ; =>  This Inner Loop Header: Depth=2
	v_mov_b32_e32 v2, 1
	s_and_saveexec_b64 s[16:17], s[4:5]
	s_cbranch_execz .LBB1_356
; %bb.360:                              ;   in Loop: Header=BB1_359 Depth=2
	global_load_dword v2, v[32:33], off offset:20 glc
	s_waitcnt vmcnt(0)
	buffer_wbinvl1_vol
	v_and_b32_e32 v2, 1, v2
	s_branch .LBB1_356
.LBB1_361:                              ;   in Loop: Header=BB1_283 Depth=1
	global_load_dwordx2 v[0:1], v[0:1], off
	s_and_saveexec_b64 s[16:17], s[4:5]
	s_cbranch_execz .LBB1_282
; %bb.362:                              ;   in Loop: Header=BB1_283 Depth=1
	global_load_dwordx2 v[2:3], v29, s[10:11] offset:40
	global_load_dwordx2 v[14:15], v29, s[10:11] offset:24 glc
	global_load_dwordx2 v[6:7], v29, s[10:11]
	s_waitcnt vmcnt(2)
	v_readfirstlane_b32 s18, v2
	v_readfirstlane_b32 s19, v3
	s_add_u32 s20, s18, 1
	s_addc_u32 s21, s19, 0
	s_add_u32 s4, s20, s14
	s_addc_u32 s5, s21, s15
	s_cmp_eq_u64 s[4:5], 0
	s_cselect_b32 s5, s21, s5
	s_cselect_b32 s4, s20, s4
	s_and_b64 s[14:15], s[4:5], s[18:19]
	s_mul_i32 s15, s15, 24
	s_mul_hi_u32 s18, s14, 24
	s_mul_i32 s14, s14, 24
	s_add_i32 s15, s18, s15
	v_mov_b32_e32 v3, s15
	s_waitcnt vmcnt(0)
	v_add_co_u32_e32 v2, vcc, s14, v6
	v_addc_co_u32_e32 v3, vcc, v7, v3, vcc
	v_mov_b32_e32 v12, s4
	global_store_dwordx2 v[2:3], v[14:15], off
	v_mov_b32_e32 v13, s5
	s_waitcnt vmcnt(0)
	global_atomic_cmpswap_x2 v[12:13], v29, v[12:15], s[10:11] offset:24 glc
	s_waitcnt vmcnt(0)
	v_cmp_ne_u64_e32 vcc, v[12:13], v[14:15]
	s_and_b64 exec, exec, vcc
	s_cbranch_execz .LBB1_282
; %bb.363:                              ;   in Loop: Header=BB1_283 Depth=1
	s_mov_b64 s[14:15], 0
.LBB1_364:                              ;   Parent Loop BB1_283 Depth=1
                                        ; =>  This Inner Loop Header: Depth=2
	s_sleep 1
	global_store_dwordx2 v[2:3], v[12:13], off
	v_mov_b32_e32 v10, s4
	v_mov_b32_e32 v11, s5
	s_waitcnt vmcnt(0)
	global_atomic_cmpswap_x2 v[6:7], v29, v[10:13], s[10:11] offset:24 glc
	s_waitcnt vmcnt(0)
	v_cmp_eq_u64_e32 vcc, v[6:7], v[12:13]
	v_mov_b32_e32 v13, v7
	s_or_b64 s[14:15], vcc, s[14:15]
	v_mov_b32_e32 v12, v6
	s_andn2_b64 exec, exec, s[14:15]
	s_cbranch_execnz .LBB1_364
	s_branch .LBB1_282
.LBB1_365:
	s_or_b64 exec, exec, s[12:13]
                                        ; implicit-def: $vgpr35
                                        ; implicit-def: $vgpr34
.LBB1_366:
	s_andn2_saveexec_b64 s[6:7], s[6:7]
	s_cbranch_execz .LBB1_393
; %bb.367:
	v_readfirstlane_b32 s4, v34
	v_mov_b32_e32 v8, 0
	v_mov_b32_e32 v9, 0
	v_cmp_eq_u32_e64 s[4:5], s4, v34
	s_and_saveexec_b64 s[12:13], s[4:5]
	s_cbranch_execz .LBB1_373
; %bb.368:
	v_mov_b32_e32 v2, 0
	global_load_dwordx2 v[5:6], v2, s[10:11] offset:24 glc
	s_waitcnt vmcnt(0)
	buffer_wbinvl1_vol
	global_load_dwordx2 v[3:4], v2, s[10:11] offset:40
	global_load_dwordx2 v[7:8], v2, s[10:11]
	s_waitcnt vmcnt(1)
	v_and_b32_e32 v3, v3, v5
	v_and_b32_e32 v4, v4, v6
	v_mul_lo_u32 v4, v4, 24
	v_mul_hi_u32 v9, v3, 24
	v_mul_lo_u32 v3, v3, 24
	v_add_u32_e32 v4, v9, v4
	s_waitcnt vmcnt(0)
	v_add_co_u32_e32 v3, vcc, v7, v3
	v_addc_co_u32_e32 v4, vcc, v8, v4, vcc
	global_load_dwordx2 v[3:4], v[3:4], off glc
	s_waitcnt vmcnt(0)
	global_atomic_cmpswap_x2 v[8:9], v2, v[3:6], s[10:11] offset:24 glc
	s_waitcnt vmcnt(0)
	buffer_wbinvl1_vol
	v_cmp_ne_u64_e32 vcc, v[8:9], v[5:6]
	s_and_saveexec_b64 s[14:15], vcc
	s_cbranch_execz .LBB1_372
; %bb.369:
	s_mov_b64 s[16:17], 0
.LBB1_370:                              ; =>This Inner Loop Header: Depth=1
	s_sleep 1
	global_load_dwordx2 v[3:4], v2, s[10:11] offset:40
	global_load_dwordx2 v[10:11], v2, s[10:11]
	v_mov_b32_e32 v5, v8
	v_mov_b32_e32 v6, v9
	s_waitcnt vmcnt(1)
	v_and_b32_e32 v3, v3, v5
	s_waitcnt vmcnt(0)
	v_mad_u64_u32 v[7:8], s[18:19], v3, 24, v[10:11]
	v_and_b32_e32 v4, v4, v6
	v_mov_b32_e32 v3, v8
	v_mad_u64_u32 v[3:4], s[18:19], v4, 24, v[3:4]
	v_mov_b32_e32 v8, v3
	global_load_dwordx2 v[3:4], v[7:8], off glc
	s_waitcnt vmcnt(0)
	global_atomic_cmpswap_x2 v[8:9], v2, v[3:6], s[10:11] offset:24 glc
	s_waitcnt vmcnt(0)
	buffer_wbinvl1_vol
	v_cmp_eq_u64_e32 vcc, v[8:9], v[5:6]
	s_or_b64 s[16:17], vcc, s[16:17]
	s_andn2_b64 exec, exec, s[16:17]
	s_cbranch_execnz .LBB1_370
; %bb.371:
	s_or_b64 exec, exec, s[16:17]
.LBB1_372:
	s_or_b64 exec, exec, s[14:15]
.LBB1_373:
	s_or_b64 exec, exec, s[12:13]
	v_mov_b32_e32 v2, 0
	global_load_dwordx2 v[10:11], v2, s[10:11] offset:40
	global_load_dwordx4 v[4:7], v2, s[10:11]
	v_readfirstlane_b32 s13, v9
	v_readfirstlane_b32 s12, v8
	s_mov_b64 s[14:15], exec
	s_waitcnt vmcnt(1)
	v_readfirstlane_b32 s16, v10
	v_readfirstlane_b32 s17, v11
	s_and_b64 s[16:17], s[16:17], s[12:13]
	s_mul_i32 s18, s17, 24
	s_mul_hi_u32 s19, s16, 24
	s_mul_i32 s20, s16, 24
	s_add_i32 s18, s19, s18
	v_mov_b32_e32 v3, s18
	s_waitcnt vmcnt(0)
	v_add_co_u32_e32 v8, vcc, s20, v4
	v_addc_co_u32_e32 v9, vcc, v5, v3, vcc
	s_and_saveexec_b64 s[18:19], s[4:5]
	s_cbranch_execz .LBB1_375
; %bb.374:
	v_mov_b32_e32 v10, s14
	v_mov_b32_e32 v11, s15
	;; [unrolled: 1-line block ×4, first 2 shown]
	global_store_dwordx4 v[8:9], v[10:13], off offset:8
.LBB1_375:
	s_or_b64 exec, exec, s[18:19]
	s_lshl_b64 s[14:15], s[16:17], 12
	v_mov_b32_e32 v3, s15
	v_add_co_u32_e32 v10, vcc, s14, v6
	v_addc_co_u32_e32 v11, vcc, v7, v3, vcc
	s_movk_i32 s14, 0xff1f
	v_and_or_b32 v0, v0, s14, 32
	s_mov_b32 s16, 0
	v_mov_b32_e32 v3, v2
	v_readfirstlane_b32 s14, v10
	v_readfirstlane_b32 s15, v11
	v_add_co_u32_e32 v6, vcc, v10, v35
	s_mov_b32 s17, s16
	s_mov_b32 s18, s16
	s_mov_b32 s19, s16
	s_nop 0
	global_store_dwordx4 v35, v[0:3], s[14:15]
	v_addc_co_u32_e32 v7, vcc, 0, v11, vcc
	v_mov_b32_e32 v0, s16
	v_mov_b32_e32 v1, s17
	;; [unrolled: 1-line block ×4, first 2 shown]
	global_store_dwordx4 v35, v[0:3], s[14:15] offset:16
	global_store_dwordx4 v35, v[0:3], s[14:15] offset:32
	;; [unrolled: 1-line block ×3, first 2 shown]
	s_and_saveexec_b64 s[14:15], s[4:5]
	s_cbranch_execz .LBB1_383
; %bb.376:
	v_mov_b32_e32 v10, 0
	global_load_dwordx2 v[13:14], v10, s[10:11] offset:32 glc
	global_load_dwordx2 v[0:1], v10, s[10:11] offset:40
	v_mov_b32_e32 v11, s12
	v_mov_b32_e32 v12, s13
	s_waitcnt vmcnt(0)
	v_readfirstlane_b32 s16, v0
	v_readfirstlane_b32 s17, v1
	s_and_b64 s[16:17], s[16:17], s[12:13]
	s_mul_i32 s17, s17, 24
	s_mul_hi_u32 s18, s16, 24
	s_mul_i32 s16, s16, 24
	s_add_i32 s17, s18, s17
	v_mov_b32_e32 v0, s17
	v_add_co_u32_e32 v4, vcc, s16, v4
	v_addc_co_u32_e32 v5, vcc, v5, v0, vcc
	global_store_dwordx2 v[4:5], v[13:14], off
	s_waitcnt vmcnt(0)
	global_atomic_cmpswap_x2 v[2:3], v10, v[11:14], s[10:11] offset:32 glc
	s_waitcnt vmcnt(0)
	v_cmp_ne_u64_e32 vcc, v[2:3], v[13:14]
	s_and_saveexec_b64 s[16:17], vcc
	s_cbranch_execz .LBB1_379
; %bb.377:
	s_mov_b64 s[18:19], 0
.LBB1_378:                              ; =>This Inner Loop Header: Depth=1
	s_sleep 1
	global_store_dwordx2 v[4:5], v[2:3], off
	v_mov_b32_e32 v0, s12
	v_mov_b32_e32 v1, s13
	s_waitcnt vmcnt(0)
	global_atomic_cmpswap_x2 v[0:1], v10, v[0:3], s[10:11] offset:32 glc
	s_waitcnt vmcnt(0)
	v_cmp_eq_u64_e32 vcc, v[0:1], v[2:3]
	v_mov_b32_e32 v3, v1
	s_or_b64 s[18:19], vcc, s[18:19]
	v_mov_b32_e32 v2, v0
	s_andn2_b64 exec, exec, s[18:19]
	s_cbranch_execnz .LBB1_378
.LBB1_379:
	s_or_b64 exec, exec, s[16:17]
	v_mov_b32_e32 v3, 0
	global_load_dwordx2 v[0:1], v3, s[10:11] offset:16
	s_mov_b64 s[16:17], exec
	v_mbcnt_lo_u32_b32 v2, s16, 0
	v_mbcnt_hi_u32_b32 v2, s17, v2
	v_cmp_eq_u32_e32 vcc, 0, v2
	s_and_saveexec_b64 s[18:19], vcc
	s_cbranch_execz .LBB1_381
; %bb.380:
	s_bcnt1_i32_b64 s16, s[16:17]
	v_mov_b32_e32 v2, s16
	s_waitcnt vmcnt(0)
	global_atomic_add_x2 v[0:1], v[2:3], off offset:8
.LBB1_381:
	s_or_b64 exec, exec, s[18:19]
	s_waitcnt vmcnt(0)
	global_load_dwordx2 v[2:3], v[0:1], off offset:16
	s_waitcnt vmcnt(0)
	v_cmp_eq_u64_e32 vcc, 0, v[2:3]
	s_cbranch_vccnz .LBB1_383
; %bb.382:
	global_load_dword v0, v[0:1], off offset:24
	v_mov_b32_e32 v1, 0
	s_waitcnt vmcnt(0)
	v_readfirstlane_b32 s16, v0
	s_and_b32 m0, s16, 0xffffff
	global_store_dwordx2 v[2:3], v[0:1], off
	s_sendmsg sendmsg(MSG_INTERRUPT)
.LBB1_383:
	s_or_b64 exec, exec, s[14:15]
	s_branch .LBB1_387
.LBB1_384:                              ;   in Loop: Header=BB1_387 Depth=1
	s_or_b64 exec, exec, s[14:15]
	v_readfirstlane_b32 s14, v0
	s_cmp_eq_u32 s14, 0
	s_cbranch_scc1 .LBB1_386
; %bb.385:                              ;   in Loop: Header=BB1_387 Depth=1
	s_sleep 1
	s_cbranch_execnz .LBB1_387
	s_branch .LBB1_389
.LBB1_386:
	s_branch .LBB1_389
.LBB1_387:                              ; =>This Inner Loop Header: Depth=1
	v_mov_b32_e32 v0, 1
	s_and_saveexec_b64 s[14:15], s[4:5]
	s_cbranch_execz .LBB1_384
; %bb.388:                              ;   in Loop: Header=BB1_387 Depth=1
	global_load_dword v0, v[8:9], off offset:20 glc
	s_waitcnt vmcnt(0)
	buffer_wbinvl1_vol
	v_and_b32_e32 v0, 1, v0
	s_branch .LBB1_384
.LBB1_389:
	global_load_dwordx2 v[0:1], v[6:7], off
	s_and_saveexec_b64 s[14:15], s[4:5]
	s_cbranch_execz .LBB1_392
; %bb.390:
	v_mov_b32_e32 v8, 0
	global_load_dwordx2 v[2:3], v8, s[10:11] offset:40
	global_load_dwordx2 v[11:12], v8, s[10:11] offset:24 glc
	global_load_dwordx2 v[4:5], v8, s[10:11]
	s_waitcnt vmcnt(2)
	v_readfirstlane_b32 s16, v2
	v_readfirstlane_b32 s17, v3
	s_add_u32 s18, s16, 1
	s_addc_u32 s19, s17, 0
	s_add_u32 s4, s18, s12
	s_addc_u32 s5, s19, s13
	s_cmp_eq_u64 s[4:5], 0
	s_cselect_b32 s5, s19, s5
	s_cselect_b32 s4, s18, s4
	s_and_b64 s[12:13], s[4:5], s[16:17]
	s_mul_i32 s13, s13, 24
	s_mul_hi_u32 s16, s12, 24
	s_mul_i32 s12, s12, 24
	s_add_i32 s13, s16, s13
	v_mov_b32_e32 v2, s13
	s_waitcnt vmcnt(0)
	v_add_co_u32_e32 v6, vcc, s12, v4
	v_addc_co_u32_e32 v7, vcc, v5, v2, vcc
	v_mov_b32_e32 v9, s4
	global_store_dwordx2 v[6:7], v[11:12], off
	v_mov_b32_e32 v10, s5
	s_waitcnt vmcnt(0)
	global_atomic_cmpswap_x2 v[4:5], v8, v[9:12], s[10:11] offset:24 glc
	s_mov_b64 s[12:13], 0
	s_waitcnt vmcnt(0)
	v_cmp_ne_u64_e32 vcc, v[4:5], v[11:12]
	s_and_b64 exec, exec, vcc
	s_cbranch_execz .LBB1_392
.LBB1_391:                              ; =>This Inner Loop Header: Depth=1
	s_sleep 1
	global_store_dwordx2 v[6:7], v[4:5], off
	v_mov_b32_e32 v2, s4
	v_mov_b32_e32 v3, s5
	s_waitcnt vmcnt(0)
	global_atomic_cmpswap_x2 v[2:3], v8, v[2:5], s[10:11] offset:24 glc
	s_waitcnt vmcnt(0)
	v_cmp_eq_u64_e32 vcc, v[2:3], v[4:5]
	v_mov_b32_e32 v5, v3
	s_or_b64 s[12:13], vcc, s[12:13]
	v_mov_b32_e32 v4, v2
	s_andn2_b64 exec, exec, s[12:13]
	s_cbranch_execnz .LBB1_391
.LBB1_392:
	s_or_b64 exec, exec, s[14:15]
.LBB1_393:
	s_or_b64 exec, exec, s[6:7]
	s_getpc_b64 s[4:5]
	s_add_u32 s4, s4, .str.3@rel32@lo+4
	s_addc_u32 s5, s5, .str.3@rel32@hi+12
	s_getpc_b64 s[6:7]
	s_add_u32 s6, s6, .str.3@rel32@lo+32
	s_addc_u32 s7, s7, .str.3@rel32@hi+40
	s_sub_i32 s10, s6, s4
	s_ashr_i32 s11, s10, 31
	s_getpc_b64 s[6:7]
	s_add_u32 s6, s6, __ockl_fprintf_append_string_n@rel32@lo+4
	s_addc_u32 s7, s7, __ockl_fprintf_append_string_n@rel32@hi+12
	v_mov_b32_e32 v2, s4
	v_mov_b32_e32 v3, s5
	;; [unrolled: 1-line block ×5, first 2 shown]
	s_swappc_b64 s[30:31], s[6:7]
	s_trap 2
.Lfunc_end1:
	.size	__assert_fail, .Lfunc_end1-__assert_fail
                                        ; -- End function
	.set .L__assert_fail.num_vgpr, max(41, .L__ockl_fprintf_append_string_n.num_vgpr)
	.set .L__assert_fail.num_agpr, max(0, .L__ockl_fprintf_append_string_n.num_agpr)
	.set .L__assert_fail.numbered_sgpr, max(34, .L__ockl_fprintf_append_string_n.numbered_sgpr)
	.set .L__assert_fail.num_named_barrier, max(0, .L__ockl_fprintf_append_string_n.num_named_barrier)
	.set .L__assert_fail.private_seg_size, 64+max(.L__ockl_fprintf_append_string_n.private_seg_size)
	.set .L__assert_fail.uses_vcc, or(1, .L__ockl_fprintf_append_string_n.uses_vcc)
	.set .L__assert_fail.uses_flat_scratch, or(0, .L__ockl_fprintf_append_string_n.uses_flat_scratch)
	.set .L__assert_fail.has_dyn_sized_stack, or(0, .L__ockl_fprintf_append_string_n.has_dyn_sized_stack)
	.set .L__assert_fail.has_recursion, or(0, .L__ockl_fprintf_append_string_n.has_recursion)
	.set .L__assert_fail.has_indirect_call, or(0, .L__ockl_fprintf_append_string_n.has_indirect_call)
	.section	.AMDGPU.csdata,"",@progbits
; Function info:
; codeLenInByte = 13844
; TotalNumSgprs: 38
; NumVgprs: 41
; ScratchSize: 64
; MemoryBound: 0
	.text
	.p2align	2                               ; -- Begin function _ZN12_GLOBAL__N_17runRingI14__hip_fp8_e4m313FuncPreMulSumIS1_E11ProtoSimpleILi2ELi2ELi0ELi1ELi0ELi0EELi0ELi0ELi1ELi0EEEviiP15ncclDevWorkColl
	.type	_ZN12_GLOBAL__N_17runRingI14__hip_fp8_e4m313FuncPreMulSumIS1_E11ProtoSimpleILi2ELi2ELi0ELi1ELi0ELi0EELi0ELi0ELi1ELi0EEEviiP15ncclDevWorkColl,@function
_ZN12_GLOBAL__N_17runRingI14__hip_fp8_e4m313FuncPreMulSumIS1_E11ProtoSimpleILi2ELi2ELi0ELi1ELi0ELi0EELi0ELi0ELi1ELi0EEEviiP15ncclDevWorkColl: ; @_ZN12_GLOBAL__N_17runRingI14__hip_fp8_e4m313FuncPreMulSumIS1_E11ProtoSimpleILi2ELi2ELi0ELi1ELi0ELi0EELi0ELi0ELi1ELi0EEEviiP15ncclDevWorkColl
; %bb.0:
	s_waitcnt vmcnt(0) expcnt(0) lgkmcnt(0)
	s_mov_b32 s4, s33
	s_mov_b32 s33, s32
	s_or_saveexec_b64 s[6:7], -1
	buffer_store_dword v63, off, s[0:3], s33 offset:304 ; 4-byte Folded Spill
	buffer_store_dword v62, off, s[0:3], s33 offset:308 ; 4-byte Folded Spill
	s_mov_b64 exec, s[6:7]
	v_writelane_b32 v63, s4, 34
	s_addk_i32 s32, 0x5000
	buffer_store_dword v40, off, s[0:3], s33 offset:52 ; 4-byte Folded Spill
	buffer_store_dword v41, off, s[0:3], s33 offset:48 ; 4-byte Folded Spill
	;; [unrolled: 1-line block ×13, first 2 shown]
	buffer_store_dword v61, off, s[0:3], s33 ; 4-byte Folded Spill
	v_writelane_b32 v63, s34, 0
	v_writelane_b32 v63, s35, 1
	;; [unrolled: 1-line block ×34, first 2 shown]
	v_mov_b32_e32 v16, v1
	buffer_store_dword v0, off, s[0:3], s33 offset:128 ; 4-byte Folded Spill
	s_trap 2
	flat_load_dword v1, v[2:3]
	ds_read_b32 v4, v0
                                        ; implicit-def: $vgpr28_vgpr29
                                        ; implicit-def: $vgpr5_vgpr6
                                        ; kill: killed $vgpr5_vgpr6
                                        ; implicit-def: $vgpr8_vgpr9
	s_waitcnt lgkmcnt(0)
	v_readfirstlane_b32 s66, v4
	s_waitcnt vmcnt(0)
	v_cmp_ne_u32_sdwa s[4:5], v4, v1 src0_sel:DWORD src1_sel:BYTE_0
	s_and_saveexec_b64 s[6:7], s[4:5]
	s_xor_b64 s[4:5], exec, s[6:7]
	s_cbranch_execz .LBB2_6
; %bb.1:
	v_not_b32_sdwa v0, v1 dst_sel:DWORD dst_unused:UNUSED_PAD src0_sel:BYTE_0
	v_cmp_ne_u32_sdwa s[6:7], v4, v1 src0_sel:DWORD src1_sel:BYTE_1
                                        ; implicit-def: $vgpr28_vgpr29
                                        ; implicit-def: $vgpr5_vgpr6
                                        ; kill: killed $vgpr5_vgpr6
                                        ; implicit-def: $vgpr8_vgpr9
	s_and_saveexec_b64 s[10:11], s[6:7]
	s_xor_b64 s[6:7], exec, s[10:11]
	s_cbranch_execz .LBB2_3
; %bb.2:
	flat_load_dwordx4 v[5:8], v[2:3] offset:72
	flat_load_dwordx2 v[9:10], v[2:3] offset:96
	v_add_u32_e32 v0, v4, v0
	v_ashrrev_i32_e32 v1, 31, v0
	s_waitcnt vmcnt(0) lgkmcnt(0)
	v_mul_lo_u32 v1, v7, v1
	v_mad_u64_u32 v[4:5], s[10:11], v7, v0, v[5:6]
	v_mul_lo_u32 v0, v8, v0
	v_lshrrev_b64 v[28:29], 12, v[9:10]
	v_mov_b32_e32 v9, v8
	v_mov_b32_e32 v8, v7
	v_add3_u32 v5, v0, v5, v1
	buffer_store_dword v4, off, s[0:3], s33 offset:260 ; 4-byte Folded Spill
	s_nop 0
	buffer_store_dword v5, off, s[0:3], s33 offset:264 ; 4-byte Folded Spill
                                        ; implicit-def: $vgpr1
                                        ; implicit-def: $vgpr0
.LBB2_3:
	s_andn2_saveexec_b64 s[6:7], s[6:7]
	s_cbranch_execz .LBB2_5
; %bb.4:
	flat_load_dwordx4 v[4:7], v[2:3] offset:72
	flat_load_dwordx4 v[8:11], v[2:3] offset:88
	v_add_u32_sdwa v0, v1, v0 dst_sel:DWORD dst_unused:UNUSED_PAD src0_sel:BYTE_1 src1_sel:DWORD
	v_ashrrev_i32_e32 v1, 31, v0
	s_waitcnt vmcnt(0) lgkmcnt(0)
	v_mul_lo_u32 v1, v6, v1
	v_mad_u64_u32 v[4:5], s[10:11], v6, v0, v[4:5]
	v_mul_lo_u32 v0, v7, v0
	v_lshrrev_b32_e32 v28, 1, v11
	v_add3_u32 v5, v0, v5, v1
	buffer_store_dword v4, off, s[0:3], s33 offset:260 ; 4-byte Folded Spill
	s_nop 0
	buffer_store_dword v5, off, s[0:3], s33 offset:264 ; 4-byte Folded Spill
.LBB2_5:
	s_or_b64 exec, exec, s[6:7]
.LBB2_6:
	s_andn2_saveexec_b64 s[4:5], s[4:5]
	s_cbranch_execz .LBB2_8
; %bb.7:
	flat_load_dwordx2 v[0:1], v[2:3] offset:96
	flat_load_dwordx2 v[8:9], v[2:3] offset:72
	s_waitcnt vmcnt(0) lgkmcnt(0)
	v_lshlrev_b64 v[28:29], 9, v[0:1]
	v_mov_b32_e32 v0, 0
	v_mov_b32_e32 v1, 0
	buffer_store_dword v0, off, s[0:3], s33 offset:260 ; 4-byte Folded Spill
	s_nop 0
	buffer_store_dword v1, off, s[0:3], s33 offset:264 ; 4-byte Folded Spill
.LBB2_8:
	s_or_b64 exec, exec, s[4:5]
	s_trap 2
	ds_read_b64 v[0:1], v0
	s_waitcnt lgkmcnt(0)
	v_cmp_ne_u32_e32 vcc, -1, v0
	v_cndmask_b32_e64 v0, 0, 1, vcc
	v_cmp_ne_u32_e32 vcc, -1, v1
	v_addc_co_u32_e64 v1, s[4:5], 0, v0, vcc
	v_lshlrev_b32_e32 v4, 1, v1
	v_cmp_le_u32_e64 s[4:5], v4, v16
	s_and_saveexec_b64 s[6:7], s[4:5]
	s_xor_b64 s[28:29], exec, s[6:7]
	s_cbranch_execnz .LBB2_9
; %bb.9009:
	s_getpc_b64 s[98:99]
.Lpost_getpc0:
	s_add_u32 s98, s98, (.LBB2_9006-.Lpost_getpc0)&4294967295
	s_addc_u32 s99, s99, (.LBB2_9006-.Lpost_getpc0)>>32
	s_setpc_b64 s[98:99]
.LBB2_9:
	buffer_store_dword v8, off, s[0:3], s33 offset:244 ; 4-byte Folded Spill
	s_nop 0
	buffer_store_dword v9, off, s[0:3], s33 offset:248 ; 4-byte Folded Spill
	buffer_store_dword v10, off, s[0:3], s33 offset:252 ; 4-byte Folded Spill
	buffer_store_dword v11, off, s[0:3], s33 offset:256 ; 4-byte Folded Spill
	flat_load_dwordx4 v[10:13], v[2:3] offset:16
	s_nop 0
	flat_load_dwordx2 v[29:30], v[2:3] offset:104
	flat_load_ushort v7, v[2:3] offset:8
	flat_load_dword v6, v[2:3] offset:4
	s_trap 2
	s_load_dword s4, s[8:9], 0x0
	v_mov_b32_e32 v4, 0
	v_mov_b32_e32 v61, 4
	s_waitcnt lgkmcnt(0)
	s_cmp_lt_u32 s12, s4
	s_cselect_b32 s4, 12, 18
	s_add_u32 s4, s8, s4
	s_addc_u32 s5, s9, 0
	global_load_ushort v14, v4, s[4:5]
	ds_read_b32 v4, v0
	s_waitcnt lgkmcnt(0)
	v_readfirstlane_b32 s12, v4
	buffer_load_dword v4, off, s[0:3], s33 offset:128 ; 4-byte Folded Reload
	s_waitcnt vmcnt(0)
	v_cmp_ge_u32_e64 s[4:5], v4, v0
	s_and_saveexec_b64 s[6:7], s[4:5]
	s_cbranch_execz .LBB2_19
; %bb.10:
	buffer_load_dword v4, off, s[0:3], s33 offset:128 ; 4-byte Folded Reload
                                        ; implicit-def: $vgpr61
	s_waitcnt vmcnt(0)
	v_cmp_ge_u32_e64 s[4:5], v4, v1
	s_and_saveexec_b64 s[10:11], s[4:5]
	s_xor_b64 s[4:5], exec, s[10:11]
	s_cbranch_execz .LBB2_16
; %bb.11:
	buffer_load_dword v5, off, s[0:3], s33 offset:128 ; 4-byte Folded Reload
	v_cndmask_b32_e64 v4, 0, 1, vcc
	v_sub_u32_e32 v4, v16, v4
	s_waitcnt vmcnt(0)
	v_cmp_ge_u32_e32 vcc, v5, v4
	s_and_saveexec_b64 s[10:11], vcc
	s_xor_b64 s[10:11], exec, s[10:11]
; %bb.12:
                                        ; implicit-def: $vgpr1
; %bb.13:
	s_or_saveexec_b64 s[10:11], s[10:11]
	v_mov_b32_e32 v61, 16
	s_xor_b64 exec, exec, s[10:11]
	s_cbranch_execz .LBB2_15
; %bb.14:
	buffer_load_dword v4, off, s[0:3], s33 offset:128 ; 4-byte Folded Reload
	v_sub_u32_e32 v1, v16, v1
	s_waitcnt vmcnt(0)
	v_cmp_lt_i32_e32 vcc, v4, v1
	v_cndmask_b32_e64 v61, 32, 0, vcc
.LBB2_15:
	s_or_b64 exec, exec, s[10:11]
.LBB2_16:
	s_andn2_saveexec_b64 s[4:5], s[4:5]
; %bb.17:
	v_mov_b32_e32 v61, 8
; %bb.18:
	s_or_b64 exec, exec, s[4:5]
.LBB2_19:
	s_or_b64 exec, exec, s[6:7]
	v_and_b32_e32 v1, 36, v61
	v_cmp_ne_u32_e32 vcc, 0, v1
	v_mov_b32_e32 v8, -1
	s_and_saveexec_b64 s[4:5], vcc
	s_cbranch_execz .LBB2_21
; %bb.20:
	s_trap 2
	ds_read_b32 v8, v0
.LBB2_21:
	s_or_b64 exec, exec, s[4:5]
	v_and_b32_e32 v1, 24, v61
	v_cmp_ne_u32_e64 s[4:5], 0, v1
	s_and_saveexec_b64 s[6:7], s[4:5]
	s_cbranch_execz .LBB2_23
; %bb.22:
	s_trap 2
	s_waitcnt lgkmcnt(0)
	ds_read_b32 v8, v0
.LBB2_23:
	s_or_b64 exec, exec, s[6:7]
	v_lshrrev_b64 v[4:5], 31, v[6:7]
	v_mov_b32_e32 v5, 0
	v_mov_b32_e32 v6, 0
	buffer_store_dword v5, off, s[0:3], s33 offset:276 ; 4-byte Folded Spill
	s_nop 0
	buffer_store_dword v6, off, s[0:3], s33 offset:280 ; 4-byte Folded Spill
	v_and_b32_e32 v1, 3, v4
	v_mov_b32_e32 v4, 0
	v_mov_b32_e32 v5, 0
	s_waitcnt lgkmcnt(0)
	v_ashrrev_i32_e32 v9, 31, v8
                                        ; implicit-def: $vgpr38_vgpr39
                                        ; implicit-def: $vgpr26_vgpr27
                                        ; implicit-def: $vgpr20_vgpr21
	buffer_store_dword v4, off, s[0:3], s33 offset:80 ; 4-byte Folded Spill
	s_nop 0
	buffer_store_dword v5, off, s[0:3], s33 offset:84 ; 4-byte Folded Spill
	buffer_store_dword v6, off, s[0:3], s33 offset:88 ; 4-byte Folded Spill
	;; [unrolled: 1-line block ×3, first 2 shown]
                                        ; implicit-def: $vgpr4_vgpr5
                                        ; kill: killed $vgpr4_vgpr5
                                        ; implicit-def: $vgpr4
                                        ; kill: killed $vgpr4
                                        ; implicit-def: $vgpr4_vgpr5
                                        ; kill: killed $vgpr4_vgpr5
	s_and_saveexec_b64 s[4:5], vcc
	s_cbranch_execz .LBB2_33
; %bb.24:
	s_trap 2
	ds_read_b64 v[4:5], v0
	v_lshlrev_b64 v[6:7], 3, v[8:9]
	s_movk_i32 s6, 0xa8
	s_waitcnt lgkmcnt(0)
	v_add_co_u32_e32 v4, vcc, v4, v6
	v_addc_co_u32_e32 v5, vcc, v5, v7, vcc
	flat_load_dwordx2 v[4:5], v[4:5]
	v_and_b32_e32 v6, 0xffff, v1
	s_waitcnt vmcnt(0) lgkmcnt(0)
	v_mad_u64_u32 v[24:25], s[6:7], v6, s6, v[4:5]
	flat_load_dword v4, v[24:25] offset:640
	s_waitcnt vmcnt(0) lgkmcnt(0)
	v_cmp_eq_u32_e32 vcc, 1, v4
                                        ; implicit-def: $vgpr4_vgpr5
                                        ; kill: killed $vgpr4_vgpr5
	s_and_saveexec_b64 s[6:7], vcc
	s_cbranch_execz .LBB2_26
; %bb.25:
	flat_load_dwordx2 v[6:7], v[24:25] offset:648
	v_or_b32_e32 v61, 0x2000, v61
	s_waitcnt vmcnt(0) lgkmcnt(0)
	flat_load_dwordx2 v[4:5], v[6:7]
	s_trap 2
	s_waitcnt vmcnt(0) lgkmcnt(0)
	ds_write_b64 v0, v[4:5]
	flat_load_dwordx2 v[4:5], v[6:7] offset:8
	s_waitcnt vmcnt(0) lgkmcnt(0)
	ds_write_b64 v0, v[4:5]
	buffer_store_dword v6, off, s[0:3], s33 offset:296 ; 4-byte Folded Spill
	s_nop 0
	buffer_store_dword v7, off, s[0:3], s33 offset:300 ; 4-byte Folded Spill
	flat_load_dwordx2 v[4:5], v[6:7] offset:16
	s_waitcnt vmcnt(0) lgkmcnt(0)
	ds_write_b64 v0, v[4:5]
.LBB2_26:
	s_or_b64 exec, exec, s[6:7]
	flat_load_dwordx2 v[4:5], v[24:25] offset:608
	v_and_b32_e32 v6, 32, v61
                                        ; implicit-def: $vgpr20_vgpr21
	s_waitcnt vmcnt(0) lgkmcnt(0)
	v_add_co_u32_e32 v4, vcc, 3, v4
	v_addc_co_u32_e32 v39, vcc, 0, v5, vcc
	v_and_b32_e32 v38, -4, v4
	v_cmp_ne_u32_e32 vcc, 0, v6
	s_and_saveexec_b64 s[6:7], vcc
	s_cbranch_execz .LBB2_28
; %bb.27:
	flat_load_dwordx2 v[20:21], v[24:25] offset:560
	s_waitcnt vmcnt(0) lgkmcnt(0)
	flat_store_dwordx2 v[20:21], v[38:39]
.LBB2_28:
	s_or_b64 exec, exec, s[6:7]
	v_add_co_u32_e32 v4, vcc, 0x1f8, v24
	v_addc_co_u32_e32 v5, vcc, 0, v25, vcc
	buffer_store_dword v4, off, s[0:3], s33 offset:276 ; 4-byte Folded Spill
	s_nop 0
	buffer_store_dword v5, off, s[0:3], s33 offset:280 ; 4-byte Folded Spill
	v_mov_b32_e32 v5, 0
	v_and_b32_e32 v4, 4, v61
	v_mov_b32_e32 v6, 0
	buffer_store_dword v5, off, s[0:3], s33 offset:80 ; 4-byte Folded Spill
	s_nop 0
	buffer_store_dword v6, off, s[0:3], s33 offset:84 ; 4-byte Folded Spill
	buffer_store_dword v7, off, s[0:3], s33 offset:88 ; 4-byte Folded Spill
	buffer_store_dword v8, off, s[0:3], s33 offset:92 ; 4-byte Folded Spill
	v_cmp_ne_u32_e32 vcc, 0, v4
                                        ; implicit-def: $vgpr4
                                        ; kill: killed $vgpr4
                                        ; implicit-def: $vgpr4_vgpr5
                                        ; kill: killed $vgpr4_vgpr5
                                        ; implicit-def: $vgpr26_vgpr27
	s_and_saveexec_b64 s[6:7], vcc
	s_cbranch_execz .LBB2_32
; %bb.29:
	v_and_b32_e32 v4, 0x800, v61
	v_cmp_eq_u32_e32 vcc, 0, v4
	s_and_saveexec_b64 s[10:11], vcc
	s_cbranch_execz .LBB2_31
; %bb.30:
	s_trap 2
	buffer_load_dword v4, off, s[0:3], s33 offset:276 ; 4-byte Folded Reload
	buffer_load_dword v5, off, s[0:3], s33 offset:280 ; 4-byte Folded Reload
	s_waitcnt vmcnt(0)
	ds_write_b64 v0, v[4:5]
.LBB2_31:
	s_or_b64 exec, exec, s[10:11]
	flat_load_dwordx2 v[20:21], v[24:25] offset:552
	s_waitcnt vmcnt(0) lgkmcnt(0)
	flat_load_dwordx2 v[26:27], v[20:21] glc
	flat_load_dwordx2 v[17:18], v[24:25] offset:600
	flat_load_dword v4, v[24:25] offset:576
	s_waitcnt vmcnt(0) lgkmcnt(0)
	v_cmp_eq_u64_e32 vcc, 0, v[17:18]
	buffer_store_dword v4, off, s[0:3], s33 offset:104 ; 4-byte Folded Spill
	flat_load_dwordx2 v[4:5], v[24:25] offset:520
	s_waitcnt vmcnt(0) lgkmcnt(0)
	buffer_store_dword v4, off, s[0:3], s33 offset:72 ; 4-byte Folded Spill
	s_nop 0
	buffer_store_dword v5, off, s[0:3], s33 offset:76 ; 4-byte Folded Spill
	v_or_b32_e32 v4, 0x100, v61
	v_mov_b32_e32 v5, v17
	v_mov_b32_e32 v6, v18
	v_cndmask_b32_e32 v61, v4, v61, vcc
	buffer_store_dword v5, off, s[0:3], s33 offset:80 ; 4-byte Folded Spill
	s_nop 0
	buffer_store_dword v6, off, s[0:3], s33 offset:84 ; 4-byte Folded Spill
	buffer_store_dword v7, off, s[0:3], s33 offset:88 ; 4-byte Folded Spill
	;; [unrolled: 1-line block ×3, first 2 shown]
.LBB2_32:
	s_or_b64 exec, exec, s[6:7]
.LBB2_33:
	s_or_b64 exec, exec, s[4:5]
	v_and_b32_e32 v4, 24, v61
	v_cmp_ne_u32_e32 vcc, 0, v4
                                        ; implicit-def: $vgpr4_vgpr5
                                        ; kill: killed $vgpr4_vgpr5
	s_and_saveexec_b64 s[4:5], vcc
	s_cbranch_execz .LBB2_41
; %bb.34:
	s_trap 2
	ds_read_b64 v[4:5], v0
	v_lshlrev_b64 v[6:7], 3, v[8:9]
	v_and_b32_e32 v1, 0xffff, v1
	s_movk_i32 s6, 0xa8
	s_waitcnt lgkmcnt(0)
	v_add_co_u32_e32 v4, vcc, v4, v6
	v_addc_co_u32_e32 v5, vcc, v5, v7, vcc
	flat_load_dwordx2 v[4:5], v[4:5]
	s_waitcnt vmcnt(0) lgkmcnt(0)
	v_mad_u64_u32 v[4:5], s[6:7], v1, s6, v[4:5]
	buffer_store_dword v4, off, s[0:3], s33 offset:276 ; 4-byte Folded Spill
	s_nop 0
	buffer_store_dword v5, off, s[0:3], s33 offset:280 ; 4-byte Folded Spill
	v_or_b32_e32 v1, 0x100, v61
	flat_load_dwordx4 v[4:7], v[4:5] offset:96
	s_waitcnt vmcnt(0) lgkmcnt(0)
	buffer_store_dword v4, off, s[0:3], s33 offset:80 ; 4-byte Folded Spill
	s_nop 0
	buffer_store_dword v5, off, s[0:3], s33 offset:84 ; 4-byte Folded Spill
	buffer_store_dword v6, off, s[0:3], s33 offset:88 ; 4-byte Folded Spill
	buffer_store_dword v7, off, s[0:3], s33 offset:92 ; 4-byte Folded Spill
	v_cmp_eq_u64_e32 vcc, 0, v[4:5]
                                        ; implicit-def: $vgpr4_vgpr5
                                        ; kill: killed $vgpr4_vgpr5
	v_cndmask_b32_e32 v61, v1, v61, vcc
	v_and_b32_e32 v1, 16, v61
	v_cmp_ne_u32_e32 vcc, 0, v1
	s_and_saveexec_b64 s[6:7], vcc
	s_cbranch_execz .LBB2_36
; %bb.35:
	buffer_load_dword v4, off, s[0:3], s33 offset:276 ; 4-byte Folded Reload
	buffer_load_dword v5, off, s[0:3], s33 offset:280 ; 4-byte Folded Reload
	s_waitcnt vmcnt(0)
	flat_load_dwordx2 v[20:21], v[4:5] offset:48
	flat_load_dwordx2 v[6:7], v[4:5] offset:120
	s_waitcnt vmcnt(0) lgkmcnt(0)
	buffer_store_dword v6, off, s[0:3], s33 offset:96 ; 4-byte Folded Spill
	s_nop 0
	buffer_store_dword v7, off, s[0:3], s33 offset:100 ; 4-byte Folded Spill
	flat_load_dwordx2 v[4:5], v[4:5] offset:16
	s_waitcnt vmcnt(0) lgkmcnt(0)
	buffer_store_dword v4, off, s[0:3], s33 offset:72 ; 4-byte Folded Spill
	s_nop 0
	buffer_store_dword v5, off, s[0:3], s33 offset:76 ; 4-byte Folded Spill
.LBB2_36:
	s_or_b64 exec, exec, s[6:7]
	buffer_load_dword v4, off, s[0:3], s33 offset:80 ; 4-byte Folded Reload
	buffer_load_dword v5, off, s[0:3], s33 offset:84 ; 4-byte Folded Reload
	;; [unrolled: 1-line block ×4, first 2 shown]
	s_waitcnt vmcnt(1)
	v_add_co_u32_e32 v1, vcc, 3, v6
	s_waitcnt vmcnt(0)
	v_addc_co_u32_e32 v39, vcc, 0, v7, vcc
	v_and_b32_e32 v38, -4, v1
	v_and_b32_e32 v1, 8, v61
	v_cmp_ne_u32_e32 vcc, 0, v1
	s_and_saveexec_b64 s[6:7], vcc
	s_cbranch_execz .LBB2_40
; %bb.37:
	v_and_b32_e32 v1, 0x800, v61
	v_cmp_eq_u32_e32 vcc, 0, v1
	s_and_saveexec_b64 s[10:11], vcc
	s_cbranch_execz .LBB2_39
; %bb.38:
	s_trap 2
	buffer_load_dword v4, off, s[0:3], s33 offset:276 ; 4-byte Folded Reload
	buffer_load_dword v5, off, s[0:3], s33 offset:280 ; 4-byte Folded Reload
	s_waitcnt vmcnt(0)
	ds_write_b64 v0, v[4:5]
.LBB2_39:
	s_or_b64 exec, exec, s[10:11]
	buffer_load_dword v4, off, s[0:3], s33 offset:276 ; 4-byte Folded Reload
	buffer_load_dword v5, off, s[0:3], s33 offset:280 ; 4-byte Folded Reload
	s_waitcnt vmcnt(0)
	flat_load_dwordx2 v[20:21], v[4:5] offset:56
	s_waitcnt vmcnt(0) lgkmcnt(0)
	flat_load_dwordx2 v[26:27], v[20:21] glc
	flat_load_dword v1, v[4:5] offset:72
	s_nop 0
	flat_load_dwordx2 v[4:5], v[4:5] offset:16
	s_waitcnt vmcnt(0) lgkmcnt(0)
	buffer_store_dword v1, off, s[0:3], s33 offset:104 ; 4-byte Folded Spill
	buffer_store_dword v4, off, s[0:3], s33 offset:72 ; 4-byte Folded Spill
	s_nop 0
	buffer_store_dword v5, off, s[0:3], s33 offset:76 ; 4-byte Folded Spill
.LBB2_40:
	s_or_b64 exec, exec, s[6:7]
.LBB2_41:
	s_or_b64 exec, exec, s[4:5]
	buffer_load_dword v1, off, s[0:3], s33 offset:128 ; 4-byte Folded Reload
	s_waitcnt vmcnt(0)
	v_cmp_eq_u32_e64 s[4:5], 0, v1
	s_and_saveexec_b64 s[6:7], s[4:5]
	s_cbranch_execz .LBB2_43
; %bb.42:
	flat_load_dwordx2 v[4:5], v[2:3] offset:32
	v_mov_b32_e32 v6, v12
	v_mov_b32_e32 v7, v13
	;; [unrolled: 1-line block ×4, first 2 shown]
	ds_write2_b64 v0, v[6:7], v[8:9] offset1:1
	s_trap 2
	s_waitcnt vmcnt(0) lgkmcnt(0)
	ds_write_b64 v0, v[4:5]
	ds_write_b64 v0, v[29:30]
.LBB2_43:
	s_or_b64 exec, exec, s[6:7]
	buffer_load_dword v4, off, s[0:3], s33 offset:244 ; 4-byte Folded Reload
	buffer_load_dword v5, off, s[0:3], s33 offset:248 ; 4-byte Folded Reload
	;; [unrolled: 1-line block ×4, first 2 shown]
	v_mov_b32_e32 v12, 0
	v_mov_b32_e32 v13, 0
	s_waitcnt vmcnt(0)
	v_cmp_lt_i64_e32 vcc, 0, v[4:5]
	s_mov_b64 s[6:7], exec
                                        ; implicit-def: $vgpr62 : SGPR spill to VGPR lane
	v_writelane_b32 v62, s6, 0
	v_writelane_b32 v62, s7, 1
	s_and_b64 s[6:7], s[6:7], vcc
	s_mov_b64 exec, s[6:7]
	s_cbranch_execnz .LBB2_44
; %bb.9011:
	s_getpc_b64 s[98:99]
.Lpost_getpc1:
	s_add_u32 s98, s98, (.LBB2_8972-.Lpost_getpc1)&4294967295
	s_addc_u32 s99, s99, (.LBB2_8972-.Lpost_getpc1)>>32
	s_setpc_b64 s[98:99]
.LBB2_44:
	v_mov_b32_e32 v29, 0
	v_and_b32_e32 v4, 0x3ffffe00, v28
	v_mov_b32_e32 v5, v29
	buffer_store_dword v4, off, s[0:3], s33 offset:188 ; 4-byte Folded Spill
	s_nop 0
	buffer_store_dword v5, off, s[0:3], s33 offset:192 ; 4-byte Folded Spill
	s_ashr_i32 s67, s66, 31
	s_add_u32 s68, s66, -1
	s_addc_u32 s69, s67, -1
	s_add_i32 s70, s66, s66
	flat_load_dword v1, v[2:3] offset:4
	v_and_b32_e32 v2, 63, v31
	buffer_load_dword v3, off, s[0:3], s33 offset:128 ; 4-byte Folded Reload
	v_cmp_ne_u32_sdwa s[58:59], v16, v14 src0_sel:DWORD src1_sel:WORD_0
	buffer_store_dword v31, off, s[0:3], s33 offset:288 ; 4-byte Folded Spill
	s_movk_i32 s26, 0x400
	v_and_b32_e32 v10, 0x3fc0, v16
	v_writelane_b32 v62, s28, 2
	s_mov_b32 s56, -1
	v_mov_b32_e32 v12, 0
	v_mov_b32_e32 v18, 0
	v_writelane_b32 v62, s29, 3
	s_mov_b32 s57, 0xffffff
	v_cmp_eq_u32_e64 s[10:11], 64, v16
	s_mov_b64 s[60:61], 0
	v_mov_b32_e32 v13, 0
	s_movk_i32 s85, 0x7f
	s_movk_i32 s86, 0xff
	;; [unrolled: 1-line block ×3, first 2 shown]
	s_mov_b64 s[76:77], 0x7f800000
	s_mov_b64 s[78:79], 0x43e00001
	s_movk_i32 s96, 0x7a
	s_mov_b64 s[88:89], 0xffffff
	s_movk_i32 s97, 0xffc0
	s_movk_i32 s46, 0x108
	v_bfrev_b32_e32 v17, 60
	v_mov_b32_e32 v36, 0x78
	v_mov_b32_e32 v37, 0xffffff82
	;; [unrolled: 1-line block ×3, first 2 shown]
	v_mad_i64_i32 v[6:7], s[6:7], v4, s66, 0
	s_not_b32 s6, s66
	s_cmp_gt_i32 s66, 0
	s_cselect_b32 s6, s6, -1
	s_add_i32 s71, s6, s70
	s_ashr_i32 s6, s12, 31
	s_lshr_b32 s6, s6, 25
	s_add_i32 s12, s12, s6
	v_cmp_eq_u32_e64 s[6:7], 0, v2
	buffer_load_dword v2, off, s[0:3], s33 offset:104 ; 4-byte Folded Reload
	s_waitcnt vmcnt(0)
	v_and_b32_e32 v8, 63, v3
	v_cmp_lt_u32_e64 s[16:17], v8, v0
	v_cmp_le_u32_e64 s[24:25], v8, v0
	v_lshlrev_b32_e32 v0, 4, v3
	s_waitcnt lgkmcnt(0)
	v_and_b32_e32 v1, 1, v1
	v_cmp_eq_u32_e64 s[18:19], 1, v1
	v_lshrrev_b32_e32 v9, 6, v3
	v_cmp_ge_u32_e32 vcc, v3, v16
	s_ashr_i32 s80, s71, 31
	s_ashr_i32 s81, s12, 7
	s_cmp_gt_i32 s66, 2
	s_cselect_b64 s[62:63], -1, 0
	s_xor_b64 s[72:73], s[18:19], -1
	v_cmp_ne_u32_e64 s[12:13], 64, v16
	v_cmp_eq_u32_e64 s[14:15], 0, v8
	v_ashrrev_i32_e32 v2, 31, v2
	buffer_store_dword v2, off, s[0:3], s33 offset:124 ; 4-byte Folded Spill
	s_trap 2
	buffer_store_dword v14, off, s[0:3], s33 offset:292 ; 4-byte Folded Spill
	v_lshrrev_b32_e32 v14, 6, v16
	v_lshlrev_b32_e32 v15, 10, v14
	buffer_store_dword v16, off, s[0:3], s33 offset:284 ; 4-byte Folded Spill
	buffer_load_dword v4, off, s[0:3], s33 offset:96 ; 4-byte Folded Reload
	buffer_load_dword v5, off, s[0:3], s33 offset:100 ; 4-byte Folded Reload
	v_lshlrev_b32_e32 v2, 4, v8
	buffer_store_dword v0, off, s[0:3], s33 offset:148 ; 4-byte Folded Spill
	v_add_u32_e32 v0, 0xfffffc00, v15
	v_ashrrev_i32_e32 v1, 31, v0
	v_add_co_u32_e64 v0, s[26:27], s26, v0
	buffer_store_dword v8, off, s[0:3], s33 offset:176 ; 4-byte Folded Spill
	buffer_store_dword v0, off, s[0:3], s33 offset:64 ; 4-byte Folded Spill
	;; [unrolled: 1-line block ×3, first 2 shown]
	v_addc_co_u32_e64 v0, s[26:27], 0, v1, s[26:27]
	buffer_store_dword v0, off, s[0:3], s33 offset:68 ; 4-byte Folded Spill
	buffer_store_dword v10, off, s[0:3], s33 offset:56 ; 4-byte Folded Spill
	v_subrev_u32_e32 v0, 64, v10
	v_ashrrev_i32_e32 v1, 31, v0
	buffer_store_dword v0, off, s[0:3], s33 offset:108 ; 4-byte Folded Spill
	v_add_co_u32_e64 v0, s[26:27], 64, v0
	buffer_store_dword v0, off, s[0:3], s33 offset:116 ; 4-byte Folded Spill
	buffer_store_dword v1, off, s[0:3], s33 offset:112 ; 4-byte Folded Spill
	v_addc_co_u32_e64 v0, s[26:27], 0, v1, s[26:27]
	buffer_store_dword v0, off, s[0:3], s33 offset:120 ; 4-byte Folded Spill
	v_lshl_or_b32 v0, v9, 11, v2
	v_mov_b32_e32 v1, v29
	buffer_store_dword v9, off, s[0:3], s33 offset:152 ; 4-byte Folded Spill
	buffer_store_dword v0, off, s[0:3], s33 offset:212 ; 4-byte Folded Spill
	s_nop 0
	buffer_store_dword v1, off, s[0:3], s33 offset:216 ; 4-byte Folded Spill
	buffer_load_dword v0, off, s[0:3], s33 offset:244 ; 4-byte Folded Reload
	s_nop 0
	buffer_load_dword v1, off, s[0:3], s33 offset:248 ; 4-byte Folded Reload
	buffer_load_dword v2, off, s[0:3], s33 offset:252 ; 4-byte Folded Reload
	buffer_load_dword v3, off, s[0:3], s33 offset:256 ; 4-byte Folded Reload
	s_add_i32 s26, s66, 1
	s_cmp_ge_i32 s26, s66
	s_cselect_b32 s27, s66, 0
	s_sub_i32 s82, s26, s27
	v_lshlrev_b32_e32 v32, 9, v14
	s_ashr_i32 s83, s82, 31
	s_add_i32 s84, s66, -2
	s_xor_b64 s[74:75], vcc, -1
	buffer_store_dword v6, off, s[0:3], s33 offset:268 ; 4-byte Folded Spill
	s_nop 0
	buffer_store_dword v7, off, s[0:3], s33 offset:272 ; 4-byte Folded Spill
	s_waitcnt vmcnt(19)
	v_cmp_eq_u64_e64 s[20:21], 0, v[4:5]
	v_cmp_ne_u64_e64 s[22:23], 0, v[4:5]
	v_mov_b32_e32 v4, 0x7f800001
	s_branch .LBB2_47
.LBB2_45:                               ;   in Loop: Header=BB2_47 Depth=1
	s_or_b64 exec, exec, s[40:41]
.LBB2_46:                               ;   in Loop: Header=BB2_47 Depth=1
	s_or_b64 exec, exec, s[28:29]
	buffer_load_dword v6, off, s[0:3], s33 offset:268 ; 4-byte Folded Reload
	buffer_load_dword v7, off, s[0:3], s33 offset:272 ; 4-byte Folded Reload
	;; [unrolled: 1-line block ×8, first 2 shown]
	s_waitcnt vmcnt(0)
	v_add_co_u32_e32 v18, vcc, v18, v6
	v_addc_co_u32_e32 v19, vcc, v19, v7, vcc
	v_cmp_ge_i64_e32 vcc, v[18:19], v[0:1]
	s_or_b64 s[60:61], vcc, s[60:61]
	s_andn2_b64 exec, exec, s[60:61]
	s_cbranch_execnz .LBB2_47
; %bb.9013:
	s_getpc_b64 s[98:99]
.Lpost_getpc2:
	s_add_u32 s98, s98, (.LBB2_8971-.Lpost_getpc2)&4294967295
	s_addc_u32 s99, s99, (.LBB2_8971-.Lpost_getpc2)>>32
	s_setpc_b64 s[98:99]
.LBB2_47:                               ; =>This Loop Header: Depth=1
                                        ;     Child Loop BB2_57 Depth 2
                                        ;       Child Loop BB2_65 Depth 3
                                        ;       Child Loop BB2_89 Depth 3
	;; [unrolled: 1-line block ×9, first 2 shown]
                                        ;     Child Loop BB2_1515 Depth 2
                                        ;       Child Loop BB2_1521 Depth 3
                                        ;       Child Loop BB2_1545 Depth 3
	;; [unrolled: 1-line block ×3, first 2 shown]
                                        ;     Child Loop BB2_1587 Depth 2
                                        ;       Child Loop BB2_1590 Depth 3
                                        ;         Child Loop BB2_1598 Depth 4
                                        ;         Child Loop BB2_1626 Depth 4
                                        ;         Child Loop BB2_1645 Depth 4
                                        ;         Child Loop BB2_1668 Depth 4
                                        ;         Child Loop BB2_2481 Depth 4
                                        ;         Child Loop BB2_3295 Depth 4
                                        ;         Child Loop BB2_3769 Depth 4
                                        ;         Child Loop BB2_3840 Depth 4
                                        ;         Child Loop BB2_3863 Depth 4
                                        ;       Child Loop BB2_3882 Depth 3
                                        ;         Child Loop BB2_3888 Depth 4
                                        ;         Child Loop BB2_3916 Depth 4
	;; [unrolled: 1-line block ×3, first 2 shown]
                                        ;     Child Loop BB2_3957 Depth 2
                                        ;       Child Loop BB2_3965 Depth 3
                                        ;       Child Loop BB2_3993 Depth 3
                                        ;       Child Loop BB2_4012 Depth 3
                                        ;       Child Loop BB2_4035 Depth 3
                                        ;         Child Loop BB2_4824 Depth 4
                                        ;       Child Loop BB2_4850 Depth 3
                                        ;         Child Loop BB2_5639 Depth 4
                                        ;       Child Loop BB2_5667 Depth 3
                                        ;       Child Loop BB2_6140 Depth 3
                                        ;         Child Loop BB2_6204 Depth 4
                                        ;       Child Loop BB2_6217 Depth 3
                                        ;       Child Loop BB2_7030 Depth 3
	;; [unrolled: 1-line block ×6, first 2 shown]
                                        ;     Child Loop BB2_8431 Depth 2
                                        ;       Child Loop BB2_8437 Depth 3
                                        ;       Child Loop BB2_8465 Depth 3
	;; [unrolled: 1-line block ×3, first 2 shown]
                                        ;     Child Loop BB2_8507 Depth 2
                                        ;       Child Loop BB2_8510 Depth 3
                                        ;         Child Loop BB2_8518 Depth 4
                                        ;         Child Loop BB2_8546 Depth 4
	;; [unrolled: 1-line block ×4, first 2 shown]
                                        ;           Child Loop BB2_8589 Depth 5
                                        ;         Child Loop BB2_8595 Depth 4
                                        ;           Child Loop BB2_8596 Depth 5
                                        ;         Child Loop BB2_8603 Depth 4
                                        ;         Child Loop BB2_8608 Depth 4
                                        ;           Child Loop BB2_8609 Depth 5
                                        ;         Child Loop BB2_8621 Depth 4
                                        ;         Child Loop BB2_8626 Depth 4
	;; [unrolled: 1-line block ×6, first 2 shown]
                                        ;       Child Loop BB2_8688 Depth 3
                                        ;         Child Loop BB2_8694 Depth 4
                                        ;         Child Loop BB2_8722 Depth 4
	;; [unrolled: 1-line block ×3, first 2 shown]
                                        ;     Child Loop BB2_8767 Depth 2
                                        ;       Child Loop BB2_8775 Depth 3
                                        ;       Child Loop BB2_8799 Depth 3
	;; [unrolled: 1-line block ×9, first 2 shown]
                                        ;     Child Loop BB2_8905 Depth 2
                                        ;       Child Loop BB2_8911 Depth 3
                                        ;       Child Loop BB2_8935 Depth 3
	;; [unrolled: 1-line block ×3, first 2 shown]
	s_waitcnt vmcnt(0)
	v_sub_co_u32_e32 v0, vcc, v0, v18
	s_waitcnt vmcnt(4)
	v_subb_co_u32_e32 v1, vcc, v1, v19, vcc
	buffer_store_dword v0, off, s[0:3], s33 offset:180 ; 4-byte Folded Spill
	s_nop 0
	buffer_store_dword v1, off, s[0:3], s33 offset:184 ; 4-byte Folded Spill
	v_cmp_lt_i64_e32 vcc, v[0:1], v[6:7]
	s_and_saveexec_b64 s[28:29], vcc
	s_cbranch_execz .LBB2_53
; %bb.48:                               ;   in Loop: Header=BB2_47 Depth=1
	buffer_load_dword v2, off, s[0:3], s33 offset:180 ; 4-byte Folded Reload
	buffer_load_dword v3, off, s[0:3], s33 offset:184 ; 4-byte Folded Reload
	v_mov_b32_e32 v1, s69
                                        ; implicit-def: $vgpr8_vgpr9
	s_waitcnt vmcnt(0)
	v_add_co_u32_e32 v0, vcc, s68, v2
	s_waitcnt vmcnt(0)
	v_addc_co_u32_e32 v1, vcc, v1, v3, vcc
	v_or_b32_e32 v3, s67, v1
	v_mov_b32_e32 v2, v29
	v_cmp_ne_u64_e32 vcc, 0, v[2:3]
	s_and_saveexec_b64 s[26:27], vcc
	s_xor_b64 s[40:41], exec, s[26:27]
	s_cbranch_execz .LBB2_50
; %bb.49:                               ;   in Loop: Header=BB2_47 Depth=1
	s_ashr_i32 s42, s67, 31
	s_add_u32 s26, s66, s42
	s_mov_b32 s43, s42
	s_addc_u32 s27, s67, s42
	s_xor_b64 s[90:91], s[26:27], s[42:43]
	v_cvt_f32_u32_e32 v2, s90
	v_cvt_f32_u32_e32 v3, s91
	s_sub_u32 s43, 0, s90
	s_subb_u32 s44, 0, s91
	v_ashrrev_i32_e32 v5, 31, v1
	v_mac_f32_e32 v2, 0x4f800000, v3
	v_rcp_f32_e32 v2, v2
	v_add_co_u32_e32 v0, vcc, v0, v5
	v_xor_b32_e32 v6, v0, v5
	v_mul_f32_e32 v2, 0x5f7ffffc, v2
	v_mul_f32_e32 v3, 0x2f800000, v2
	v_trunc_f32_e32 v3, v3
	v_mac_f32_e32 v2, 0xcf800000, v3
	v_cvt_u32_f32_e32 v3, v3
	v_cvt_u32_f32_e32 v2, v2
	v_readfirstlane_b32 s45, v3
	v_readfirstlane_b32 s26, v2
	s_mul_i32 s27, s43, s45
	s_mul_hi_u32 s92, s43, s26
	s_mul_i32 s47, s44, s26
	s_add_i32 s27, s92, s27
	s_add_i32 s27, s27, s47
	s_mul_i32 s93, s43, s26
	s_mul_i32 s92, s26, s27
	s_mul_hi_u32 s94, s26, s93
	s_mul_hi_u32 s47, s26, s27
	s_add_u32 s92, s94, s92
	s_addc_u32 s47, 0, s47
	s_mul_hi_u32 s95, s45, s93
	s_mul_i32 s93, s45, s93
	s_add_u32 s92, s92, s93
	s_mul_hi_u32 s94, s45, s27
	s_addc_u32 s47, s47, s95
	s_addc_u32 s92, s94, 0
	s_mul_i32 s27, s45, s27
	s_add_u32 s27, s47, s27
	s_addc_u32 s47, 0, s92
	s_add_u32 s92, s26, s27
	s_cselect_b64 s[26:27], -1, 0
	s_cmp_lg_u64 s[26:27], 0
	s_addc_u32 s45, s45, s47
	s_mul_i32 s26, s43, s45
	s_mul_hi_u32 s27, s43, s92
	s_add_i32 s26, s27, s26
	s_mul_i32 s44, s44, s92
	s_add_i32 s26, s26, s44
	s_mul_i32 s43, s43, s92
	s_mul_hi_u32 s44, s45, s43
	s_mul_i32 s47, s45, s43
	s_mul_i32 s94, s92, s26
	s_mul_hi_u32 s43, s92, s43
	s_mul_hi_u32 s93, s92, s26
	s_add_u32 s43, s43, s94
	s_addc_u32 s93, 0, s93
	s_add_u32 s43, s43, s47
	s_mul_hi_u32 s27, s45, s26
	s_addc_u32 s43, s93, s44
	s_addc_u32 s27, s27, 0
	s_mul_i32 s26, s45, s26
	s_add_u32 s26, s43, s26
	s_addc_u32 s43, 0, s27
	s_add_u32 s44, s92, s26
	s_cselect_b64 s[26:27], -1, 0
	s_cmp_lg_u64 s[26:27], 0
	s_addc_u32 s43, s45, s43
	v_addc_co_u32_e32 v2, vcc, v1, v5, vcc
	v_mad_u64_u32 v[0:1], s[26:27], v6, s43, 0
	v_mul_hi_u32 v3, v6, s44
	v_xor_b32_e32 v7, v2, v5
	v_add_co_u32_e32 v8, vcc, v3, v0
	v_addc_co_u32_e32 v9, vcc, 0, v1, vcc
	v_mad_u64_u32 v[0:1], s[26:27], v7, s44, 0
	v_mad_u64_u32 v[2:3], s[26:27], v7, s43, 0
	v_add_co_u32_e32 v0, vcc, v8, v0
	v_addc_co_u32_e32 v0, vcc, v9, v1, vcc
	v_addc_co_u32_e32 v1, vcc, 0, v3, vcc
	v_add_co_u32_e32 v2, vcc, v0, v2
	v_addc_co_u32_e32 v3, vcc, 0, v1, vcc
	v_mul_lo_u32 v8, s91, v2
	v_mul_lo_u32 v9, s90, v3
	v_mad_u64_u32 v[0:1], s[26:27], s90, v2, 0
	v_add3_u32 v1, v1, v9, v8
	v_sub_u32_e32 v8, v7, v1
	v_mov_b32_e32 v9, s91
	v_sub_co_u32_e32 v0, vcc, v6, v0
	v_subb_co_u32_e64 v6, s[26:27], v8, v9, vcc
	v_subrev_co_u32_e64 v8, s[26:27], s90, v0
	v_subbrev_co_u32_e64 v6, s[26:27], 0, v6, s[26:27]
	v_cmp_le_u32_e64 s[26:27], s91, v6
	v_cndmask_b32_e64 v9, 0, -1, s[26:27]
	v_cmp_le_u32_e64 s[26:27], s90, v8
	v_cndmask_b32_e64 v8, 0, -1, s[26:27]
	v_cmp_eq_u32_e64 s[26:27], s91, v6
	v_cndmask_b32_e64 v6, v9, v8, s[26:27]
	v_add_co_u32_e64 v8, s[26:27], 2, v2
	v_subb_co_u32_e32 v1, vcc, v7, v1, vcc
	v_addc_co_u32_e64 v9, s[26:27], 0, v3, s[26:27]
	v_cmp_le_u32_e32 vcc, s91, v1
	v_add_co_u32_e64 v10, s[26:27], 1, v2
	v_cndmask_b32_e64 v7, 0, -1, vcc
	v_cmp_le_u32_e32 vcc, s90, v0
	v_addc_co_u32_e64 v11, s[26:27], 0, v3, s[26:27]
	v_cndmask_b32_e64 v0, 0, -1, vcc
	v_cmp_eq_u32_e32 vcc, s91, v1
	v_cmp_ne_u32_e64 s[26:27], 0, v6
	v_cndmask_b32_e32 v0, v7, v0, vcc
	v_cmp_ne_u32_e32 vcc, 0, v0
	v_cndmask_b32_e64 v1, v10, v8, s[26:27]
	v_cndmask_b32_e64 v6, v11, v9, s[26:27]
	v_cndmask_b32_e32 v1, v2, v1, vcc
	v_xor_b32_e32 v2, s42, v5
	v_cndmask_b32_e32 v0, v3, v6, vcc
	v_xor_b32_e32 v1, v1, v2
	v_xor_b32_e32 v0, v0, v2
	v_sub_co_u32_e32 v8, vcc, v1, v2
	v_subb_co_u32_e32 v9, vcc, v0, v2, vcc
                                        ; implicit-def: $vgpr0
.LBB2_50:                               ;   in Loop: Header=BB2_47 Depth=1
	s_andn2_saveexec_b64 s[40:41], s[40:41]
	s_cbranch_execz .LBB2_52
; %bb.51:                               ;   in Loop: Header=BB2_47 Depth=1
	v_cvt_f32_u32_e32 v1, s66
	s_sub_i32 s26, 0, s66
	v_mov_b32_e32 v9, v29
	v_rcp_iflag_f32_e32 v1, v1
	v_mul_f32_e32 v1, 0x4f7ffffe, v1
	v_cvt_u32_f32_e32 v1, v1
	v_mul_lo_u32 v2, s26, v1
	v_mul_hi_u32 v2, v1, v2
	v_add_u32_e32 v1, v1, v2
	v_mul_hi_u32 v1, v0, v1
	v_mul_lo_u32 v2, v1, s66
	v_sub_u32_e32 v0, v0, v2
	v_cmp_le_u32_e32 vcc, s66, v0
	v_subrev_u32_e32 v2, s66, v0
	v_cndmask_b32_e32 v0, v0, v2, vcc
	v_cmp_le_u32_e64 s[26:27], s66, v0
	v_add_u32_e32 v0, 1, v1
	v_cndmask_b32_e32 v0, v1, v0, vcc
	v_add_u32_e32 v1, 1, v0
	v_cndmask_b32_e64 v8, v0, v1, s[26:27]
.LBB2_52:                               ;   in Loop: Header=BB2_47 Depth=1
	s_or_b64 exec, exec, s[40:41]
	v_add_co_u32_e32 v0, vcc, 15, v8
	v_addc_co_u32_e32 v1, vcc, 0, v9, vcc
	v_and_b32_e32 v0, -16, v0
	buffer_store_dword v0, off, s[0:3], s33 offset:188 ; 4-byte Folded Spill
	s_nop 0
	buffer_store_dword v1, off, s[0:3], s33 offset:192 ; 4-byte Folded Spill
.LBB2_53:                               ;   in Loop: Header=BB2_47 Depth=1
	s_or_b64 exec, exec, s[28:29]
	buffer_load_dword v2, off, s[0:3], s33 offset:188 ; 4-byte Folded Reload
	buffer_load_dword v3, off, s[0:3], s33 offset:192 ; 4-byte Folded Reload
	v_mov_b32_e32 v49, 0
	s_waitcnt vmcnt(0)
	v_mul_lo_u32 v1, v2, s80
	s_waitcnt vmcnt(0)
	v_mul_lo_u32 v0, v3, s71
	v_mad_u64_u32 v[5:6], s[26:27], v2, s71, 0
	v_add3_u32 v6, v6, v1, v0
	buffer_load_dword v0, off, s[0:3], s33 offset:260 ; 4-byte Folded Reload
	buffer_load_dword v1, off, s[0:3], s33 offset:264 ; 4-byte Folded Reload
	s_waitcnt vmcnt(0)
	v_add_co_u32_e32 v0, vcc, v18, v0
	buffer_store_dword v0, off, s[0:3], s33 offset:132 ; 4-byte Folded Spill
	buffer_store_dword v18, off, s[0:3], s33 offset:236 ; 4-byte Folded Spill
	s_nop 0
	buffer_store_dword v19, off, s[0:3], s33 offset:240 ; 4-byte Folded Spill
	s_waitcnt vmcnt(3)
	v_addc_co_u32_e32 v0, vcc, v19, v1, vcc
	buffer_store_dword v0, off, s[0:3], s33 offset:136 ; 4-byte Folded Spill
	buffer_load_dword v0, off, s[0:3], s33 offset:180 ; 4-byte Folded Reload
	s_nop 0
	buffer_load_dword v1, off, s[0:3], s33 offset:184 ; 4-byte Folded Reload
	s_waitcnt vmcnt(0)
	v_sub_co_u32_e32 v0, vcc, v0, v5
	buffer_store_dword v5, off, s[0:3], s33 offset:224 ; 4-byte Folded Spill
	s_nop 0
	buffer_store_dword v6, off, s[0:3], s33 offset:228 ; 4-byte Folded Spill
	s_waitcnt vmcnt(2)
	v_subb_co_u32_e32 v1, vcc, v1, v6, vcc
	v_cmp_lt_i64_e32 vcc, v[2:3], v[0:1]
	v_cndmask_b32_e32 v1, v0, v2, vcc
	v_max_i32_e32 v7, 0, v1
	v_add_u32_e32 v2, 31, v7
	v_lshrrev_b32_e32 v2, 1, v2
	v_and_b32_e32 v2, 0x3ffffff0, v2
	v_cmp_lt_i32_e32 vcc, 0, v1
	v_mov_b32_e32 v0, 0
	v_max_i32_e32 v5, s81, v2
	s_and_b64 s[26:27], s[74:75], vcc
	s_and_saveexec_b64 s[40:41], s[26:27]
	s_cbranch_execz .LBB2_1511
; %bb.54:                               ;   in Loop: Header=BB2_47 Depth=1
	s_mov_b32 s44, 1
	s_mov_b64 s[90:91], -1
	v_mov_b32_e32 v49, 0
	s_mov_b64 s[42:43], 0
	buffer_store_dword v7, off, s[0:3], s33 offset:220 ; 4-byte Folded Spill
	s_branch .LBB2_57
.LBB2_55:                               ;   in Loop: Header=BB2_57 Depth=2
	s_or_b64 exec, exec, s[28:29]
	v_add_co_u32_e32 v38, vcc, 2, v38
	v_addc_co_u32_e32 v39, vcc, 0, v39, vcc
	flat_store_dwordx2 v[20:21], v[38:39]
.LBB2_56:                               ;   in Loop: Header=BB2_57 Depth=2
	s_or_b64 exec, exec, s[26:27]
	s_waitcnt vmcnt(0)
	v_add_u32_e32 v49, v5, v49
	v_cmp_ge_i32_e32 vcc, v49, v7
	s_xor_b64 s[26:27], s[90:91], -1
	s_or_b64 s[26:27], s[26:27], vcc
	s_and_b64 s[26:27], exec, s[26:27]
	s_or_b64 s[42:43], s[26:27], s[42:43]
	s_mov_b64 s[90:91], 0
	v_mov_b32_e32 v0, s44
	s_mov_b32 s44, 2
	s_andn2_b64 exec, exec, s[42:43]
	s_cbranch_execz .LBB2_1510
.LBB2_57:                               ;   Parent Loop BB2_47 Depth=1
                                        ; =>  This Loop Header: Depth=2
                                        ;       Child Loop BB2_65 Depth 3
                                        ;       Child Loop BB2_89 Depth 3
	;; [unrolled: 1-line block ×9, first 2 shown]
	s_and_saveexec_b64 s[26:27], s[4:5]
	s_cbranch_execz .LBB2_59
; %bb.58:                               ;   in Loop: Header=BB2_57 Depth=2
	s_trap 2
	buffer_load_dword v2, off, s[0:3], s33 offset:132 ; 4-byte Folded Reload
	ds_read_b64 v[0:1], v0
	s_waitcnt vmcnt(0) lgkmcnt(0)
	v_add_co_u32_e32 v0, vcc, v0, v2
	buffer_load_dword v2, off, s[0:3], s33 offset:136 ; 4-byte Folded Reload
	s_waitcnt vmcnt(0)
	v_addc_co_u32_e32 v1, vcc, v1, v2, vcc
	buffer_load_dword v2, off, s[0:3], s33 offset:224 ; 4-byte Folded Reload
	buffer_load_dword v3, off, s[0:3], s33 offset:228 ; 4-byte Folded Reload
	s_waitcnt vmcnt(1)
	v_add_co_u32_e32 v0, vcc, v0, v2
	s_waitcnt vmcnt(0)
	v_addc_co_u32_e32 v1, vcc, v1, v3, vcc
	v_ashrrev_i32_e32 v2, 31, v49
	v_add_co_u32_e32 v0, vcc, v0, v49
	v_addc_co_u32_e32 v1, vcc, v1, v2, vcc
	ds_write_b64 v0, v[0:1]
	v_mov_b32_e32 v0, v29
	v_mov_b32_e32 v1, v29
	ds_write_b64 v0, v[0:1]
.LBB2_59:                               ;   in Loop: Header=BB2_57 Depth=2
	s_or_b64 exec, exec, s[26:27]
	v_sub_u32_e32 v0, v7, v49
	v_min_i32_e32 v5, v5, v0
	v_and_b32_e32 v0, 8, v61
	v_cmp_ne_u32_e32 vcc, 0, v0
	s_and_saveexec_b64 s[28:29], vcc
	s_cbranch_execz .LBB2_81
; %bb.60:                               ;   in Loop: Header=BB2_57 Depth=2
	s_waitcnt lgkmcnt(0)
	v_add_co_u32_e32 v0, vcc, 8, v26
	v_addc_co_u32_e32 v1, vcc, 0, v27, vcc
	v_add_co_u32_e32 v8, vcc, 2, v38
	v_addc_co_u32_e32 v9, vcc, 0, v39, vcc
	v_cmp_lt_u64_e32 vcc, v[0:1], v[8:9]
	s_and_saveexec_b64 s[92:93], vcc
	s_cbranch_execz .LBB2_72
; %bb.61:                               ;   in Loop: Header=BB2_57 Depth=2
	v_and_b32_e32 v0, 64, v61
	s_mov_b32 s45, 0
	v_cmp_eq_u32_e32 vcc, 0, v0
	s_mov_b64 s[94:95], 0
                                        ; implicit-def: $sgpr30_sgpr31
                                        ; implicit-def: $sgpr34_sgpr35
                                        ; implicit-def: $sgpr36_sgpr37
	s_branch .LBB2_65
.LBB2_62:                               ;   in Loop: Header=BB2_65 Depth=3
	s_waitcnt vmcnt(0) lgkmcnt(0)
	v_add_co_u32_e64 v1, s[26:27], 8, v26
	v_addc_co_u32_e64 v2, s[26:27], 0, v27, s[26:27]
	v_cmp_ge_u64_e64 s[26:27], v[1:2], v[8:9]
	s_or_b64 s[50:51], s[50:51], exec
	s_orn2_b64 s[48:49], s[26:27], exec
.LBB2_63:                               ;   in Loop: Header=BB2_65 Depth=3
	s_or_b64 exec, exec, s[54:55]
	s_andn2_b64 s[26:27], s[36:37], exec
	s_and_b64 s[36:37], s[50:51], exec
	s_or_b64 s[36:37], s[26:27], s[36:37]
	s_andn2_b64 s[26:27], s[34:35], exec
	s_and_b64 s[34:35], s[48:49], exec
	s_or_b64 s[34:35], s[26:27], s[34:35]
.LBB2_64:                               ;   in Loop: Header=BB2_65 Depth=3
	s_or_b64 exec, exec, s[38:39]
	s_and_b64 s[26:27], exec, s[34:35]
	s_or_b64 s[94:95], s[26:27], s[94:95]
	s_andn2_b64 s[26:27], s[30:31], exec
	s_and_b64 s[30:31], s[36:37], exec
	s_or_b64 s[30:31], s[26:27], s[30:31]
	s_andn2_b64 exec, exec, s[94:95]
	s_cbranch_execz .LBB2_69
.LBB2_65:                               ;   Parent Loop BB2_47 Depth=1
                                        ;     Parent Loop BB2_57 Depth=2
                                        ; =>    This Inner Loop Header: Depth=3
	s_sleep 1
	s_waitcnt vmcnt(0) lgkmcnt(0)
	flat_load_dwordx2 v[26:27], v[20:21] glc
	s_or_b64 s[36:37], s[36:37], exec
	s_or_b64 s[34:35], s[34:35], exec
                                        ; implicit-def: $vgpr0
	s_and_saveexec_b64 s[38:39], vcc
	s_cbranch_execz .LBB2_64
; %bb.66:                               ;   in Loop: Header=BB2_65 Depth=3
	s_cmpk_lt_i32 s45, 0x270f
	s_cselect_b64 s[52:53], -1, 0
	s_cmpk_gt_i32 s45, 0x270e
	s_mov_b64 s[48:49], -1
	s_cbranch_scc0 .LBB2_68
; %bb.67:                               ;   in Loop: Header=BB2_65 Depth=3
	s_trap 2
	ds_read_b64 v[0:1], v0
	s_andn2_b64 s[52:53], s[52:53], exec
	s_mov_b32 s45, 0
	s_mov_b64 s[50:51], 0
	s_waitcnt vmcnt(0) lgkmcnt(0)
	flat_load_dword v0, v[0:1] glc
	s_waitcnt vmcnt(0) lgkmcnt(0)
	buffer_wbinvl1_vol
	v_cmp_eq_u32_e64 s[26:27], 0, v0
	s_and_b64 s[26:27], s[26:27], exec
	s_or_b64 s[52:53], s[52:53], s[26:27]
	s_and_saveexec_b64 s[54:55], s[52:53]
	s_cbranch_execz .LBB2_63
	s_branch .LBB2_62
.LBB2_68:                               ;   in Loop: Header=BB2_65 Depth=3
	s_add_i32 s45, s45, 1
	s_mov_b64 s[50:51], -1
                                        ; implicit-def: $vgpr0
	s_and_saveexec_b64 s[54:55], s[52:53]
	s_cbranch_execz .LBB2_63
	s_branch .LBB2_62
.LBB2_69:                               ;   in Loop: Header=BB2_57 Depth=2
	s_or_b64 exec, exec, s[94:95]
	s_xor_b64 s[26:27], s[30:31], -1
	s_and_saveexec_b64 s[94:95], s[26:27]
	s_xor_b64 s[26:27], exec, s[94:95]
	s_cbranch_execz .LBB2_71
; %bb.70:                               ;   in Loop: Header=BB2_57 Depth=2
	v_or_b32_e32 v61, 64, v61
	s_waitcnt lgkmcnt(0)
	ds_write_b32 v0, v0
	s_trap 2
.LBB2_71:                               ;   in Loop: Header=BB2_57 Depth=2
	s_or_b64 exec, exec, s[26:27]
.LBB2_72:                               ;   in Loop: Header=BB2_57 Depth=2
	s_or_b64 exec, exec, s[92:93]
	v_and_b32_e32 v0, 0x100, v61
	v_cmp_ne_u32_e32 vcc, 0, v0
	v_and_b32_e32 v0, 7, v38
	s_mov_b64 s[26:27], -1
	;;#ASMSTART
	s_wakeup
	;;#ASMEND
                                        ; implicit-def: $vgpr10_vgpr11
	s_and_saveexec_b64 s[92:93], vcc
	s_cbranch_execz .LBB2_76
; %bb.73:                               ;   in Loop: Header=BB2_57 Depth=2
	buffer_load_dword v22, off, s[0:3], s33 offset:80 ; 4-byte Folded Reload
	buffer_load_dword v23, off, s[0:3], s33 offset:84 ; 4-byte Folded Reload
	;; [unrolled: 1-line block ×4, first 2 shown]
	v_ashrrev_i32_e32 v6, 31, v5
                                        ; implicit-def: $vgpr10_vgpr11
	s_waitcnt vmcnt(0)
	v_mad_u64_u32 v[38:39], s[26:27], v0, 24, v[22:23]
	flat_load_dword v1, v[38:39]
	s_nop 0
	flat_store_dwordx2 v[38:39], v[5:6] offset:8
	s_waitcnt vmcnt(0) lgkmcnt(0)
	v_cmp_ne_u32_e32 vcc, 1, v1
	v_cmp_eq_u32_e64 s[26:27], 1, v1
	s_and_saveexec_b64 s[94:95], s[26:27]
	s_cbranch_execz .LBB2_75
; %bb.74:                               ;   in Loop: Header=BB2_57 Depth=2
	flat_load_dword v10, v[38:39] offset:4 glc
	s_waitcnt vmcnt(0) lgkmcnt(0)
	v_ashrrev_i32_e32 v11, 31, v10
.LBB2_75:                               ;   in Loop: Header=BB2_57 Depth=2
	s_or_b64 exec, exec, s[94:95]
	s_orn2_b64 s[26:27], vcc, exec
.LBB2_76:                               ;   in Loop: Header=BB2_57 Depth=2
	s_or_b64 exec, exec, s[92:93]
	s_and_saveexec_b64 s[92:93], s[26:27]
	s_cbranch_execz .LBB2_78
; %bb.77:                               ;   in Loop: Header=BB2_57 Depth=2
	buffer_load_dword v1, off, s[0:3], s33 offset:104 ; 4-byte Folded Reload
	s_waitcnt vmcnt(0)
	v_mad_i64_i32 v[10:11], s[26:27], v0, v1, 0
.LBB2_78:                               ;   in Loop: Header=BB2_57 Depth=2
	s_or_b64 exec, exec, s[92:93]
	buffer_load_dword v0, off, s[0:3], s33 offset:72 ; 4-byte Folded Reload
	buffer_load_dword v1, off, s[0:3], s33 offset:76 ; 4-byte Folded Reload
	s_waitcnt vmcnt(0)
	v_add_co_u32_e32 v0, vcc, v0, v10
	v_addc_co_u32_e32 v1, vcc, v1, v11, vcc
	ds_write_b64 v0, v[0:1] offset:784
	v_and_b32_e32 v0, 0x2000, v61
	v_cmp_ne_u32_e32 vcc, 0, v0
	s_and_saveexec_b64 s[26:27], vcc
	s_cbranch_execz .LBB2_80
; %bb.79:                               ;   in Loop: Header=BB2_57 Depth=2
	ds_read_b64 v[0:1], v0 offset:872
	s_waitcnt lgkmcnt(0)
	v_add_co_u32_e32 v0, vcc, 1, v0
	v_addc_co_u32_e32 v1, vcc, 0, v1, vcc
	ds_write_b64 v0, v[0:1] offset:872
.LBB2_80:                               ;   in Loop: Header=BB2_57 Depth=2
	s_or_b64 exec, exec, s[26:27]
	v_mov_b32_e32 v39, v9
	v_mov_b32_e32 v38, v8
.LBB2_81:                               ;   in Loop: Header=BB2_57 Depth=2
	s_or_b64 exec, exec, s[28:29]
	s_and_saveexec_b64 s[26:27], s[12:13]
	s_cbranch_execz .LBB2_100
; %bb.82:                               ;   in Loop: Header=BB2_57 Depth=2
	s_and_saveexec_b64 s[28:29], s[58:59]
	s_xor_b64 s[28:29], exec, s[28:29]
	s_cbranch_execz .LBB2_97
; %bb.83:                               ;   in Loop: Header=BB2_57 Depth=2
	s_and_saveexec_b64 s[92:93], s[6:7]
	s_cbranch_execz .LBB2_96
; %bb.84:                               ;   in Loop: Header=BB2_57 Depth=2
	s_mov_b64 s[30:31], exec
	v_mbcnt_lo_u32_b32 v0, s30, 0
	v_mbcnt_hi_u32_b32 v0, s31, v0
	v_cmp_eq_u32_e32 vcc, 0, v0
	s_waitcnt vmcnt(0) lgkmcnt(0)
	buffer_wbinvl1_vol
	s_and_saveexec_b64 s[94:95], vcc
	s_cbranch_execz .LBB2_86
; %bb.85:                               ;   in Loop: Header=BB2_57 Depth=2
	s_bcnt1_i32_b64 s45, s[30:31]
	v_mov_b32_e32 v0, s45
	v_mov_b32_e32 v1, v29
	ds_add_u64 v0, v[0:1]
	s_trap 2
.LBB2_86:                               ;   in Loop: Header=BB2_57 Depth=2
	s_or_b64 exec, exec, s[94:95]
	s_trap 2
	ds_read_b64 v[0:1], v0
	s_waitcnt lgkmcnt(0)
	v_add_co_u32_e32 v12, vcc, v12, v14
	v_addc_co_u32_e32 v13, vcc, 0, v13, vcc
	v_cmp_lt_u64_e32 vcc, v[0:1], v[12:13]
	s_and_saveexec_b64 s[94:95], vcc
	s_cbranch_execz .LBB2_95
; %bb.87:                               ;   in Loop: Header=BB2_57 Depth=2
	s_mov_b32 s45, 0
	s_mov_b64 s[30:31], 0
                                        ; implicit-def: $sgpr34_sgpr35
                                        ; implicit-def: $sgpr36_sgpr37
	s_branch .LBB2_89
.LBB2_88:                               ;   in Loop: Header=BB2_89 Depth=3
	s_or_b64 exec, exec, s[48:49]
	s_and_b64 vcc, exec, vcc
	s_or_b64 s[30:31], vcc, s[30:31]
	s_andn2_b64 vcc, s[34:35], exec
	s_and_b64 s[34:35], s[36:37], exec
	s_or_b64 s[34:35], vcc, s[34:35]
	s_andn2_b64 exec, exec, s[30:31]
	s_cbranch_execz .LBB2_93
.LBB2_89:                               ;   Parent Loop BB2_47 Depth=1
                                        ;     Parent Loop BB2_57 Depth=2
                                        ; =>    This Inner Loop Header: Depth=3
	s_add_i32 s45, s45, 1
	s_cmpk_lg_i32 s45, 0x2710
	s_cselect_b64 s[38:39], -1, 0
	s_and_b64 vcc, exec, s[38:39]
	s_cbranch_vccz .LBB2_91
; %bb.90:                               ;   in Loop: Header=BB2_89 Depth=3
	s_mov_b64 vcc, -1
	s_or_b64 s[36:37], s[36:37], exec
	s_and_saveexec_b64 s[48:49], s[38:39]
	s_cbranch_execz .LBB2_88
	s_branch .LBB2_92
.LBB2_91:                               ;   in Loop: Header=BB2_89 Depth=3
	s_trap 2
	ds_read_b64 v[0:1], v0
	s_andn2_b64 s[38:39], s[38:39], exec
	s_mov_b32 s45, 0
	s_waitcnt lgkmcnt(0)
	flat_load_dword v0, v[0:1] glc
	s_waitcnt vmcnt(0) lgkmcnt(0)
	buffer_wbinvl1_vol
	v_cmp_eq_u32_e32 vcc, 0, v0
	s_and_b64 vcc, vcc, exec
	s_or_b64 s[38:39], s[38:39], vcc
	s_mov_b64 vcc, -1
	s_or_b64 s[36:37], s[36:37], exec
	s_and_saveexec_b64 s[48:49], s[38:39]
	s_cbranch_execz .LBB2_88
.LBB2_92:                               ;   in Loop: Header=BB2_89 Depth=3
	s_sleep 1
	s_trap 2
	ds_read_b64 v[0:1], v0
	s_waitcnt lgkmcnt(0)
	s_andn2_b64 s[36:37], s[36:37], exec
	v_cmp_ge_u64_e32 vcc, v[0:1], v[12:13]
	s_orn2_b64 vcc, vcc, exec
	s_branch .LBB2_88
.LBB2_93:                               ;   in Loop: Header=BB2_57 Depth=2
	s_or_b64 exec, exec, s[30:31]
	s_and_saveexec_b64 vcc, s[34:35]
	s_xor_b64 vcc, exec, vcc
	s_cbranch_execz .LBB2_95
; %bb.94:                               ;   in Loop: Header=BB2_57 Depth=2
	v_mov_b32_e32 v0, 1
	ds_write_b32 v0, v0
	s_trap 2
.LBB2_95:                               ;   in Loop: Header=BB2_57 Depth=2
	s_or_b64 exec, exec, s[94:95]
	;;#ASMSTART
	s_wakeup
	;;#ASMEND
.LBB2_96:                               ;   in Loop: Header=BB2_57 Depth=2
	s_or_b64 exec, exec, s[92:93]
.LBB2_97:                               ;   in Loop: Header=BB2_57 Depth=2
	s_andn2_saveexec_b64 s[28:29], s[28:29]
	s_cbranch_execz .LBB2_99
; %bb.98:                               ;   in Loop: Header=BB2_57 Depth=2
	s_waitcnt vmcnt(0) lgkmcnt(0)
	buffer_wbinvl1_vol
	s_barrier
.LBB2_99:                               ;   in Loop: Header=BB2_57 Depth=2
	s_or_b64 exec, exec, s[28:29]
.LBB2_100:                              ;   in Loop: Header=BB2_57 Depth=2
	s_or_b64 exec, exec, s[26:27]
	s_trap 2
	ds_read_b32 v0, v0
	v_and_b32_e32 v1, 0x4000, v61
	v_cmp_ne_u32_e32 vcc, 0, v1
	s_xor_b64 s[26:27], s[10:11], -1
	s_and_b64 s[28:29], s[26:27], vcc
	s_and_saveexec_b64 s[26:27], s[28:29]
	s_cbranch_execz .LBB2_119
; %bb.101:                              ;   in Loop: Header=BB2_57 Depth=2
	s_and_saveexec_b64 s[28:29], s[58:59]
	s_xor_b64 s[28:29], exec, s[28:29]
	s_cbranch_execz .LBB2_116
; %bb.102:                              ;   in Loop: Header=BB2_57 Depth=2
	s_and_saveexec_b64 s[92:93], s[6:7]
	s_cbranch_execz .LBB2_115
; %bb.103:                              ;   in Loop: Header=BB2_57 Depth=2
	s_mov_b64 s[30:31], exec
	v_mbcnt_lo_u32_b32 v1, s30, 0
	v_mbcnt_hi_u32_b32 v1, s31, v1
	v_cmp_eq_u32_e32 vcc, 0, v1
	s_waitcnt vmcnt(0) lgkmcnt(0)
	buffer_wbinvl1_vol
	s_and_saveexec_b64 s[94:95], vcc
	s_cbranch_execz .LBB2_105
; %bb.104:                              ;   in Loop: Header=BB2_57 Depth=2
	s_bcnt1_i32_b64 s45, s[30:31]
	v_mov_b32_e32 v1, s45
	v_mov_b32_e32 v2, v29
	ds_add_u64 v0, v[1:2]
	s_trap 2
.LBB2_105:                              ;   in Loop: Header=BB2_57 Depth=2
	s_or_b64 exec, exec, s[94:95]
	s_trap 2
	ds_read_b64 v[1:2], v0
	s_waitcnt lgkmcnt(0)
	v_add_co_u32_e32 v12, vcc, v12, v14
	v_addc_co_u32_e32 v13, vcc, 0, v13, vcc
	v_cmp_lt_u64_e32 vcc, v[1:2], v[12:13]
	s_and_saveexec_b64 s[94:95], vcc
	s_cbranch_execz .LBB2_114
; %bb.106:                              ;   in Loop: Header=BB2_57 Depth=2
	s_mov_b32 s45, 0
	s_mov_b64 s[30:31], 0
                                        ; implicit-def: $sgpr34_sgpr35
                                        ; implicit-def: $sgpr36_sgpr37
	s_branch .LBB2_108
.LBB2_107:                              ;   in Loop: Header=BB2_108 Depth=3
	s_or_b64 exec, exec, s[48:49]
	s_and_b64 vcc, exec, vcc
	s_or_b64 s[30:31], vcc, s[30:31]
	s_andn2_b64 vcc, s[34:35], exec
	s_and_b64 s[34:35], s[36:37], exec
	s_or_b64 s[34:35], vcc, s[34:35]
	s_andn2_b64 exec, exec, s[30:31]
	s_cbranch_execz .LBB2_112
.LBB2_108:                              ;   Parent Loop BB2_47 Depth=1
                                        ;     Parent Loop BB2_57 Depth=2
                                        ; =>    This Inner Loop Header: Depth=3
	s_add_i32 s45, s45, 1
	s_cmpk_lg_i32 s45, 0x2710
	s_cselect_b64 s[38:39], -1, 0
	s_and_b64 vcc, exec, s[38:39]
	s_cbranch_vccz .LBB2_110
; %bb.109:                              ;   in Loop: Header=BB2_108 Depth=3
	s_mov_b64 vcc, -1
	s_or_b64 s[36:37], s[36:37], exec
	s_and_saveexec_b64 s[48:49], s[38:39]
	s_cbranch_execz .LBB2_107
	s_branch .LBB2_111
.LBB2_110:                              ;   in Loop: Header=BB2_108 Depth=3
	s_trap 2
	ds_read_b64 v[1:2], v0
	s_andn2_b64 s[38:39], s[38:39], exec
	s_mov_b32 s45, 0
	s_waitcnt lgkmcnt(0)
	flat_load_dword v1, v[1:2] glc
	s_waitcnt vmcnt(0) lgkmcnt(0)
	buffer_wbinvl1_vol
	v_cmp_eq_u32_e32 vcc, 0, v1
	s_and_b64 vcc, vcc, exec
	s_or_b64 s[38:39], s[38:39], vcc
	s_mov_b64 vcc, -1
	s_or_b64 s[36:37], s[36:37], exec
	s_and_saveexec_b64 s[48:49], s[38:39]
	s_cbranch_execz .LBB2_107
.LBB2_111:                              ;   in Loop: Header=BB2_108 Depth=3
	s_sleep 1
	s_trap 2
	ds_read_b64 v[1:2], v0
	s_waitcnt lgkmcnt(0)
	s_andn2_b64 s[36:37], s[36:37], exec
	v_cmp_ge_u64_e32 vcc, v[1:2], v[12:13]
	s_orn2_b64 vcc, vcc, exec
	s_branch .LBB2_107
.LBB2_112:                              ;   in Loop: Header=BB2_57 Depth=2
	s_or_b64 exec, exec, s[30:31]
	s_and_saveexec_b64 vcc, s[34:35]
	s_xor_b64 vcc, exec, vcc
	s_cbranch_execz .LBB2_114
; %bb.113:                              ;   in Loop: Header=BB2_57 Depth=2
	v_mov_b32_e32 v1, 1
	ds_write_b32 v0, v1
	s_trap 2
.LBB2_114:                              ;   in Loop: Header=BB2_57 Depth=2
	s_or_b64 exec, exec, s[94:95]
	;;#ASMSTART
	s_wakeup
	;;#ASMEND
.LBB2_115:                              ;   in Loop: Header=BB2_57 Depth=2
	s_or_b64 exec, exec, s[92:93]
.LBB2_116:                              ;   in Loop: Header=BB2_57 Depth=2
	s_andn2_saveexec_b64 s[28:29], s[28:29]
	s_cbranch_execz .LBB2_118
; %bb.117:                              ;   in Loop: Header=BB2_57 Depth=2
	s_waitcnt vmcnt(0) lgkmcnt(0)
	buffer_wbinvl1_vol
	s_barrier
.LBB2_118:                              ;   in Loop: Header=BB2_57 Depth=2
	s_or_b64 exec, exec, s[28:29]
.LBB2_119:                              ;   in Loop: Header=BB2_57 Depth=2
	s_or_b64 exec, exec, s[26:27]
	s_trap 2
	s_waitcnt lgkmcnt(0)
	ds_read_b64 v[54:55], v0
	s_waitcnt lgkmcnt(0)
	v_cmp_eq_u64_e32 vcc, 0, v[54:55]
	s_cbranch_vccnz .LBB2_127
; %bb.120:                              ;   in Loop: Header=BB2_57 Depth=2
	buffer_store_dword v5, off, s[0:3], s33 offset:196 ; 4-byte Folded Spill
	s_nop 0
	buffer_store_dword v6, off, s[0:3], s33 offset:200 ; 4-byte Folded Spill
	s_trap 2
	ds_read_b64 v[40:41], v0
	s_waitcnt lgkmcnt(0)
	v_cmp_eq_u64_e32 vcc, 0, v[40:41]
	s_cbranch_vccnz .LBB2_128
; %bb.121:                              ;   in Loop: Header=BB2_57 Depth=2
	s_mov_b64 s[28:29], -1
	s_and_saveexec_b64 s[26:27], s[14:15]
	s_cbranch_execz .LBB2_123
; %bb.122:                              ;   in Loop: Header=BB2_57 Depth=2
	ds_read_b32 v1, v0 offset:720
	s_waitcnt lgkmcnt(0)
	v_and_b32_e32 v1, 15, v1
	v_cmp_eq_u32_e32 vcc, 0, v1
	s_orn2_b64 s[28:29], vcc, exec
.LBB2_123:                              ;   in Loop: Header=BB2_57 Depth=2
	s_or_b64 exec, exec, s[26:27]
	s_and_saveexec_b64 s[26:27], s[16:17]
	s_cbranch_execz .LBB2_125
; %bb.124:                              ;   in Loop: Header=BB2_57 Depth=2
	ds_read_b32 v1, v0 offset:784
	s_waitcnt lgkmcnt(0)
	v_and_b32_e32 v1, 15, v1
	v_cmp_eq_u32_e32 vcc, 0, v1
	s_and_b64 s[92:93], s[28:29], vcc
	s_andn2_b64 s[28:29], s[28:29], exec
	s_and_b64 s[92:93], s[92:93], exec
	s_or_b64 s[28:29], s[28:29], s[92:93]
.LBB2_125:                              ;   in Loop: Header=BB2_57 Depth=2
	s_or_b64 exec, exec, s[26:27]
	v_cmp_eq_u32_e32 vcc, 0, v0
	buffer_load_dword v0, off, s[0:3], s33 offset:196 ; 4-byte Folded Reload
	buffer_load_dword v1, off, s[0:3], s33 offset:200 ; 4-byte Folded Reload
	;; [unrolled: 1-line block ×3, first 2 shown]
	s_xor_b64 s[28:29], s[28:29], -1
	s_mov_b64 s[26:27], -1
	v_mov_b32_e32 v2, 0
	s_waitcnt vmcnt(2)
	v_cndmask_b32_e32 v3, 0, v0, vcc
	v_cndmask_b32_e64 v0, 0, 1, s[28:29]
	v_cmp_ne_u32_e32 vcc, 0, v0
	buffer_store_dword v3, off, s[0:3], s33 offset:208 ; 4-byte Folded Spill
	s_cbranch_vccz .LBB2_129
; %bb.126:                              ;   in Loop: Header=BB2_57 Depth=2
	s_and_saveexec_b64 s[28:29], s[26:27]
	s_cbranch_execnz .LBB2_1212
	s_branch .LBB2_1464
.LBB2_127:                              ;   in Loop: Header=BB2_57 Depth=2
	s_mov_b64 s[26:27], 0
	s_and_saveexec_b64 s[28:29], s[12:13]
	s_cbranch_execnz .LBB2_1466
	s_branch .LBB2_1484
.LBB2_128:                              ;   in Loop: Header=BB2_57 Depth=2
	s_mov_b64 s[26:27], 0
	s_branch .LBB2_1465
.LBB2_129:                              ;   in Loop: Header=BB2_57 Depth=2
	buffer_load_dword v1, off, s[0:3], s33 offset:208 ; 4-byte Folded Reload
	s_waitcnt vmcnt(0)
	v_ashrrev_i32_e32 v0, 31, v1
	v_lshrrev_b32_e32 v0, 21, v0
	v_add_u32_e32 v0, v1, v0
	v_ashrrev_i32_e32 v1, 11, v0
	buffer_load_dword v0, off, s[0:3], s33 offset:152 ; 4-byte Folded Reload
	s_waitcnt vmcnt(0)
	v_sub_u32_e32 v0, v1, v0
	v_cmp_lt_i32_e32 vcc, 0, v0
	s_and_saveexec_b64 s[28:29], vcc
	s_cbranch_execz .LBB2_845
; %bb.130:                              ;   in Loop: Header=BB2_57 Depth=2
	buffer_store_dword v1, off, s[0:3], s33 offset:232 ; 4-byte Folded Spill
	s_trap 2
	ds_read_b64 v[1:2], v0
	s_waitcnt lgkmcnt(0)
	v_readfirstlane_b32 s26, v1
	s_and_b32 s27, s26, 7
	s_flbit_i32_b32 s27, s27
	s_min_u32 s27, s27, 32
	s_and_b32 s45, s26, 0x7f
	s_bfe_u32 s47, s26, 0x40003
	s_sub_i32 s92, s27, 28
	s_sub_i32 s27, 29, s27
	s_cmp_lt_u32 s45, 8
	s_cselect_b32 s92, s92, 0
	s_cselect_b32 s27, s27, s47
	v_lshlrev_b64 v[1:2], s92, v[1:2]
	s_lshl_b32 s47, s26, 24
	s_lshl_b32 s27, s27, 23
	s_and_b32 s47, s47, 0x80000000
	s_add_i32 s27, s27, 0x3c000000
	v_lshlrev_b32_e32 v1, 20, v1
	s_or_b32 s27, s47, s27
	v_and_b32_e32 v1, 0x700000, v1
	s_cmpk_lg_i32 s45, 0x7f
	v_or_b32_e32 v1, s27, v1
	s_cselect_b64 vcc, -1, 0
	v_cndmask_b32_e32 v1, v4, v1, vcc
	buffer_store_dword v1, off, s[0:3], s33 offset:204 ; 4-byte Folded Spill
	buffer_load_dword v42, off, s[0:3], s33 offset:212 ; 4-byte Folded Reload
	buffer_load_dword v43, off, s[0:3], s33 offset:216 ; 4-byte Folded Reload
	s_mov_b64 s[92:93], 0
	s_and_b32 s45, s26, 0xff
	s_branch .LBB2_132
.LBB2_131:                              ;   in Loop: Header=BB2_132 Depth=3
	s_or_b64 exec, exec, s[26:27]
	buffer_load_dword v9, off, s[0:3], s33 offset:168 ; 4-byte Folded Reload
	buffer_load_dword v10, off, s[0:3], s33 offset:172 ; 4-byte Folded Reload
	v_lshlrev_b32_e32 v11, 24, v57
	v_lshl_or_b32 v1, v52, 8, v1
	v_lshlrev_b32_e32 v2, 16, v2
	v_sub_u32_e32 v0, v0, v14
	s_waitcnt vmcnt(0)
	v_lshl_or_b32 v9, v10, 8, v9
	v_lshlrev_b32_e32 v10, 16, v56
	v_or3_b32 v57, v9, v10, v11
	buffer_load_dword v9, off, s[0:3], s33 offset:140 ; 4-byte Folded Reload
	buffer_load_dword v10, off, s[0:3], s33 offset:156 ; 4-byte Folded Reload
	;; [unrolled: 1-line block ×3, first 2 shown]
	s_waitcnt vmcnt(2)
	v_lshl_or_b32 v9, v9, 8, v60
	s_waitcnt vmcnt(1)
	v_lshlrev_b32_e32 v10, 16, v10
	s_waitcnt vmcnt(0)
	v_lshlrev_b32_e32 v11, 24, v11
	v_or3_b32 v56, v9, v10, v11
	v_lshlrev_b32_e32 v9, 16, v53
	v_lshlrev_b32_e32 v10, 24, v51
	v_or3_b32 v58, v1, v9, v10
	v_lshlrev_b32_e32 v1, 24, v3
	v_lshl_or_b32 v3, v6, 8, v18
	v_or3_b32 v59, v3, v2, v1
	v_lshl_or_b32 v3, v30, 8, v23
	v_lshlrev_b32_e32 v6, 16, v33
	v_lshlrev_b32_e32 v9, 24, v34
	v_or3_b32 v6, v3, v6, v9
	v_lshl_or_b32 v3, v7, 8, v5
	v_lshlrev_b32_e32 v5, 16, v16
	v_lshlrev_b32_e32 v7, 24, v22
	v_add_co_u32_e32 v1, vcc, v40, v42
	v_or3_b32 v5, v3, v5, v7
	v_lshl_or_b32 v3, v47, 8, v46
	v_lshlrev_b32_e32 v7, 16, v48
	v_lshlrev_b32_e32 v9, 24, v50
	v_addc_co_u32_e32 v2, vcc, v41, v43, vcc
	v_or3_b32 v7, v3, v7, v9
	v_lshlrev_b32_e32 v3, 24, v8
	v_lshlrev_b32_e32 v8, 16, v44
	v_lshl_or_b32 v9, v25, 8, v24
	v_or3_b32 v8, v9, v8, v3
	global_store_dwordx4 v[1:2], v[56:59], off glc slc
	global_store_dwordx4 v[1:2], v[5:8], off offset:1024 glc slc
	v_cmp_gt_i32_e32 vcc, 1, v0
	v_lshlrev_b32_e32 v1, 11, v14
	s_or_b64 s[92:93], vcc, s[92:93]
	v_add_co_u32_e32 v42, vcc, v42, v1
	v_addc_co_u32_e32 v43, vcc, 0, v43, vcc
	s_andn2_b64 exec, exec, s[92:93]
	s_cbranch_execz .LBB2_844
.LBB2_132:                              ;   Parent Loop BB2_47 Depth=1
                                        ;     Parent Loop BB2_57 Depth=2
                                        ; =>    This Inner Loop Header: Depth=3
	s_cmpk_lt_i32 s45, 0x80
	s_cbranch_scc1 .LBB2_136
; %bb.133:                              ;   in Loop: Header=BB2_132 Depth=3
	s_and_b32 s47, 0xffff, s45
	s_mov_b64 s[26:27], -1
	s_cmpk_eq_i32 s47, 0x80
	s_cbranch_scc0 .LBB2_135
; %bb.134:                              ;   in Loop: Header=BB2_132 Depth=3
	s_mov_b64 s[26:27], 0
.LBB2_135:                              ;   in Loop: Header=BB2_132 Depth=3
	s_brev_b32 s47, 1
	s_branch .LBB2_138
.LBB2_136:                              ;   in Loop: Header=BB2_132 Depth=3
	s_mov_b64 s[26:27], 0
	s_brev_b32 s47, 1
	s_cbranch_execz .LBB2_138
; %bb.137:                              ;   in Loop: Header=BB2_132 Depth=3
	s_and_b32 s26, 0xffff, s45
	s_cmp_lg_u32 s26, 0
	s_mov_b32 s47, 0
	s_cselect_b64 s[26:27], -1, 0
.LBB2_138:                              ;   in Loop: Header=BB2_132 Depth=3
	s_andn2_b64 vcc, exec, s[26:27]
	v_mov_b32_e32 v19, s47
	s_cbranch_vccnz .LBB2_140
; %bb.139:                              ;   in Loop: Header=BB2_132 Depth=3
	buffer_load_dword v19, off, s[0:3], s33 offset:204 ; 4-byte Folded Reload
.LBB2_140:                              ;   in Loop: Header=BB2_132 Depth=3
	s_waitcnt vmcnt(1)
	v_add_co_u32_e32 v44, vcc, v54, v42
	s_waitcnt vmcnt(0)
	v_addc_co_u32_e32 v45, vcc, v55, v43, vcc
	global_load_dwordx4 v[8:11], v[44:45], off glc slc
	v_mov_b32_e32 v1, 0
	s_waitcnt vmcnt(0)
	v_cmp_ne_u16_sdwa s[94:95], v8, v29 src0_sel:BYTE_0 src1_sel:DWORD
	s_and_saveexec_b64 s[26:27], s[94:95]
	s_cbranch_execz .LBB2_146
; %bb.141:                              ;   in Loop: Header=BB2_132 Depth=3
	v_cmp_ne_u16_sdwa vcc, v8, s87 src0_sel:BYTE_0 src1_sel:DWORD
	v_bfrev_b32_e32 v1, 1
	s_and_saveexec_b64 s[94:95], vcc
	s_cbranch_execz .LBB2_145
; %bb.142:                              ;   in Loop: Header=BB2_132 Depth=3
	v_and_b32_e32 v2, 0x7f, v8
	v_cmp_ne_u32_e32 vcc, s85, v2
	v_mov_b32_e32 v1, 0x7f800001
	s_and_saveexec_b64 s[30:31], vcc
	s_cbranch_execz .LBB2_144
; %bb.143:                              ;   in Loop: Header=BB2_132 Depth=3
	v_and_b32_e32 v1, 7, v8
	v_ffbh_u32_e32 v1, v1
	v_min_u32_e32 v1, 32, v1
	v_lshrrev_b32_e32 v3, 3, v2
	v_cmp_gt_u32_e32 vcc, 8, v2
	v_subrev_u32_e32 v2, 28, v1
	v_sub_u32_e32 v1, 29, v1
	v_cndmask_b32_e32 v3, v3, v1, vcc
	v_cndmask_b32_e32 v1, 0, v2, vcc
	v_lshlrev_b64 v[1:2], v1, v[8:9]
	v_lshlrev_b32_e32 v2, 24, v8
	v_lshlrev_b32_e32 v1, 20, v1
	v_and_b32_e32 v1, 0x700000, v1
	v_and_b32_e32 v2, 0x80000000, v2
	v_lshl_add_u32 v3, v3, 23, v17
	v_or3_b32 v1, v2, v3, v1
.LBB2_144:                              ;   in Loop: Header=BB2_132 Depth=3
	s_or_b64 exec, exec, s[30:31]
.LBB2_145:                              ;   in Loop: Header=BB2_132 Depth=3
	s_or_b64 exec, exec, s[94:95]
.LBB2_146:                              ;   in Loop: Header=BB2_132 Depth=3
	s_or_b64 exec, exec, s[26:27]
	v_mul_f32_e32 v2, v19, v1
	v_and_b32_e32 v28, 0x7f800000, v2
	v_cmp_ne_u64_e32 vcc, s[76:77], v[28:29]
                                        ; implicit-def: $vgpr60
	s_and_saveexec_b64 s[26:27], vcc
	s_xor_b64 s[94:95], exec, s[26:27]
	s_cbranch_execz .LBB2_160
; %bb.147:                              ;   in Loop: Header=BB2_132 Depth=3
	v_and_b32_e32 v28, 0x7fffffff, v2
	v_cmp_gt_u64_e32 vcc, s[78:79], v[28:29]
	v_and_b32_sdwa v1, v2, s87 dst_sel:DWORD dst_unused:UNUSED_PAD src0_sel:BYTE_3 src1_sel:DWORD
                                        ; implicit-def: $vgpr60
	s_and_saveexec_b64 s[26:27], vcc
	s_xor_b64 s[30:31], exec, s[26:27]
	s_cbranch_execz .LBB2_157
; %bb.148:                              ;   in Loop: Header=BB2_132 Depth=3
	v_mov_b32_e32 v60, 0
	v_cmp_ne_u32_e32 vcc, 0, v2
	s_and_saveexec_b64 s[34:35], vcc
	s_cbranch_execz .LBB2_156
; %bb.149:                              ;   in Loop: Header=BB2_132 Depth=3
	v_and_b32_e32 v5, 0x7fffff, v2
	v_bfe_u32 v2, v2, 23, 8
	v_cmp_gt_u32_e64 s[26:27], s96, v2
	v_sub_u32_e32 v3, 0x79, v2
	v_cmp_eq_u32_e32 vcc, 0, v2
	v_cndmask_b32_e64 v3, 0, v3, s[26:27]
	v_or_b32_e32 v6, 0x800000, v5
	v_cndmask_b32_e32 v3, v3, v36, vcc
	v_cndmask_b32_e32 v28, v6, v5, vcc
	v_add_u32_e32 v5, 20, v3
	v_lshlrev_b64 v[5:6], v5, -1
	v_add_u32_e32 v7, 19, v3
	v_lshlrev_b64 v[22:23], v7, 1
	v_lshrrev_b64 v[46:47], v3, v[28:29]
	v_bfi_b32 v6, v6, 0, 0
	v_bfi_b32 v5, v5, 0, v28
	v_cmp_eq_u64_e64 s[26:27], v[5:6], v[22:23]
	v_mov_b32_e32 v57, v47
	v_mov_b32_e32 v56, v46
	s_and_saveexec_b64 s[36:37], s[26:27]
; %bb.150:                              ;   in Loop: Header=BB2_132 Depth=3
	v_bfe_u32 v5, v46, 20, 1
	v_add_co_u32_e64 v5, s[26:27], v46, v5
	v_add_co_u32_e64 v56, s[26:27], -1, v5
; %bb.151:                              ;   in Loop: Header=BB2_132 Depth=3
	s_or_b64 exec, exec, s[36:37]
	v_add_u32_e32 v2, 0xffffff81, v2
	v_cndmask_b32_e32 v2, v2, v37, vcc
	v_lshrrev_b32_e32 v5, 23, v46
	v_add3_u32 v5, v3, v2, v5
	v_add_u32_e32 v3, 6, v5
	v_and_b32_e32 v2, 0xfffff, v56
	v_add_u32_e32 v28, v2, v46
	v_cmp_ne_u32_e32 vcc, 0, v3
                                        ; implicit-def: $vgpr46_vgpr47
                                        ; implicit-def: $vgpr2
	s_and_saveexec_b64 s[26:27], vcc
	s_xor_b64 s[26:27], exec, s[26:27]
; %bb.152:                              ;   in Loop: Header=BB2_132 Depth=3
	v_cmp_lt_u64_e32 vcc, s[88:89], v[28:29]
	v_add_u32_e32 v2, 7, v5
	v_cndmask_b32_e32 v2, v3, v2, vcc
	v_cndmask_b32_e64 v3, 0, 1, vcc
	v_lshrrev_b64 v[46:47], v3, v[28:29]
; %bb.153:                              ;   in Loop: Header=BB2_132 Depth=3
	s_andn2_saveexec_b64 s[26:27], s[26:27]
; %bb.154:                              ;   in Loop: Header=BB2_132 Depth=3
	v_mov_b32_e32 v47, v29
	v_bfe_u32 v2, v28, 23, 1
	v_mov_b32_e32 v46, v28
; %bb.155:                              ;   in Loop: Header=BB2_132 Depth=3
	s_or_b64 exec, exec, s[26:27]
	v_lshrrev_b64 v[5:6], 20, v[46:47]
	v_cmp_gt_i32_e32 vcc, 16, v2
	v_cndmask_b32_e32 v6, 0, v6, vcc
	v_cndmask_b32_e32 v5, 7, v5, vcc
	v_cmp_eq_u32_e32 vcc, 0, v2
	v_min_i32_e32 v2, 15, v2
	v_cmp_eq_u64_e64 s[26:27], 0, v[5:6]
	v_lshlrev_b32_e32 v2, 3, v2
	v_and_b32_e32 v2, 0xf8, v2
	v_and_or_b32 v2, v5, 7, v2
	s_and_b64 s[26:27], vcc, s[26:27]
	v_cndmask_b32_e64 v2, v2, 0, s[26:27]
	v_or_b32_e32 v60, v2, v1
.LBB2_156:                              ;   in Loop: Header=BB2_132 Depth=3
	s_or_b64 exec, exec, s[34:35]
                                        ; implicit-def: $vgpr1
.LBB2_157:                              ;   in Loop: Header=BB2_132 Depth=3
	s_andn2_saveexec_b64 s[26:27], s[30:31]
; %bb.158:                              ;   in Loop: Header=BB2_132 Depth=3
	v_or_b32_e32 v60, 0x7e, v1
; %bb.159:                              ;   in Loop: Header=BB2_132 Depth=3
	s_or_b64 exec, exec, s[26:27]
                                        ; implicit-def: $vgpr2
.LBB2_160:                              ;   in Loop: Header=BB2_132 Depth=3
	s_andn2_saveexec_b64 s[26:27], s[94:95]
; %bb.161:                              ;   in Loop: Header=BB2_132 Depth=3
	v_or_b32_sdwa v60, v2, s85 dst_sel:DWORD dst_unused:UNUSED_PAD src0_sel:BYTE_3 src1_sel:DWORD
; %bb.162:                              ;   in Loop: Header=BB2_132 Depth=3
	s_or_b64 exec, exec, s[26:27]
	v_lshrrev_b16_e32 v28, 8, v8
	v_cmp_ne_u16_e32 vcc, 0, v28
	v_mov_b32_e32 v1, 0
	s_and_saveexec_b64 s[26:27], vcc
	s_cbranch_execz .LBB2_168
; %bb.163:                              ;   in Loop: Header=BB2_132 Depth=3
	v_cmp_ne_u16_e32 vcc, s87, v28
	v_bfrev_b32_e32 v1, 1
	s_and_saveexec_b64 s[94:95], vcc
	s_cbranch_execz .LBB2_167
; %bb.164:                              ;   in Loop: Header=BB2_132 Depth=3
	v_and_b32_e32 v2, 0x7f, v28
	v_cmp_ne_u32_e32 vcc, s85, v2
	v_mov_b32_e32 v1, 0x7f800001
	s_and_saveexec_b64 s[30:31], vcc
	s_cbranch_execz .LBB2_166
; %bb.165:                              ;   in Loop: Header=BB2_132 Depth=3
	v_and_b32_e32 v3, 7, v28
	v_ffbh_u32_e32 v1, v3
	v_min_u32_e32 v6, 32, v1
	v_subrev_u32_e32 v1, 28, v6
	v_lshrrev_b32_e32 v5, 3, v2
	v_cmp_gt_u32_e32 vcc, 8, v2
	v_lshlrev_b64 v[1:2], v1, v[28:29]
	v_sub_u32_e32 v2, 29, v6
	v_and_b32_e32 v1, 7, v1
	v_cndmask_b32_e32 v2, v5, v2, vcc
	v_cndmask_b32_e32 v1, v3, v1, vcc
	v_lshlrev_b32_e32 v3, 16, v8
	v_lshlrev_b32_e32 v1, 20, v1
	v_and_b32_e32 v3, 0x80000000, v3
	v_lshl_add_u32 v2, v2, 23, v17
	v_or3_b32 v1, v3, v2, v1
.LBB2_166:                              ;   in Loop: Header=BB2_132 Depth=3
	s_or_b64 exec, exec, s[30:31]
.LBB2_167:                              ;   in Loop: Header=BB2_132 Depth=3
	s_or_b64 exec, exec, s[94:95]
.LBB2_168:                              ;   in Loop: Header=BB2_132 Depth=3
	s_or_b64 exec, exec, s[26:27]
	v_mul_f32_e32 v2, v19, v1
	v_and_b32_e32 v28, 0x7f800000, v2
	v_cmp_ne_u64_e32 vcc, s[76:77], v[28:29]
                                        ; implicit-def: $vgpr1
                                        ; kill: killed $vgpr1
	s_and_saveexec_b64 s[26:27], vcc
	s_xor_b64 s[94:95], exec, s[26:27]
	s_cbranch_execz .LBB2_182
; %bb.169:                              ;   in Loop: Header=BB2_132 Depth=3
	v_and_b32_e32 v28, 0x7fffffff, v2
	v_cmp_gt_u64_e32 vcc, s[78:79], v[28:29]
	v_and_b32_sdwa v1, v2, s87 dst_sel:DWORD dst_unused:UNUSED_PAD src0_sel:BYTE_3 src1_sel:DWORD
                                        ; implicit-def: $vgpr3
                                        ; kill: killed $vgpr3
	s_and_saveexec_b64 s[26:27], vcc
	s_xor_b64 s[30:31], exec, s[26:27]
	s_cbranch_execz .LBB2_179
; %bb.170:                              ;   in Loop: Header=BB2_132 Depth=3
	v_mov_b32_e32 v3, 0
	v_cmp_ne_u32_e32 vcc, 0, v2
	buffer_store_dword v3, off, s[0:3], s33 offset:140 ; 4-byte Folded Spill
	s_and_saveexec_b64 s[34:35], vcc
	s_cbranch_execz .LBB2_178
; %bb.171:                              ;   in Loop: Header=BB2_132 Depth=3
	v_and_b32_e32 v5, 0x7fffff, v2
	v_bfe_u32 v2, v2, 23, 8
	v_cmp_gt_u32_e64 s[26:27], s96, v2
	v_sub_u32_e32 v3, 0x79, v2
	v_cmp_eq_u32_e32 vcc, 0, v2
	v_cndmask_b32_e64 v3, 0, v3, s[26:27]
	v_or_b32_e32 v6, 0x800000, v5
	v_cndmask_b32_e32 v3, v3, v36, vcc
	v_cndmask_b32_e32 v28, v6, v5, vcc
	v_add_u32_e32 v5, 20, v3
	v_lshlrev_b64 v[5:6], v5, -1
	v_add_u32_e32 v7, 19, v3
	v_lshlrev_b64 v[22:23], v7, 1
	v_lshrrev_b64 v[46:47], v3, v[28:29]
	v_bfi_b32 v6, v6, 0, 0
	v_bfi_b32 v5, v5, 0, v28
	v_cmp_eq_u64_e64 s[26:27], v[5:6], v[22:23]
	v_mov_b32_e32 v57, v47
	v_mov_b32_e32 v56, v46
	s_and_saveexec_b64 s[36:37], s[26:27]
; %bb.172:                              ;   in Loop: Header=BB2_132 Depth=3
	v_bfe_u32 v5, v46, 20, 1
	v_add_co_u32_e64 v5, s[26:27], v46, v5
	v_add_co_u32_e64 v56, s[26:27], -1, v5
; %bb.173:                              ;   in Loop: Header=BB2_132 Depth=3
	s_or_b64 exec, exec, s[36:37]
	v_add_u32_e32 v2, 0xffffff81, v2
	v_cndmask_b32_e32 v2, v2, v37, vcc
	v_lshrrev_b32_e32 v5, 23, v46
	v_add3_u32 v5, v3, v2, v5
	v_add_u32_e32 v3, 6, v5
	v_and_b32_e32 v2, 0xfffff, v56
	v_add_u32_e32 v28, v2, v46
	v_cmp_ne_u32_e32 vcc, 0, v3
                                        ; implicit-def: $vgpr46_vgpr47
                                        ; implicit-def: $vgpr2
	s_and_saveexec_b64 s[26:27], vcc
	s_xor_b64 s[26:27], exec, s[26:27]
; %bb.174:                              ;   in Loop: Header=BB2_132 Depth=3
	v_cmp_lt_u64_e32 vcc, s[88:89], v[28:29]
	v_add_u32_e32 v2, 7, v5
	v_cndmask_b32_e32 v2, v3, v2, vcc
	v_cndmask_b32_e64 v3, 0, 1, vcc
	v_lshrrev_b64 v[46:47], v3, v[28:29]
; %bb.175:                              ;   in Loop: Header=BB2_132 Depth=3
	s_andn2_saveexec_b64 s[26:27], s[26:27]
; %bb.176:                              ;   in Loop: Header=BB2_132 Depth=3
	v_mov_b32_e32 v47, v29
	v_bfe_u32 v2, v28, 23, 1
	v_mov_b32_e32 v46, v28
; %bb.177:                              ;   in Loop: Header=BB2_132 Depth=3
	s_or_b64 exec, exec, s[26:27]
	v_lshrrev_b64 v[5:6], 20, v[46:47]
	v_cmp_gt_i32_e32 vcc, 16, v2
	v_cndmask_b32_e32 v6, 0, v6, vcc
	v_cndmask_b32_e32 v5, 7, v5, vcc
	v_cmp_eq_u32_e32 vcc, 0, v2
	v_min_i32_e32 v2, 15, v2
	v_cmp_eq_u64_e64 s[26:27], 0, v[5:6]
	v_lshlrev_b32_e32 v2, 3, v2
	v_and_b32_e32 v2, 0xf8, v2
	v_and_or_b32 v2, v5, 7, v2
	s_and_b64 s[26:27], vcc, s[26:27]
	v_cndmask_b32_e64 v2, v2, 0, s[26:27]
	v_or_b32_e32 v1, v2, v1
	buffer_store_dword v1, off, s[0:3], s33 offset:140 ; 4-byte Folded Spill
.LBB2_178:                              ;   in Loop: Header=BB2_132 Depth=3
	s_or_b64 exec, exec, s[34:35]
                                        ; implicit-def: $vgpr1
.LBB2_179:                              ;   in Loop: Header=BB2_132 Depth=3
	s_andn2_saveexec_b64 s[26:27], s[30:31]
	s_cbranch_execz .LBB2_181
; %bb.180:                              ;   in Loop: Header=BB2_132 Depth=3
	v_or_b32_e32 v1, 0x7e, v1
	buffer_store_dword v1, off, s[0:3], s33 offset:140 ; 4-byte Folded Spill
.LBB2_181:                              ;   in Loop: Header=BB2_132 Depth=3
	s_or_b64 exec, exec, s[26:27]
                                        ; implicit-def: $vgpr2
.LBB2_182:                              ;   in Loop: Header=BB2_132 Depth=3
	s_andn2_saveexec_b64 s[26:27], s[94:95]
	s_cbranch_execz .LBB2_184
; %bb.183:                              ;   in Loop: Header=BB2_132 Depth=3
	v_or_b32_sdwa v1, v2, s85 dst_sel:DWORD dst_unused:UNUSED_PAD src0_sel:BYTE_3 src1_sel:DWORD
	buffer_store_dword v1, off, s[0:3], s33 offset:140 ; 4-byte Folded Spill
.LBB2_184:                              ;   in Loop: Header=BB2_132 Depth=3
	s_or_b64 exec, exec, s[26:27]
	v_lshrrev_b32_e32 v28, 16, v8
	v_cmp_ne_u16_sdwa s[94:95], v28, v29 src0_sel:BYTE_0 src1_sel:DWORD
	v_mov_b32_e32 v1, 0
	s_and_saveexec_b64 s[26:27], s[94:95]
	s_cbranch_execz .LBB2_190
; %bb.185:                              ;   in Loop: Header=BB2_132 Depth=3
	v_cmp_ne_u16_sdwa vcc, v28, s87 src0_sel:BYTE_0 src1_sel:DWORD
	v_bfrev_b32_e32 v1, 1
	s_and_saveexec_b64 s[94:95], vcc
	s_cbranch_execz .LBB2_189
; %bb.186:                              ;   in Loop: Header=BB2_132 Depth=3
	v_bfe_u32 v2, v8, 16, 7
	v_cmp_ne_u32_e32 vcc, s85, v2
	v_mov_b32_e32 v1, 0x7f800001
	s_and_saveexec_b64 s[30:31], vcc
	s_cbranch_execz .LBB2_188
; %bb.187:                              ;   in Loop: Header=BB2_132 Depth=3
	v_and_b32_e32 v3, 7, v28
	v_ffbh_u32_e32 v1, v3
	v_min_u32_e32 v6, 32, v1
	v_subrev_u32_e32 v1, 28, v6
	v_lshrrev_b32_e32 v5, 3, v2
	v_cmp_gt_u32_e32 vcc, 8, v2
	v_lshlrev_b64 v[1:2], v1, v[28:29]
	v_sub_u32_e32 v2, 29, v6
	v_and_b32_e32 v1, 7, v1
	v_cndmask_b32_e32 v2, v5, v2, vcc
	v_cndmask_b32_e32 v1, v3, v1, vcc
	v_lshlrev_b32_e32 v3, 24, v28
	v_lshlrev_b32_e32 v1, 20, v1
	v_and_b32_e32 v3, 0x80000000, v3
	v_lshl_add_u32 v2, v2, 23, v17
	v_or3_b32 v1, v3, v2, v1
.LBB2_188:                              ;   in Loop: Header=BB2_132 Depth=3
	s_or_b64 exec, exec, s[30:31]
.LBB2_189:                              ;   in Loop: Header=BB2_132 Depth=3
	s_or_b64 exec, exec, s[94:95]
.LBB2_190:                              ;   in Loop: Header=BB2_132 Depth=3
	s_or_b64 exec, exec, s[26:27]
	v_mul_f32_e32 v2, v19, v1
	v_and_b32_e32 v28, 0x7f800000, v2
	v_cmp_ne_u64_e32 vcc, s[76:77], v[28:29]
                                        ; implicit-def: $vgpr1
                                        ; kill: killed $vgpr1
	s_and_saveexec_b64 s[26:27], vcc
	s_xor_b64 s[94:95], exec, s[26:27]
	s_cbranch_execz .LBB2_204
; %bb.191:                              ;   in Loop: Header=BB2_132 Depth=3
	v_and_b32_e32 v28, 0x7fffffff, v2
	v_cmp_gt_u64_e32 vcc, s[78:79], v[28:29]
	v_and_b32_sdwa v1, v2, s87 dst_sel:DWORD dst_unused:UNUSED_PAD src0_sel:BYTE_3 src1_sel:DWORD
                                        ; implicit-def: $vgpr3
                                        ; kill: killed $vgpr3
	s_and_saveexec_b64 s[26:27], vcc
	s_xor_b64 s[30:31], exec, s[26:27]
	s_cbranch_execz .LBB2_201
; %bb.192:                              ;   in Loop: Header=BB2_132 Depth=3
	v_mov_b32_e32 v3, 0
	v_cmp_ne_u32_e32 vcc, 0, v2
	buffer_store_dword v3, off, s[0:3], s33 offset:156 ; 4-byte Folded Spill
	s_and_saveexec_b64 s[34:35], vcc
	s_cbranch_execz .LBB2_200
; %bb.193:                              ;   in Loop: Header=BB2_132 Depth=3
	v_and_b32_e32 v5, 0x7fffff, v2
	v_bfe_u32 v2, v2, 23, 8
	v_cmp_gt_u32_e64 s[26:27], s96, v2
	v_sub_u32_e32 v3, 0x79, v2
	v_cmp_eq_u32_e32 vcc, 0, v2
	v_cndmask_b32_e64 v3, 0, v3, s[26:27]
	v_or_b32_e32 v6, 0x800000, v5
	v_cndmask_b32_e32 v3, v3, v36, vcc
	v_cndmask_b32_e32 v28, v6, v5, vcc
	v_add_u32_e32 v5, 20, v3
	v_lshlrev_b64 v[5:6], v5, -1
	v_add_u32_e32 v7, 19, v3
	v_lshlrev_b64 v[22:23], v7, 1
	v_lshrrev_b64 v[46:47], v3, v[28:29]
	v_bfi_b32 v6, v6, 0, 0
	v_bfi_b32 v5, v5, 0, v28
	v_cmp_eq_u64_e64 s[26:27], v[5:6], v[22:23]
	v_mov_b32_e32 v57, v47
	v_mov_b32_e32 v56, v46
	s_and_saveexec_b64 s[36:37], s[26:27]
; %bb.194:                              ;   in Loop: Header=BB2_132 Depth=3
	v_bfe_u32 v5, v46, 20, 1
	v_add_co_u32_e64 v5, s[26:27], v46, v5
	v_add_co_u32_e64 v56, s[26:27], -1, v5
; %bb.195:                              ;   in Loop: Header=BB2_132 Depth=3
	s_or_b64 exec, exec, s[36:37]
	v_add_u32_e32 v2, 0xffffff81, v2
	v_cndmask_b32_e32 v2, v2, v37, vcc
	v_lshrrev_b32_e32 v5, 23, v46
	v_add3_u32 v5, v3, v2, v5
	v_add_u32_e32 v3, 6, v5
	v_and_b32_e32 v2, 0xfffff, v56
	v_add_u32_e32 v28, v2, v46
	v_cmp_ne_u32_e32 vcc, 0, v3
                                        ; implicit-def: $vgpr46_vgpr47
                                        ; implicit-def: $vgpr2
	s_and_saveexec_b64 s[26:27], vcc
	s_xor_b64 s[26:27], exec, s[26:27]
; %bb.196:                              ;   in Loop: Header=BB2_132 Depth=3
	v_cmp_lt_u64_e32 vcc, s[88:89], v[28:29]
	v_add_u32_e32 v2, 7, v5
	v_cndmask_b32_e32 v2, v3, v2, vcc
	v_cndmask_b32_e64 v3, 0, 1, vcc
	v_lshrrev_b64 v[46:47], v3, v[28:29]
; %bb.197:                              ;   in Loop: Header=BB2_132 Depth=3
	s_andn2_saveexec_b64 s[26:27], s[26:27]
; %bb.198:                              ;   in Loop: Header=BB2_132 Depth=3
	v_mov_b32_e32 v47, v29
	v_bfe_u32 v2, v28, 23, 1
	v_mov_b32_e32 v46, v28
; %bb.199:                              ;   in Loop: Header=BB2_132 Depth=3
	s_or_b64 exec, exec, s[26:27]
	v_lshrrev_b64 v[5:6], 20, v[46:47]
	v_cmp_gt_i32_e32 vcc, 16, v2
	v_cndmask_b32_e32 v6, 0, v6, vcc
	v_cndmask_b32_e32 v5, 7, v5, vcc
	v_cmp_eq_u32_e32 vcc, 0, v2
	v_min_i32_e32 v2, 15, v2
	v_cmp_eq_u64_e64 s[26:27], 0, v[5:6]
	v_lshlrev_b32_e32 v2, 3, v2
	v_and_b32_e32 v2, 0xf8, v2
	v_and_or_b32 v2, v5, 7, v2
	s_and_b64 s[26:27], vcc, s[26:27]
	v_cndmask_b32_e64 v2, v2, 0, s[26:27]
	v_or_b32_e32 v1, v2, v1
	buffer_store_dword v1, off, s[0:3], s33 offset:156 ; 4-byte Folded Spill
.LBB2_200:                              ;   in Loop: Header=BB2_132 Depth=3
	s_or_b64 exec, exec, s[34:35]
                                        ; implicit-def: $vgpr1
.LBB2_201:                              ;   in Loop: Header=BB2_132 Depth=3
	s_andn2_saveexec_b64 s[26:27], s[30:31]
	s_cbranch_execz .LBB2_203
; %bb.202:                              ;   in Loop: Header=BB2_132 Depth=3
	v_or_b32_e32 v1, 0x7e, v1
	buffer_store_dword v1, off, s[0:3], s33 offset:156 ; 4-byte Folded Spill
.LBB2_203:                              ;   in Loop: Header=BB2_132 Depth=3
	s_or_b64 exec, exec, s[26:27]
                                        ; implicit-def: $vgpr2
.LBB2_204:                              ;   in Loop: Header=BB2_132 Depth=3
	s_andn2_saveexec_b64 s[26:27], s[94:95]
	s_cbranch_execz .LBB2_206
; %bb.205:                              ;   in Loop: Header=BB2_132 Depth=3
	v_or_b32_sdwa v1, v2, s85 dst_sel:DWORD dst_unused:UNUSED_PAD src0_sel:BYTE_3 src1_sel:DWORD
	buffer_store_dword v1, off, s[0:3], s33 offset:156 ; 4-byte Folded Spill
.LBB2_206:                              ;   in Loop: Header=BB2_132 Depth=3
	s_or_b64 exec, exec, s[26:27]
	v_cmp_lt_u32_e32 vcc, s57, v8
	v_mov_b32_e32 v1, 0
	s_and_saveexec_b64 s[26:27], vcc
	s_cbranch_execz .LBB2_212
; %bb.207:                              ;   in Loop: Header=BB2_132 Depth=3
	v_lshrrev_b32_e32 v28, 24, v8
	v_cmp_ne_u32_e32 vcc, s87, v28
	v_bfrev_b32_e32 v1, 1
	s_and_saveexec_b64 s[94:95], vcc
	s_cbranch_execz .LBB2_211
; %bb.208:                              ;   in Loop: Header=BB2_132 Depth=3
	v_bfe_u32 v2, v8, 24, 7
	v_cmp_ne_u32_e32 vcc, s85, v2
	v_mov_b32_e32 v1, 0x7f800001
	s_and_saveexec_b64 s[30:31], vcc
	s_cbranch_execz .LBB2_210
; %bb.209:                              ;   in Loop: Header=BB2_132 Depth=3
	v_and_b32_e32 v3, 7, v28
	v_ffbh_u32_e32 v1, v3
	v_min_u32_e32 v6, 32, v1
	v_subrev_u32_e32 v1, 28, v6
	v_lshrrev_b32_e32 v5, 3, v2
	v_cmp_gt_u32_e32 vcc, 8, v2
	v_lshlrev_b64 v[1:2], v1, v[28:29]
	v_sub_u32_e32 v2, 29, v6
	v_and_b32_e32 v1, 7, v1
	v_cndmask_b32_e32 v2, v5, v2, vcc
	v_cndmask_b32_e32 v1, v3, v1, vcc
	v_lshlrev_b32_e32 v3, 24, v28
	v_lshlrev_b32_e32 v1, 20, v1
	v_and_b32_e32 v3, 0x80000000, v3
	v_lshl_add_u32 v2, v2, 23, v17
	v_or3_b32 v1, v3, v2, v1
.LBB2_210:                              ;   in Loop: Header=BB2_132 Depth=3
	s_or_b64 exec, exec, s[30:31]
.LBB2_211:                              ;   in Loop: Header=BB2_132 Depth=3
	s_or_b64 exec, exec, s[94:95]
.LBB2_212:                              ;   in Loop: Header=BB2_132 Depth=3
	s_or_b64 exec, exec, s[26:27]
	v_mul_f32_e32 v2, v19, v1
	v_and_b32_e32 v28, 0x7f800000, v2
	v_cmp_ne_u64_e32 vcc, s[76:77], v[28:29]
                                        ; implicit-def: $vgpr1
                                        ; kill: killed $vgpr1
	s_and_saveexec_b64 s[26:27], vcc
	s_xor_b64 s[94:95], exec, s[26:27]
	s_cbranch_execz .LBB2_226
; %bb.213:                              ;   in Loop: Header=BB2_132 Depth=3
	v_and_b32_e32 v28, 0x7fffffff, v2
	v_cmp_gt_u64_e32 vcc, s[78:79], v[28:29]
	v_and_b32_sdwa v1, v2, s87 dst_sel:DWORD dst_unused:UNUSED_PAD src0_sel:BYTE_3 src1_sel:DWORD
                                        ; implicit-def: $vgpr3
                                        ; kill: killed $vgpr3
	s_and_saveexec_b64 s[26:27], vcc
	s_xor_b64 s[30:31], exec, s[26:27]
	s_cbranch_execz .LBB2_223
; %bb.214:                              ;   in Loop: Header=BB2_132 Depth=3
	v_mov_b32_e32 v3, 0
	v_cmp_ne_u32_e32 vcc, 0, v2
	buffer_store_dword v3, off, s[0:3], s33 offset:164 ; 4-byte Folded Spill
	s_and_saveexec_b64 s[34:35], vcc
	s_cbranch_execz .LBB2_222
; %bb.215:                              ;   in Loop: Header=BB2_132 Depth=3
	v_and_b32_e32 v5, 0x7fffff, v2
	v_bfe_u32 v2, v2, 23, 8
	v_cmp_gt_u32_e64 s[26:27], s96, v2
	v_sub_u32_e32 v3, 0x79, v2
	v_cmp_eq_u32_e32 vcc, 0, v2
	v_cndmask_b32_e64 v3, 0, v3, s[26:27]
	v_or_b32_e32 v6, 0x800000, v5
	v_cndmask_b32_e32 v3, v3, v36, vcc
	v_cndmask_b32_e32 v28, v6, v5, vcc
	v_add_u32_e32 v5, 20, v3
	v_lshlrev_b64 v[5:6], v5, -1
	v_add_u32_e32 v7, 19, v3
	v_lshlrev_b64 v[22:23], v7, 1
	v_lshrrev_b64 v[46:47], v3, v[28:29]
	v_bfi_b32 v6, v6, 0, 0
	v_bfi_b32 v5, v5, 0, v28
	v_cmp_eq_u64_e64 s[26:27], v[5:6], v[22:23]
	v_mov_b32_e32 v57, v47
	v_mov_b32_e32 v56, v46
	s_and_saveexec_b64 s[36:37], s[26:27]
; %bb.216:                              ;   in Loop: Header=BB2_132 Depth=3
	v_bfe_u32 v5, v46, 20, 1
	v_add_co_u32_e64 v5, s[26:27], v46, v5
	v_add_co_u32_e64 v56, s[26:27], -1, v5
; %bb.217:                              ;   in Loop: Header=BB2_132 Depth=3
	s_or_b64 exec, exec, s[36:37]
	v_add_u32_e32 v2, 0xffffff81, v2
	v_cndmask_b32_e32 v2, v2, v37, vcc
	v_lshrrev_b32_e32 v5, 23, v46
	v_add3_u32 v5, v3, v2, v5
	v_add_u32_e32 v3, 6, v5
	v_and_b32_e32 v2, 0xfffff, v56
	v_add_u32_e32 v28, v2, v46
	v_cmp_ne_u32_e32 vcc, 0, v3
                                        ; implicit-def: $vgpr46_vgpr47
                                        ; implicit-def: $vgpr2
	s_and_saveexec_b64 s[26:27], vcc
	s_xor_b64 s[26:27], exec, s[26:27]
; %bb.218:                              ;   in Loop: Header=BB2_132 Depth=3
	v_cmp_lt_u64_e32 vcc, s[88:89], v[28:29]
	v_add_u32_e32 v2, 7, v5
	v_cndmask_b32_e32 v2, v3, v2, vcc
	v_cndmask_b32_e64 v3, 0, 1, vcc
	v_lshrrev_b64 v[46:47], v3, v[28:29]
; %bb.219:                              ;   in Loop: Header=BB2_132 Depth=3
	s_andn2_saveexec_b64 s[26:27], s[26:27]
; %bb.220:                              ;   in Loop: Header=BB2_132 Depth=3
	v_mov_b32_e32 v47, v29
	v_bfe_u32 v2, v28, 23, 1
	v_mov_b32_e32 v46, v28
; %bb.221:                              ;   in Loop: Header=BB2_132 Depth=3
	s_or_b64 exec, exec, s[26:27]
	v_lshrrev_b64 v[5:6], 20, v[46:47]
	v_cmp_gt_i32_e32 vcc, 16, v2
	v_cndmask_b32_e32 v6, 0, v6, vcc
	v_cndmask_b32_e32 v5, 7, v5, vcc
	v_cmp_eq_u32_e32 vcc, 0, v2
	v_min_i32_e32 v2, 15, v2
	v_cmp_eq_u64_e64 s[26:27], 0, v[5:6]
	v_lshlrev_b32_e32 v2, 3, v2
	v_and_b32_e32 v2, 0xf8, v2
	v_and_or_b32 v2, v5, 7, v2
	s_and_b64 s[26:27], vcc, s[26:27]
	v_cndmask_b32_e64 v2, v2, 0, s[26:27]
	v_or_b32_e32 v1, v2, v1
	buffer_store_dword v1, off, s[0:3], s33 offset:164 ; 4-byte Folded Spill
.LBB2_222:                              ;   in Loop: Header=BB2_132 Depth=3
	s_or_b64 exec, exec, s[34:35]
                                        ; implicit-def: $vgpr1
.LBB2_223:                              ;   in Loop: Header=BB2_132 Depth=3
	s_andn2_saveexec_b64 s[26:27], s[30:31]
	s_cbranch_execz .LBB2_225
; %bb.224:                              ;   in Loop: Header=BB2_132 Depth=3
	v_or_b32_e32 v1, 0x7e, v1
	buffer_store_dword v1, off, s[0:3], s33 offset:164 ; 4-byte Folded Spill
.LBB2_225:                              ;   in Loop: Header=BB2_132 Depth=3
	s_or_b64 exec, exec, s[26:27]
                                        ; implicit-def: $vgpr2
.LBB2_226:                              ;   in Loop: Header=BB2_132 Depth=3
	s_andn2_saveexec_b64 s[26:27], s[94:95]
	s_cbranch_execz .LBB2_228
; %bb.227:                              ;   in Loop: Header=BB2_132 Depth=3
	v_or_b32_sdwa v1, v2, s85 dst_sel:DWORD dst_unused:UNUSED_PAD src0_sel:BYTE_3 src1_sel:DWORD
	buffer_store_dword v1, off, s[0:3], s33 offset:164 ; 4-byte Folded Spill
.LBB2_228:                              ;   in Loop: Header=BB2_132 Depth=3
	s_or_b64 exec, exec, s[26:27]
	v_mov_b32_e32 v28, v9
	v_cmp_ne_u16_sdwa s[94:95], v9, v29 src0_sel:BYTE_0 src1_sel:DWORD
	v_mov_b32_e32 v1, 0
	s_and_saveexec_b64 s[26:27], s[94:95]
	s_cbranch_execz .LBB2_234
; %bb.229:                              ;   in Loop: Header=BB2_132 Depth=3
	v_cmp_ne_u16_sdwa vcc, v9, s87 src0_sel:BYTE_0 src1_sel:DWORD
	v_bfrev_b32_e32 v1, 1
	s_and_saveexec_b64 s[94:95], vcc
	s_cbranch_execz .LBB2_233
; %bb.230:                              ;   in Loop: Header=BB2_132 Depth=3
	v_and_b32_e32 v2, 0x7f, v9
	v_cmp_ne_u32_e32 vcc, s85, v2
	v_mov_b32_e32 v1, 0x7f800001
	s_and_saveexec_b64 s[30:31], vcc
	s_cbranch_execz .LBB2_232
; %bb.231:                              ;   in Loop: Header=BB2_132 Depth=3
	v_and_b32_e32 v1, 7, v9
	v_ffbh_u32_e32 v1, v1
	v_min_u32_e32 v1, 32, v1
	v_lshrrev_b32_e32 v3, 3, v2
	v_cmp_gt_u32_e32 vcc, 8, v2
	v_subrev_u32_e32 v2, 28, v1
	v_sub_u32_e32 v1, 29, v1
	v_cndmask_b32_e32 v3, v3, v1, vcc
	v_cndmask_b32_e32 v1, 0, v2, vcc
	v_lshlrev_b64 v[1:2], v1, v[28:29]
	v_lshlrev_b32_e32 v2, 24, v28
	v_lshlrev_b32_e32 v1, 20, v1
	v_and_b32_e32 v1, 0x700000, v1
	v_and_b32_e32 v2, 0x80000000, v2
	v_lshl_add_u32 v3, v3, 23, v17
	v_or3_b32 v1, v2, v3, v1
.LBB2_232:                              ;   in Loop: Header=BB2_132 Depth=3
	s_or_b64 exec, exec, s[30:31]
.LBB2_233:                              ;   in Loop: Header=BB2_132 Depth=3
	s_or_b64 exec, exec, s[94:95]
.LBB2_234:                              ;   in Loop: Header=BB2_132 Depth=3
	s_or_b64 exec, exec, s[26:27]
	v_mul_f32_e32 v2, v19, v1
	v_and_b32_e32 v5, 0x7f800000, v2
	v_mov_b32_e32 v6, v29
	v_cmp_ne_u64_e32 vcc, s[76:77], v[5:6]
                                        ; implicit-def: $vgpr1
                                        ; kill: killed $vgpr1
	s_and_saveexec_b64 s[26:27], vcc
	s_xor_b64 s[94:95], exec, s[26:27]
	s_cbranch_execz .LBB2_248
; %bb.235:                              ;   in Loop: Header=BB2_132 Depth=3
	v_and_b32_e32 v5, 0x7fffffff, v2
	v_mov_b32_e32 v6, v29
	v_cmp_gt_u64_e32 vcc, s[78:79], v[5:6]
	v_and_b32_sdwa v1, v2, s87 dst_sel:DWORD dst_unused:UNUSED_PAD src0_sel:BYTE_3 src1_sel:DWORD
                                        ; implicit-def: $vgpr3
                                        ; kill: killed $vgpr3
	s_and_saveexec_b64 s[26:27], vcc
	s_xor_b64 s[30:31], exec, s[26:27]
	s_cbranch_execz .LBB2_245
; %bb.236:                              ;   in Loop: Header=BB2_132 Depth=3
	v_mov_b32_e32 v3, 0
	v_cmp_ne_u32_e32 vcc, 0, v2
	buffer_store_dword v3, off, s[0:3], s33 offset:168 ; 4-byte Folded Spill
	s_and_saveexec_b64 s[34:35], vcc
	s_cbranch_execz .LBB2_244
; %bb.237:                              ;   in Loop: Header=BB2_132 Depth=3
	v_and_b32_e32 v5, 0x7fffff, v2
	v_bfe_u32 v2, v2, 23, 8
	v_cmp_gt_u32_e64 s[26:27], s96, v2
	v_sub_u32_e32 v3, 0x79, v2
	v_cmp_eq_u32_e32 vcc, 0, v2
	v_cndmask_b32_e64 v3, 0, v3, s[26:27]
	v_cndmask_b32_e32 v3, v3, v36, vcc
	v_or_b32_e32 v6, 0x800000, v5
	v_add_u32_e32 v7, 20, v3
	v_cndmask_b32_e32 v5, v6, v5, vcc
	v_mov_b32_e32 v6, v29
	v_lshlrev_b64 v[22:23], v7, -1
	v_add_u32_e32 v7, 19, v3
	v_lshlrev_b64 v[24:25], v7, 1
	v_lshrrev_b64 v[46:47], v3, v[5:6]
	v_bfi_b32 v23, v23, 0, 0
	v_bfi_b32 v22, v22, 0, v5
	v_cmp_eq_u64_e64 s[26:27], v[22:23], v[24:25]
	v_mov_b32_e32 v57, v47
	v_mov_b32_e32 v56, v46
	s_and_saveexec_b64 s[36:37], s[26:27]
; %bb.238:                              ;   in Loop: Header=BB2_132 Depth=3
	v_bfe_u32 v5, v46, 20, 1
	v_add_co_u32_e64 v5, s[26:27], v46, v5
	v_add_co_u32_e64 v56, s[26:27], -1, v5
; %bb.239:                              ;   in Loop: Header=BB2_132 Depth=3
	s_or_b64 exec, exec, s[36:37]
	v_add_u32_e32 v2, 0xffffff81, v2
	v_cndmask_b32_e32 v2, v2, v37, vcc
	v_lshrrev_b32_e32 v5, 23, v46
	v_add3_u32 v5, v3, v2, v5
	v_add_u32_e32 v3, 6, v5
	v_and_b32_e32 v2, 0xfffff, v56
	v_add_u32_e32 v46, v2, v46
	v_mov_b32_e32 v47, v29
	v_cmp_ne_u32_e32 vcc, 0, v3
                                        ; implicit-def: $vgpr2
	s_and_saveexec_b64 s[26:27], vcc
	s_xor_b64 s[26:27], exec, s[26:27]
; %bb.240:                              ;   in Loop: Header=BB2_132 Depth=3
	v_cmp_lt_u64_e32 vcc, s[88:89], v[46:47]
	v_add_u32_e32 v2, 7, v5
	v_cndmask_b32_e32 v2, v3, v2, vcc
	v_cndmask_b32_e64 v3, 0, 1, vcc
	v_lshrrev_b64 v[46:47], v3, v[46:47]
; %bb.241:                              ;   in Loop: Header=BB2_132 Depth=3
	s_andn2_saveexec_b64 s[26:27], s[26:27]
; %bb.242:                              ;   in Loop: Header=BB2_132 Depth=3
	v_bfe_u32 v2, v46, 23, 1
; %bb.243:                              ;   in Loop: Header=BB2_132 Depth=3
	s_or_b64 exec, exec, s[26:27]
	v_lshrrev_b64 v[5:6], 20, v[46:47]
	v_cmp_gt_i32_e32 vcc, 16, v2
	v_cndmask_b32_e32 v6, 0, v6, vcc
	v_cndmask_b32_e32 v5, 7, v5, vcc
	v_cmp_eq_u32_e32 vcc, 0, v2
	v_min_i32_e32 v2, 15, v2
	v_cmp_eq_u64_e64 s[26:27], 0, v[5:6]
	v_lshlrev_b32_e32 v2, 3, v2
	v_and_b32_e32 v2, 0xf8, v2
	v_and_or_b32 v2, v5, 7, v2
	s_and_b64 s[26:27], vcc, s[26:27]
	v_cndmask_b32_e64 v2, v2, 0, s[26:27]
	v_or_b32_e32 v1, v2, v1
	buffer_store_dword v1, off, s[0:3], s33 offset:168 ; 4-byte Folded Spill
.LBB2_244:                              ;   in Loop: Header=BB2_132 Depth=3
	s_or_b64 exec, exec, s[34:35]
                                        ; implicit-def: $vgpr1
.LBB2_245:                              ;   in Loop: Header=BB2_132 Depth=3
	s_andn2_saveexec_b64 s[26:27], s[30:31]
	s_cbranch_execz .LBB2_247
; %bb.246:                              ;   in Loop: Header=BB2_132 Depth=3
	v_or_b32_e32 v1, 0x7e, v1
	buffer_store_dword v1, off, s[0:3], s33 offset:168 ; 4-byte Folded Spill
.LBB2_247:                              ;   in Loop: Header=BB2_132 Depth=3
	s_or_b64 exec, exec, s[26:27]
                                        ; implicit-def: $vgpr2
.LBB2_248:                              ;   in Loop: Header=BB2_132 Depth=3
	s_andn2_saveexec_b64 s[26:27], s[94:95]
	s_cbranch_execz .LBB2_250
; %bb.249:                              ;   in Loop: Header=BB2_132 Depth=3
	v_or_b32_sdwa v1, v2, s85 dst_sel:DWORD dst_unused:UNUSED_PAD src0_sel:BYTE_3 src1_sel:DWORD
	buffer_store_dword v1, off, s[0:3], s33 offset:168 ; 4-byte Folded Spill
.LBB2_250:                              ;   in Loop: Header=BB2_132 Depth=3
	s_or_b64 exec, exec, s[26:27]
	v_lshrrev_b16_e32 v30, 8, v28
	v_cmp_ne_u16_e32 vcc, 0, v30
	v_mov_b32_e32 v1, 0
	s_and_saveexec_b64 s[26:27], vcc
	s_cbranch_execz .LBB2_256
; %bb.251:                              ;   in Loop: Header=BB2_132 Depth=3
	v_cmp_ne_u16_e32 vcc, s87, v30
	v_bfrev_b32_e32 v1, 1
	s_and_saveexec_b64 s[94:95], vcc
	s_cbranch_execz .LBB2_255
; %bb.252:                              ;   in Loop: Header=BB2_132 Depth=3
	v_and_b32_e32 v2, 0x7f, v30
	v_cmp_ne_u32_e32 vcc, s85, v2
	v_mov_b32_e32 v1, 0x7f800001
	s_and_saveexec_b64 s[30:31], vcc
	s_cbranch_execz .LBB2_254
; %bb.253:                              ;   in Loop: Header=BB2_132 Depth=3
	v_and_b32_e32 v3, 7, v30
	v_ffbh_u32_e32 v1, v3
	v_min_u32_e32 v6, 32, v1
	v_subrev_u32_e32 v1, 28, v6
	v_lshrrev_b32_e32 v5, 3, v2
	v_cmp_gt_u32_e32 vcc, 8, v2
	v_lshlrev_b64 v[1:2], v1, v[30:31]
	v_sub_u32_e32 v2, 29, v6
	v_and_b32_e32 v1, 7, v1
	v_cndmask_b32_e32 v2, v5, v2, vcc
	v_cndmask_b32_e32 v1, v3, v1, vcc
	v_lshlrev_b32_e32 v3, 16, v28
	v_lshlrev_b32_e32 v1, 20, v1
	v_and_b32_e32 v3, 0x80000000, v3
	v_lshl_add_u32 v2, v2, 23, v17
	v_or3_b32 v1, v3, v2, v1
.LBB2_254:                              ;   in Loop: Header=BB2_132 Depth=3
	s_or_b64 exec, exec, s[30:31]
.LBB2_255:                              ;   in Loop: Header=BB2_132 Depth=3
	s_or_b64 exec, exec, s[94:95]
.LBB2_256:                              ;   in Loop: Header=BB2_132 Depth=3
	s_or_b64 exec, exec, s[26:27]
	v_mul_f32_e32 v2, v19, v1
	v_and_b32_e32 v28, 0x7f800000, v2
	v_cmp_ne_u64_e32 vcc, s[76:77], v[28:29]
                                        ; implicit-def: $vgpr1
                                        ; kill: killed $vgpr1
	s_and_saveexec_b64 s[26:27], vcc
	s_xor_b64 s[94:95], exec, s[26:27]
	s_cbranch_execz .LBB2_270
; %bb.257:                              ;   in Loop: Header=BB2_132 Depth=3
	v_and_b32_e32 v28, 0x7fffffff, v2
	v_cmp_gt_u64_e32 vcc, s[78:79], v[28:29]
	v_and_b32_sdwa v1, v2, s87 dst_sel:DWORD dst_unused:UNUSED_PAD src0_sel:BYTE_3 src1_sel:DWORD
                                        ; implicit-def: $vgpr3
                                        ; kill: killed $vgpr3
	s_and_saveexec_b64 s[26:27], vcc
	s_xor_b64 s[30:31], exec, s[26:27]
	s_cbranch_execz .LBB2_267
; %bb.258:                              ;   in Loop: Header=BB2_132 Depth=3
	v_mov_b32_e32 v3, 0
	v_cmp_ne_u32_e32 vcc, 0, v2
	buffer_store_dword v3, off, s[0:3], s33 offset:172 ; 4-byte Folded Spill
	s_and_saveexec_b64 s[34:35], vcc
	s_cbranch_execz .LBB2_266
; %bb.259:                              ;   in Loop: Header=BB2_132 Depth=3
	v_and_b32_e32 v5, 0x7fffff, v2
	v_bfe_u32 v2, v2, 23, 8
	v_cmp_gt_u32_e64 s[26:27], s96, v2
	v_sub_u32_e32 v3, 0x79, v2
	v_cmp_eq_u32_e32 vcc, 0, v2
	v_cndmask_b32_e64 v3, 0, v3, s[26:27]
	v_or_b32_e32 v6, 0x800000, v5
	v_cndmask_b32_e32 v3, v3, v36, vcc
	v_cndmask_b32_e32 v28, v6, v5, vcc
	v_add_u32_e32 v5, 20, v3
	v_lshlrev_b64 v[5:6], v5, -1
	v_add_u32_e32 v7, 19, v3
	v_lshlrev_b64 v[22:23], v7, 1
	v_lshrrev_b64 v[46:47], v3, v[28:29]
	v_bfi_b32 v6, v6, 0, 0
	v_bfi_b32 v5, v5, 0, v28
	v_cmp_eq_u64_e64 s[26:27], v[5:6], v[22:23]
	v_mov_b32_e32 v57, v47
	v_mov_b32_e32 v56, v46
	s_and_saveexec_b64 s[36:37], s[26:27]
; %bb.260:                              ;   in Loop: Header=BB2_132 Depth=3
	v_bfe_u32 v5, v46, 20, 1
	v_add_co_u32_e64 v5, s[26:27], v46, v5
	v_add_co_u32_e64 v56, s[26:27], -1, v5
; %bb.261:                              ;   in Loop: Header=BB2_132 Depth=3
	s_or_b64 exec, exec, s[36:37]
	v_add_u32_e32 v2, 0xffffff81, v2
	v_cndmask_b32_e32 v2, v2, v37, vcc
	v_lshrrev_b32_e32 v5, 23, v46
	v_add3_u32 v5, v3, v2, v5
	v_add_u32_e32 v3, 6, v5
	v_and_b32_e32 v2, 0xfffff, v56
	v_add_u32_e32 v28, v2, v46
	v_cmp_ne_u32_e32 vcc, 0, v3
                                        ; implicit-def: $vgpr46_vgpr47
                                        ; implicit-def: $vgpr2
	s_and_saveexec_b64 s[26:27], vcc
	s_xor_b64 s[26:27], exec, s[26:27]
; %bb.262:                              ;   in Loop: Header=BB2_132 Depth=3
	v_cmp_lt_u64_e32 vcc, s[88:89], v[28:29]
	v_add_u32_e32 v2, 7, v5
	v_cndmask_b32_e32 v2, v3, v2, vcc
	v_cndmask_b32_e64 v3, 0, 1, vcc
	v_lshrrev_b64 v[46:47], v3, v[28:29]
; %bb.263:                              ;   in Loop: Header=BB2_132 Depth=3
	s_andn2_saveexec_b64 s[26:27], s[26:27]
; %bb.264:                              ;   in Loop: Header=BB2_132 Depth=3
	v_mov_b32_e32 v47, v29
	v_bfe_u32 v2, v28, 23, 1
	v_mov_b32_e32 v46, v28
; %bb.265:                              ;   in Loop: Header=BB2_132 Depth=3
	s_or_b64 exec, exec, s[26:27]
	v_lshrrev_b64 v[5:6], 20, v[46:47]
	v_cmp_gt_i32_e32 vcc, 16, v2
	v_cndmask_b32_e32 v6, 0, v6, vcc
	v_cndmask_b32_e32 v5, 7, v5, vcc
	v_cmp_eq_u32_e32 vcc, 0, v2
	v_min_i32_e32 v2, 15, v2
	v_cmp_eq_u64_e64 s[26:27], 0, v[5:6]
	v_lshlrev_b32_e32 v2, 3, v2
	v_and_b32_e32 v2, 0xf8, v2
	v_and_or_b32 v2, v5, 7, v2
	s_and_b64 s[26:27], vcc, s[26:27]
	v_cndmask_b32_e64 v2, v2, 0, s[26:27]
	v_or_b32_e32 v1, v2, v1
	buffer_store_dword v1, off, s[0:3], s33 offset:172 ; 4-byte Folded Spill
.LBB2_266:                              ;   in Loop: Header=BB2_132 Depth=3
	s_or_b64 exec, exec, s[34:35]
                                        ; implicit-def: $vgpr1
.LBB2_267:                              ;   in Loop: Header=BB2_132 Depth=3
	s_andn2_saveexec_b64 s[26:27], s[30:31]
	s_cbranch_execz .LBB2_269
; %bb.268:                              ;   in Loop: Header=BB2_132 Depth=3
	v_or_b32_e32 v1, 0x7e, v1
	buffer_store_dword v1, off, s[0:3], s33 offset:172 ; 4-byte Folded Spill
.LBB2_269:                              ;   in Loop: Header=BB2_132 Depth=3
	s_or_b64 exec, exec, s[26:27]
                                        ; implicit-def: $vgpr2
.LBB2_270:                              ;   in Loop: Header=BB2_132 Depth=3
	s_andn2_saveexec_b64 s[26:27], s[94:95]
	s_cbranch_execz .LBB2_272
; %bb.271:                              ;   in Loop: Header=BB2_132 Depth=3
	v_or_b32_sdwa v1, v2, s85 dst_sel:DWORD dst_unused:UNUSED_PAD src0_sel:BYTE_3 src1_sel:DWORD
	buffer_store_dword v1, off, s[0:3], s33 offset:172 ; 4-byte Folded Spill
.LBB2_272:                              ;   in Loop: Header=BB2_132 Depth=3
	s_or_b64 exec, exec, s[26:27]
	v_lshrrev_b32_e32 v28, 16, v9
	v_cmp_ne_u16_sdwa s[94:95], v28, v29 src0_sel:BYTE_0 src1_sel:DWORD
	v_mov_b32_e32 v1, 0
	s_and_saveexec_b64 s[26:27], s[94:95]
	s_cbranch_execz .LBB2_278
; %bb.273:                              ;   in Loop: Header=BB2_132 Depth=3
	v_cmp_ne_u16_sdwa vcc, v28, s87 src0_sel:BYTE_0 src1_sel:DWORD
	v_bfrev_b32_e32 v1, 1
	s_and_saveexec_b64 s[94:95], vcc
	s_cbranch_execz .LBB2_277
; %bb.274:                              ;   in Loop: Header=BB2_132 Depth=3
	v_bfe_u32 v2, v9, 16, 7
	v_cmp_ne_u32_e32 vcc, s85, v2
	v_mov_b32_e32 v1, 0x7f800001
	s_and_saveexec_b64 s[30:31], vcc
	s_cbranch_execz .LBB2_276
; %bb.275:                              ;   in Loop: Header=BB2_132 Depth=3
	v_and_b32_e32 v3, 7, v28
	v_ffbh_u32_e32 v1, v3
	v_min_u32_e32 v6, 32, v1
	v_subrev_u32_e32 v1, 28, v6
	v_lshrrev_b32_e32 v5, 3, v2
	v_cmp_gt_u32_e32 vcc, 8, v2
	v_lshlrev_b64 v[1:2], v1, v[28:29]
	v_sub_u32_e32 v2, 29, v6
	v_and_b32_e32 v1, 7, v1
	v_cndmask_b32_e32 v2, v5, v2, vcc
	v_cndmask_b32_e32 v1, v3, v1, vcc
	v_lshlrev_b32_e32 v3, 24, v28
	v_lshlrev_b32_e32 v1, 20, v1
	v_and_b32_e32 v3, 0x80000000, v3
	v_lshl_add_u32 v2, v2, 23, v17
	v_or3_b32 v1, v3, v2, v1
.LBB2_276:                              ;   in Loop: Header=BB2_132 Depth=3
	s_or_b64 exec, exec, s[30:31]
.LBB2_277:                              ;   in Loop: Header=BB2_132 Depth=3
	s_or_b64 exec, exec, s[94:95]
.LBB2_278:                              ;   in Loop: Header=BB2_132 Depth=3
	s_or_b64 exec, exec, s[26:27]
	v_mul_f32_e32 v2, v19, v1
	v_and_b32_e32 v28, 0x7f800000, v2
	v_cmp_ne_u64_e32 vcc, s[76:77], v[28:29]
                                        ; implicit-def: $vgpr56
	s_and_saveexec_b64 s[26:27], vcc
	s_xor_b64 s[94:95], exec, s[26:27]
	s_cbranch_execz .LBB2_292
; %bb.279:                              ;   in Loop: Header=BB2_132 Depth=3
	v_and_b32_e32 v28, 0x7fffffff, v2
	v_cmp_gt_u64_e32 vcc, s[78:79], v[28:29]
	v_and_b32_sdwa v1, v2, s87 dst_sel:DWORD dst_unused:UNUSED_PAD src0_sel:BYTE_3 src1_sel:DWORD
                                        ; implicit-def: $vgpr56
	s_and_saveexec_b64 s[26:27], vcc
	s_xor_b64 s[30:31], exec, s[26:27]
	s_cbranch_execz .LBB2_289
; %bb.280:                              ;   in Loop: Header=BB2_132 Depth=3
	v_mov_b32_e32 v56, 0
	v_cmp_ne_u32_e32 vcc, 0, v2
	s_and_saveexec_b64 s[34:35], vcc
	s_cbranch_execz .LBB2_288
; %bb.281:                              ;   in Loop: Header=BB2_132 Depth=3
	v_and_b32_e32 v5, 0x7fffff, v2
	v_bfe_u32 v2, v2, 23, 8
	v_cmp_gt_u32_e64 s[26:27], s96, v2
	v_sub_u32_e32 v3, 0x79, v2
	v_cmp_eq_u32_e32 vcc, 0, v2
	v_cndmask_b32_e64 v3, 0, v3, s[26:27]
	v_or_b32_e32 v6, 0x800000, v5
	v_cndmask_b32_e32 v3, v3, v36, vcc
	v_cndmask_b32_e32 v28, v6, v5, vcc
	v_add_u32_e32 v5, 20, v3
	v_lshlrev_b64 v[5:6], v5, -1
	v_add_u32_e32 v7, 19, v3
	v_lshlrev_b64 v[22:23], v7, 1
	v_lshrrev_b64 v[46:47], v3, v[28:29]
	v_bfi_b32 v6, v6, 0, 0
	v_bfi_b32 v5, v5, 0, v28
	v_cmp_eq_u64_e64 s[26:27], v[5:6], v[22:23]
	v_mov_b32_e32 v57, v47
	v_mov_b32_e32 v56, v46
	s_and_saveexec_b64 s[36:37], s[26:27]
; %bb.282:                              ;   in Loop: Header=BB2_132 Depth=3
	v_bfe_u32 v5, v46, 20, 1
	v_add_co_u32_e64 v5, s[26:27], v46, v5
	v_add_co_u32_e64 v56, s[26:27], -1, v5
; %bb.283:                              ;   in Loop: Header=BB2_132 Depth=3
	s_or_b64 exec, exec, s[36:37]
	v_add_u32_e32 v2, 0xffffff81, v2
	v_cndmask_b32_e32 v2, v2, v37, vcc
	v_lshrrev_b32_e32 v5, 23, v46
	v_add3_u32 v5, v3, v2, v5
	v_add_u32_e32 v3, 6, v5
	v_and_b32_e32 v2, 0xfffff, v56
	v_add_u32_e32 v28, v2, v46
	v_cmp_ne_u32_e32 vcc, 0, v3
                                        ; implicit-def: $vgpr46_vgpr47
                                        ; implicit-def: $vgpr2
	s_and_saveexec_b64 s[26:27], vcc
	s_xor_b64 s[26:27], exec, s[26:27]
; %bb.284:                              ;   in Loop: Header=BB2_132 Depth=3
	v_cmp_lt_u64_e32 vcc, s[88:89], v[28:29]
	v_add_u32_e32 v2, 7, v5
	v_cndmask_b32_e32 v2, v3, v2, vcc
	v_cndmask_b32_e64 v3, 0, 1, vcc
	v_lshrrev_b64 v[46:47], v3, v[28:29]
; %bb.285:                              ;   in Loop: Header=BB2_132 Depth=3
	s_andn2_saveexec_b64 s[26:27], s[26:27]
; %bb.286:                              ;   in Loop: Header=BB2_132 Depth=3
	v_mov_b32_e32 v47, v29
	v_bfe_u32 v2, v28, 23, 1
	v_mov_b32_e32 v46, v28
; %bb.287:                              ;   in Loop: Header=BB2_132 Depth=3
	s_or_b64 exec, exec, s[26:27]
	v_lshrrev_b64 v[5:6], 20, v[46:47]
	v_cmp_gt_i32_e32 vcc, 16, v2
	v_cndmask_b32_e32 v6, 0, v6, vcc
	v_cndmask_b32_e32 v5, 7, v5, vcc
	v_cmp_eq_u32_e32 vcc, 0, v2
	v_min_i32_e32 v2, 15, v2
	v_cmp_eq_u64_e64 s[26:27], 0, v[5:6]
	v_lshlrev_b32_e32 v2, 3, v2
	v_and_b32_e32 v2, 0xf8, v2
	v_and_or_b32 v2, v5, 7, v2
	s_and_b64 s[26:27], vcc, s[26:27]
	v_cndmask_b32_e64 v2, v2, 0, s[26:27]
	v_or_b32_e32 v56, v2, v1
.LBB2_288:                              ;   in Loop: Header=BB2_132 Depth=3
	s_or_b64 exec, exec, s[34:35]
                                        ; implicit-def: $vgpr1
.LBB2_289:                              ;   in Loop: Header=BB2_132 Depth=3
	s_andn2_saveexec_b64 s[26:27], s[30:31]
; %bb.290:                              ;   in Loop: Header=BB2_132 Depth=3
	v_or_b32_e32 v56, 0x7e, v1
; %bb.291:                              ;   in Loop: Header=BB2_132 Depth=3
	s_or_b64 exec, exec, s[26:27]
                                        ; implicit-def: $vgpr2
.LBB2_292:                              ;   in Loop: Header=BB2_132 Depth=3
	s_andn2_saveexec_b64 s[26:27], s[94:95]
; %bb.293:                              ;   in Loop: Header=BB2_132 Depth=3
	v_or_b32_sdwa v56, v2, s85 dst_sel:DWORD dst_unused:UNUSED_PAD src0_sel:BYTE_3 src1_sel:DWORD
; %bb.294:                              ;   in Loop: Header=BB2_132 Depth=3
	s_or_b64 exec, exec, s[26:27]
	v_cmp_lt_u64_e32 vcc, s[56:57], v[8:9]
	v_mov_b32_e32 v1, 0
	s_and_saveexec_b64 s[26:27], vcc
	s_cbranch_execz .LBB2_300
; %bb.295:                              ;   in Loop: Header=BB2_132 Depth=3
	v_lshrrev_b32_e32 v8, 24, v9
	v_cmp_ne_u32_e32 vcc, s87, v8
	v_bfrev_b32_e32 v1, 1
	s_and_saveexec_b64 s[94:95], vcc
	s_cbranch_execz .LBB2_299
; %bb.296:                              ;   in Loop: Header=BB2_132 Depth=3
	v_bfe_u32 v2, v9, 24, 7
	v_cmp_ne_u32_e32 vcc, s85, v2
	v_mov_b32_e32 v1, 0x7f800001
	s_and_saveexec_b64 s[30:31], vcc
	s_cbranch_execz .LBB2_298
; %bb.297:                              ;   in Loop: Header=BB2_132 Depth=3
	v_and_b32_e32 v3, 7, v8
	v_ffbh_u32_e32 v1, v3
	v_min_u32_e32 v6, 32, v1
	v_subrev_u32_e32 v1, 28, v6
	v_lshrrev_b32_e32 v5, 3, v2
	v_cmp_gt_u32_e32 vcc, 8, v2
	v_lshlrev_b64 v[1:2], v1, v[8:9]
	v_sub_u32_e32 v2, 29, v6
	v_and_b32_e32 v1, 7, v1
	v_cndmask_b32_e32 v2, v5, v2, vcc
	v_cndmask_b32_e32 v1, v3, v1, vcc
	v_lshlrev_b32_e32 v3, 24, v8
	v_lshlrev_b32_e32 v1, 20, v1
	v_and_b32_e32 v3, 0x80000000, v3
	v_lshl_add_u32 v2, v2, 23, v17
	v_or3_b32 v1, v3, v2, v1
.LBB2_298:                              ;   in Loop: Header=BB2_132 Depth=3
	s_or_b64 exec, exec, s[30:31]
.LBB2_299:                              ;   in Loop: Header=BB2_132 Depth=3
	s_or_b64 exec, exec, s[94:95]
.LBB2_300:                              ;   in Loop: Header=BB2_132 Depth=3
	s_or_b64 exec, exec, s[26:27]
	v_mul_f32_e32 v2, v19, v1
	v_and_b32_e32 v28, 0x7f800000, v2
	v_cmp_ne_u64_e32 vcc, s[76:77], v[28:29]
                                        ; implicit-def: $vgpr57
	s_and_saveexec_b64 s[26:27], vcc
	s_xor_b64 s[94:95], exec, s[26:27]
	s_cbranch_execz .LBB2_314
; %bb.301:                              ;   in Loop: Header=BB2_132 Depth=3
	v_and_b32_e32 v28, 0x7fffffff, v2
	v_cmp_gt_u64_e32 vcc, s[78:79], v[28:29]
	v_and_b32_sdwa v1, v2, s87 dst_sel:DWORD dst_unused:UNUSED_PAD src0_sel:BYTE_3 src1_sel:DWORD
                                        ; implicit-def: $vgpr57
	s_and_saveexec_b64 s[26:27], vcc
	s_xor_b64 s[30:31], exec, s[26:27]
	s_cbranch_execz .LBB2_311
; %bb.302:                              ;   in Loop: Header=BB2_132 Depth=3
	v_mov_b32_e32 v57, 0
	v_cmp_ne_u32_e32 vcc, 0, v2
	s_and_saveexec_b64 s[34:35], vcc
	s_cbranch_execz .LBB2_310
; %bb.303:                              ;   in Loop: Header=BB2_132 Depth=3
	v_and_b32_e32 v5, 0x7fffff, v2
	v_bfe_u32 v2, v2, 23, 8
	v_cmp_gt_u32_e64 s[26:27], s96, v2
	v_sub_u32_e32 v3, 0x79, v2
	v_cmp_eq_u32_e32 vcc, 0, v2
	v_cndmask_b32_e64 v3, 0, v3, s[26:27]
	v_or_b32_e32 v6, 0x800000, v5
	v_cndmask_b32_e32 v3, v3, v36, vcc
	v_cndmask_b32_e32 v28, v6, v5, vcc
	v_add_u32_e32 v5, 20, v3
	v_lshlrev_b64 v[5:6], v5, -1
	v_add_u32_e32 v7, 19, v3
	v_lshlrev_b64 v[7:8], v7, 1
	v_bfi_b32 v6, v6, 0, 0
	v_bfi_b32 v5, v5, 0, v28
	v_cmp_eq_u64_e64 s[26:27], v[5:6], v[7:8]
	v_lshrrev_b64 v[8:9], v3, v[28:29]
	v_mov_b32_e32 v47, v9
	v_mov_b32_e32 v46, v8
	s_and_saveexec_b64 s[36:37], s[26:27]
; %bb.304:                              ;   in Loop: Header=BB2_132 Depth=3
	v_bfe_u32 v5, v8, 20, 1
	v_add_co_u32_e64 v5, s[26:27], v8, v5
	v_add_co_u32_e64 v46, s[26:27], -1, v5
; %bb.305:                              ;   in Loop: Header=BB2_132 Depth=3
	s_or_b64 exec, exec, s[36:37]
	v_add_u32_e32 v2, 0xffffff81, v2
	v_cndmask_b32_e32 v2, v2, v37, vcc
	v_lshrrev_b32_e32 v5, 23, v8
	v_add3_u32 v5, v3, v2, v5
	v_add_u32_e32 v3, 6, v5
	v_and_b32_e32 v2, 0xfffff, v46
	v_add_u32_e32 v28, v2, v8
	v_cmp_ne_u32_e32 vcc, 0, v3
                                        ; implicit-def: $vgpr8_vgpr9
                                        ; implicit-def: $vgpr2
	s_and_saveexec_b64 s[26:27], vcc
	s_xor_b64 s[26:27], exec, s[26:27]
; %bb.306:                              ;   in Loop: Header=BB2_132 Depth=3
	v_cmp_lt_u64_e32 vcc, s[88:89], v[28:29]
	v_add_u32_e32 v2, 7, v5
	v_cndmask_b32_e32 v2, v3, v2, vcc
	v_cndmask_b32_e64 v3, 0, 1, vcc
	v_lshrrev_b64 v[8:9], v3, v[28:29]
; %bb.307:                              ;   in Loop: Header=BB2_132 Depth=3
	s_andn2_saveexec_b64 s[26:27], s[26:27]
; %bb.308:                              ;   in Loop: Header=BB2_132 Depth=3
	v_mov_b32_e32 v8, v28
	v_bfe_u32 v2, v28, 23, 1
	v_mov_b32_e32 v9, v29
; %bb.309:                              ;   in Loop: Header=BB2_132 Depth=3
	s_or_b64 exec, exec, s[26:27]
	v_lshrrev_b64 v[5:6], 20, v[8:9]
	v_cmp_gt_i32_e32 vcc, 16, v2
	v_cndmask_b32_e32 v6, 0, v6, vcc
	v_cndmask_b32_e32 v5, 7, v5, vcc
	v_cmp_eq_u32_e32 vcc, 0, v2
	v_min_i32_e32 v2, 15, v2
	v_cmp_eq_u64_e64 s[26:27], 0, v[5:6]
	v_lshlrev_b32_e32 v2, 3, v2
	v_and_b32_e32 v2, 0xf8, v2
	v_and_or_b32 v2, v5, 7, v2
	s_and_b64 s[26:27], vcc, s[26:27]
	v_cndmask_b32_e64 v2, v2, 0, s[26:27]
	v_or_b32_e32 v57, v2, v1
.LBB2_310:                              ;   in Loop: Header=BB2_132 Depth=3
	s_or_b64 exec, exec, s[34:35]
                                        ; implicit-def: $vgpr1
.LBB2_311:                              ;   in Loop: Header=BB2_132 Depth=3
	s_andn2_saveexec_b64 s[26:27], s[30:31]
; %bb.312:                              ;   in Loop: Header=BB2_132 Depth=3
	v_or_b32_e32 v57, 0x7e, v1
; %bb.313:                              ;   in Loop: Header=BB2_132 Depth=3
	s_or_b64 exec, exec, s[26:27]
                                        ; implicit-def: $vgpr2
.LBB2_314:                              ;   in Loop: Header=BB2_132 Depth=3
	s_andn2_saveexec_b64 s[26:27], s[94:95]
; %bb.315:                              ;   in Loop: Header=BB2_132 Depth=3
	v_or_b32_sdwa v57, v2, s85 dst_sel:DWORD dst_unused:UNUSED_PAD src0_sel:BYTE_3 src1_sel:DWORD
; %bb.316:                              ;   in Loop: Header=BB2_132 Depth=3
	s_or_b64 exec, exec, s[26:27]
	v_cmp_ne_u16_sdwa s[94:95], v10, v29 src0_sel:BYTE_0 src1_sel:DWORD
	v_mov_b32_e32 v1, 0
	s_and_saveexec_b64 s[26:27], s[94:95]
	s_cbranch_execz .LBB2_322
; %bb.317:                              ;   in Loop: Header=BB2_132 Depth=3
	v_cmp_ne_u16_sdwa vcc, v10, s87 src0_sel:BYTE_0 src1_sel:DWORD
	v_bfrev_b32_e32 v1, 1
	s_and_saveexec_b64 s[94:95], vcc
	s_cbranch_execz .LBB2_321
; %bb.318:                              ;   in Loop: Header=BB2_132 Depth=3
	v_and_b32_e32 v2, 0x7f, v10
	v_cmp_ne_u32_e32 vcc, s85, v2
	v_mov_b32_e32 v1, 0x7f800001
	s_and_saveexec_b64 s[30:31], vcc
	s_cbranch_execz .LBB2_320
; %bb.319:                              ;   in Loop: Header=BB2_132 Depth=3
	v_and_b32_e32 v1, 7, v10
	v_ffbh_u32_e32 v1, v1
	v_min_u32_e32 v1, 32, v1
	v_lshrrev_b32_e32 v3, 3, v2
	v_cmp_gt_u32_e32 vcc, 8, v2
	v_subrev_u32_e32 v2, 28, v1
	v_sub_u32_e32 v1, 29, v1
	v_cndmask_b32_e32 v3, v3, v1, vcc
	v_cndmask_b32_e32 v1, 0, v2, vcc
	v_lshlrev_b64 v[1:2], v1, v[10:11]
	v_lshlrev_b32_e32 v2, 24, v10
	v_lshlrev_b32_e32 v1, 20, v1
	v_and_b32_e32 v1, 0x700000, v1
	v_and_b32_e32 v2, 0x80000000, v2
	v_lshl_add_u32 v3, v3, 23, v17
	v_or3_b32 v1, v2, v3, v1
.LBB2_320:                              ;   in Loop: Header=BB2_132 Depth=3
	s_or_b64 exec, exec, s[30:31]
.LBB2_321:                              ;   in Loop: Header=BB2_132 Depth=3
	s_or_b64 exec, exec, s[94:95]
.LBB2_322:                              ;   in Loop: Header=BB2_132 Depth=3
	s_or_b64 exec, exec, s[26:27]
	v_mul_f32_e32 v3, v19, v1
	v_and_b32_e32 v28, 0x7f800000, v3
	v_cmp_ne_u64_e32 vcc, s[76:77], v[28:29]
                                        ; implicit-def: $vgpr1
	s_and_saveexec_b64 s[26:27], vcc
	s_xor_b64 s[94:95], exec, s[26:27]
	s_cbranch_execz .LBB2_336
; %bb.323:                              ;   in Loop: Header=BB2_132 Depth=3
	v_and_b32_e32 v28, 0x7fffffff, v3
	v_cmp_gt_u64_e32 vcc, s[78:79], v[28:29]
	v_and_b32_sdwa v2, v3, s87 dst_sel:DWORD dst_unused:UNUSED_PAD src0_sel:BYTE_3 src1_sel:DWORD
                                        ; implicit-def: $vgpr1
	s_and_saveexec_b64 s[26:27], vcc
	s_xor_b64 s[30:31], exec, s[26:27]
	s_cbranch_execz .LBB2_333
; %bb.324:                              ;   in Loop: Header=BB2_132 Depth=3
	v_mov_b32_e32 v1, 0
	v_cmp_ne_u32_e32 vcc, 0, v3
	s_and_saveexec_b64 s[34:35], vcc
	s_cbranch_execz .LBB2_332
; %bb.325:                              ;   in Loop: Header=BB2_132 Depth=3
	v_bfe_u32 v1, v3, 23, 8
	v_and_b32_e32 v5, 0x7fffff, v3
	v_cmp_gt_u32_e64 s[26:27], s96, v1
	v_sub_u32_e32 v3, 0x79, v1
	v_cmp_eq_u32_e32 vcc, 0, v1
	v_cndmask_b32_e64 v3, 0, v3, s[26:27]
	v_or_b32_e32 v6, 0x800000, v5
	v_cndmask_b32_e32 v3, v3, v36, vcc
	v_cndmask_b32_e32 v28, v6, v5, vcc
	v_add_u32_e32 v5, 20, v3
	v_lshlrev_b64 v[5:6], v5, -1
	v_add_u32_e32 v7, 19, v3
	v_lshlrev_b64 v[7:8], v7, 1
	v_bfi_b32 v6, v6, 0, 0
	v_bfi_b32 v5, v5, 0, v28
	v_cmp_eq_u64_e64 s[26:27], v[5:6], v[7:8]
	v_lshrrev_b64 v[8:9], v3, v[28:29]
	v_mov_b32_e32 v47, v9
	v_mov_b32_e32 v46, v8
	s_and_saveexec_b64 s[36:37], s[26:27]
; %bb.326:                              ;   in Loop: Header=BB2_132 Depth=3
	v_bfe_u32 v5, v8, 20, 1
	v_add_co_u32_e64 v5, s[26:27], v8, v5
	v_add_co_u32_e64 v46, s[26:27], -1, v5
; %bb.327:                              ;   in Loop: Header=BB2_132 Depth=3
	s_or_b64 exec, exec, s[36:37]
	v_add_u32_e32 v1, 0xffffff81, v1
	v_cndmask_b32_e32 v1, v1, v37, vcc
	v_lshrrev_b32_e32 v5, 23, v8
	v_add3_u32 v5, v3, v1, v5
	v_add_u32_e32 v3, 6, v5
	v_and_b32_e32 v1, 0xfffff, v46
	v_add_u32_e32 v28, v1, v8
	v_cmp_ne_u32_e32 vcc, 0, v3
                                        ; implicit-def: $vgpr8_vgpr9
                                        ; implicit-def: $vgpr1
	s_and_saveexec_b64 s[26:27], vcc
	s_xor_b64 s[26:27], exec, s[26:27]
; %bb.328:                              ;   in Loop: Header=BB2_132 Depth=3
	v_cmp_lt_u64_e32 vcc, s[88:89], v[28:29]
	v_add_u32_e32 v1, 7, v5
	v_cndmask_b32_e32 v1, v3, v1, vcc
	v_cndmask_b32_e64 v3, 0, 1, vcc
	v_lshrrev_b64 v[8:9], v3, v[28:29]
; %bb.329:                              ;   in Loop: Header=BB2_132 Depth=3
	s_andn2_saveexec_b64 s[26:27], s[26:27]
; %bb.330:                              ;   in Loop: Header=BB2_132 Depth=3
	v_mov_b32_e32 v8, v28
	v_bfe_u32 v1, v28, 23, 1
	v_mov_b32_e32 v9, v29
; %bb.331:                              ;   in Loop: Header=BB2_132 Depth=3
	s_or_b64 exec, exec, s[26:27]
	v_lshrrev_b64 v[5:6], 20, v[8:9]
	v_cmp_gt_i32_e32 vcc, 16, v1
	v_cndmask_b32_e32 v6, 0, v6, vcc
	v_cndmask_b32_e32 v5, 7, v5, vcc
	v_cmp_eq_u32_e32 vcc, 0, v1
	v_min_i32_e32 v1, 15, v1
	v_cmp_eq_u64_e64 s[26:27], 0, v[5:6]
	v_lshlrev_b32_e32 v1, 3, v1
	v_and_b32_e32 v1, 0xf8, v1
	v_and_or_b32 v1, v5, 7, v1
	s_and_b64 s[26:27], vcc, s[26:27]
	v_cndmask_b32_e64 v1, v1, 0, s[26:27]
	v_or_b32_e32 v1, v1, v2
.LBB2_332:                              ;   in Loop: Header=BB2_132 Depth=3
	s_or_b64 exec, exec, s[34:35]
                                        ; implicit-def: $vgpr2
.LBB2_333:                              ;   in Loop: Header=BB2_132 Depth=3
	s_andn2_saveexec_b64 s[26:27], s[30:31]
; %bb.334:                              ;   in Loop: Header=BB2_132 Depth=3
	v_or_b32_e32 v1, 0x7e, v2
; %bb.335:                              ;   in Loop: Header=BB2_132 Depth=3
	s_or_b64 exec, exec, s[26:27]
                                        ; implicit-def: $vgpr3
.LBB2_336:                              ;   in Loop: Header=BB2_132 Depth=3
	s_andn2_saveexec_b64 s[26:27], s[94:95]
; %bb.337:                              ;   in Loop: Header=BB2_132 Depth=3
	v_or_b32_sdwa v1, v3, s85 dst_sel:DWORD dst_unused:UNUSED_PAD src0_sel:BYTE_3 src1_sel:DWORD
; %bb.338:                              ;   in Loop: Header=BB2_132 Depth=3
	s_or_b64 exec, exec, s[26:27]
	v_lshrrev_b16_e32 v8, 8, v10
	v_cmp_ne_u16_e32 vcc, 0, v8
	v_mov_b32_e32 v2, 0
	s_and_saveexec_b64 s[26:27], vcc
	s_cbranch_execz .LBB2_344
; %bb.339:                              ;   in Loop: Header=BB2_132 Depth=3
	v_cmp_ne_u16_e32 vcc, s87, v8
	v_bfrev_b32_e32 v2, 1
	s_and_saveexec_b64 s[94:95], vcc
	s_cbranch_execz .LBB2_343
; %bb.340:                              ;   in Loop: Header=BB2_132 Depth=3
	v_and_b32_e32 v3, 0x7f, v8
	v_cmp_ne_u32_e32 vcc, s85, v3
	v_mov_b32_e32 v2, 0x7f800001
	s_and_saveexec_b64 s[30:31], vcc
	s_cbranch_execz .LBB2_342
; %bb.341:                              ;   in Loop: Header=BB2_132 Depth=3
	v_and_b32_e32 v5, 7, v8
	v_ffbh_u32_e32 v2, v5
	v_min_u32_e32 v7, 32, v2
	v_subrev_u32_e32 v2, 28, v7
	v_lshrrev_b32_e32 v6, 3, v3
	v_cmp_gt_u32_e32 vcc, 8, v3
	v_lshlrev_b64 v[2:3], v2, v[8:9]
	v_sub_u32_e32 v3, 29, v7
	v_and_b32_e32 v2, 7, v2
	v_cndmask_b32_e32 v3, v6, v3, vcc
	v_cndmask_b32_e32 v2, v5, v2, vcc
	v_lshlrev_b32_e32 v5, 16, v10
	v_lshlrev_b32_e32 v2, 20, v2
	v_and_b32_e32 v5, 0x80000000, v5
	v_lshl_add_u32 v3, v3, 23, v17
	v_or3_b32 v2, v5, v3, v2
.LBB2_342:                              ;   in Loop: Header=BB2_132 Depth=3
	s_or_b64 exec, exec, s[30:31]
.LBB2_343:                              ;   in Loop: Header=BB2_132 Depth=3
	s_or_b64 exec, exec, s[94:95]
.LBB2_344:                              ;   in Loop: Header=BB2_132 Depth=3
	s_or_b64 exec, exec, s[26:27]
	v_mul_f32_e32 v3, v19, v2
	v_and_b32_e32 v28, 0x7f800000, v3
	v_cmp_ne_u64_e32 vcc, s[76:77], v[28:29]
                                        ; implicit-def: $vgpr52
	s_and_saveexec_b64 s[26:27], vcc
	s_xor_b64 s[94:95], exec, s[26:27]
	s_cbranch_execz .LBB2_358
; %bb.345:                              ;   in Loop: Header=BB2_132 Depth=3
	v_and_b32_e32 v28, 0x7fffffff, v3
	v_cmp_gt_u64_e32 vcc, s[78:79], v[28:29]
	v_and_b32_sdwa v2, v3, s87 dst_sel:DWORD dst_unused:UNUSED_PAD src0_sel:BYTE_3 src1_sel:DWORD
                                        ; implicit-def: $vgpr52
	s_and_saveexec_b64 s[26:27], vcc
	s_xor_b64 s[30:31], exec, s[26:27]
	s_cbranch_execz .LBB2_355
; %bb.346:                              ;   in Loop: Header=BB2_132 Depth=3
	v_mov_b32_e32 v52, 0
	v_cmp_ne_u32_e32 vcc, 0, v3
	s_and_saveexec_b64 s[34:35], vcc
	s_cbranch_execz .LBB2_354
; %bb.347:                              ;   in Loop: Header=BB2_132 Depth=3
	v_and_b32_e32 v6, 0x7fffff, v3
	v_bfe_u32 v3, v3, 23, 8
	v_cmp_gt_u32_e64 s[26:27], s96, v3
	v_sub_u32_e32 v5, 0x79, v3
	v_cmp_eq_u32_e32 vcc, 0, v3
	v_cndmask_b32_e64 v5, 0, v5, s[26:27]
	v_or_b32_e32 v7, 0x800000, v6
	v_cndmask_b32_e32 v5, v5, v36, vcc
	v_cndmask_b32_e32 v28, v7, v6, vcc
	v_add_u32_e32 v6, 20, v5
	v_lshlrev_b64 v[6:7], v6, -1
	v_add_u32_e32 v8, 19, v5
	v_lshlrev_b64 v[8:9], v8, 1
	v_bfi_b32 v7, v7, 0, 0
	v_bfi_b32 v6, v6, 0, v28
	v_cmp_eq_u64_e64 s[26:27], v[6:7], v[8:9]
	v_lshrrev_b64 v[8:9], v5, v[28:29]
	v_mov_b32_e32 v47, v9
	v_mov_b32_e32 v46, v8
	s_and_saveexec_b64 s[36:37], s[26:27]
; %bb.348:                              ;   in Loop: Header=BB2_132 Depth=3
	v_bfe_u32 v6, v8, 20, 1
	v_add_co_u32_e64 v6, s[26:27], v8, v6
	v_add_co_u32_e64 v46, s[26:27], -1, v6
; %bb.349:                              ;   in Loop: Header=BB2_132 Depth=3
	s_or_b64 exec, exec, s[36:37]
	v_add_u32_e32 v3, 0xffffff81, v3
	v_cndmask_b32_e32 v3, v3, v37, vcc
	v_lshrrev_b32_e32 v6, 23, v8
	v_add3_u32 v6, v5, v3, v6
	v_add_u32_e32 v5, 6, v6
	v_and_b32_e32 v3, 0xfffff, v46
	v_add_u32_e32 v28, v3, v8
	v_cmp_ne_u32_e32 vcc, 0, v5
                                        ; implicit-def: $vgpr8_vgpr9
                                        ; implicit-def: $vgpr3
	s_and_saveexec_b64 s[26:27], vcc
	s_xor_b64 s[26:27], exec, s[26:27]
; %bb.350:                              ;   in Loop: Header=BB2_132 Depth=3
	v_cmp_lt_u64_e32 vcc, s[88:89], v[28:29]
	v_add_u32_e32 v3, 7, v6
	v_cndmask_b32_e32 v3, v5, v3, vcc
	v_cndmask_b32_e64 v5, 0, 1, vcc
	v_lshrrev_b64 v[8:9], v5, v[28:29]
; %bb.351:                              ;   in Loop: Header=BB2_132 Depth=3
	s_andn2_saveexec_b64 s[26:27], s[26:27]
; %bb.352:                              ;   in Loop: Header=BB2_132 Depth=3
	v_mov_b32_e32 v8, v28
	v_bfe_u32 v3, v28, 23, 1
	v_mov_b32_e32 v9, v29
; %bb.353:                              ;   in Loop: Header=BB2_132 Depth=3
	s_or_b64 exec, exec, s[26:27]
	v_lshrrev_b64 v[5:6], 20, v[8:9]
	v_cmp_gt_i32_e32 vcc, 16, v3
	v_cndmask_b32_e32 v6, 0, v6, vcc
	v_cndmask_b32_e32 v5, 7, v5, vcc
	v_cmp_eq_u32_e32 vcc, 0, v3
	v_min_i32_e32 v3, 15, v3
	v_cmp_eq_u64_e64 s[26:27], 0, v[5:6]
	v_lshlrev_b32_e32 v3, 3, v3
	v_and_b32_e32 v3, 0xf8, v3
	v_and_or_b32 v3, v5, 7, v3
	s_and_b64 s[26:27], vcc, s[26:27]
	v_cndmask_b32_e64 v3, v3, 0, s[26:27]
	v_or_b32_e32 v52, v3, v2
.LBB2_354:                              ;   in Loop: Header=BB2_132 Depth=3
	s_or_b64 exec, exec, s[34:35]
                                        ; implicit-def: $vgpr2
.LBB2_355:                              ;   in Loop: Header=BB2_132 Depth=3
	s_andn2_saveexec_b64 s[26:27], s[30:31]
; %bb.356:                              ;   in Loop: Header=BB2_132 Depth=3
	v_or_b32_e32 v52, 0x7e, v2
; %bb.357:                              ;   in Loop: Header=BB2_132 Depth=3
	s_or_b64 exec, exec, s[26:27]
                                        ; implicit-def: $vgpr3
.LBB2_358:                              ;   in Loop: Header=BB2_132 Depth=3
	s_andn2_saveexec_b64 s[26:27], s[94:95]
; %bb.359:                              ;   in Loop: Header=BB2_132 Depth=3
	v_or_b32_sdwa v52, v3, s85 dst_sel:DWORD dst_unused:UNUSED_PAD src0_sel:BYTE_3 src1_sel:DWORD
; %bb.360:                              ;   in Loop: Header=BB2_132 Depth=3
	s_or_b64 exec, exec, s[26:27]
	v_lshrrev_b32_e32 v8, 16, v10
	v_cmp_ne_u16_sdwa s[94:95], v8, v29 src0_sel:BYTE_0 src1_sel:DWORD
	v_mov_b32_e32 v2, 0
	s_and_saveexec_b64 s[26:27], s[94:95]
	s_cbranch_execz .LBB2_366
; %bb.361:                              ;   in Loop: Header=BB2_132 Depth=3
	v_cmp_ne_u16_sdwa vcc, v8, s87 src0_sel:BYTE_0 src1_sel:DWORD
	v_bfrev_b32_e32 v2, 1
	s_and_saveexec_b64 s[94:95], vcc
	s_cbranch_execz .LBB2_365
; %bb.362:                              ;   in Loop: Header=BB2_132 Depth=3
	v_bfe_u32 v3, v10, 16, 7
	v_cmp_ne_u32_e32 vcc, s85, v3
	v_mov_b32_e32 v2, 0x7f800001
	s_and_saveexec_b64 s[30:31], vcc
	s_cbranch_execz .LBB2_364
; %bb.363:                              ;   in Loop: Header=BB2_132 Depth=3
	v_and_b32_e32 v5, 7, v8
	v_ffbh_u32_e32 v2, v5
	v_min_u32_e32 v7, 32, v2
	v_subrev_u32_e32 v2, 28, v7
	v_lshrrev_b32_e32 v6, 3, v3
	v_cmp_gt_u32_e32 vcc, 8, v3
	v_lshlrev_b64 v[2:3], v2, v[8:9]
	v_sub_u32_e32 v3, 29, v7
	v_and_b32_e32 v2, 7, v2
	v_cndmask_b32_e32 v3, v6, v3, vcc
	v_cndmask_b32_e32 v2, v5, v2, vcc
	v_lshlrev_b32_e32 v5, 24, v8
	v_lshlrev_b32_e32 v2, 20, v2
	v_and_b32_e32 v5, 0x80000000, v5
	v_lshl_add_u32 v3, v3, 23, v17
	v_or3_b32 v2, v5, v3, v2
.LBB2_364:                              ;   in Loop: Header=BB2_132 Depth=3
	s_or_b64 exec, exec, s[30:31]
.LBB2_365:                              ;   in Loop: Header=BB2_132 Depth=3
	s_or_b64 exec, exec, s[94:95]
.LBB2_366:                              ;   in Loop: Header=BB2_132 Depth=3
	s_or_b64 exec, exec, s[26:27]
	v_mul_f32_e32 v3, v19, v2
	v_and_b32_e32 v28, 0x7f800000, v3
	v_cmp_ne_u64_e32 vcc, s[76:77], v[28:29]
                                        ; implicit-def: $vgpr53
	s_and_saveexec_b64 s[26:27], vcc
	s_xor_b64 s[94:95], exec, s[26:27]
	s_cbranch_execz .LBB2_380
; %bb.367:                              ;   in Loop: Header=BB2_132 Depth=3
	v_and_b32_e32 v28, 0x7fffffff, v3
	v_cmp_gt_u64_e32 vcc, s[78:79], v[28:29]
	v_and_b32_sdwa v2, v3, s87 dst_sel:DWORD dst_unused:UNUSED_PAD src0_sel:BYTE_3 src1_sel:DWORD
                                        ; implicit-def: $vgpr53
	s_and_saveexec_b64 s[26:27], vcc
	s_xor_b64 s[30:31], exec, s[26:27]
	s_cbranch_execz .LBB2_377
; %bb.368:                              ;   in Loop: Header=BB2_132 Depth=3
	v_mov_b32_e32 v53, 0
	v_cmp_ne_u32_e32 vcc, 0, v3
	s_and_saveexec_b64 s[34:35], vcc
	s_cbranch_execz .LBB2_376
; %bb.369:                              ;   in Loop: Header=BB2_132 Depth=3
	v_and_b32_e32 v6, 0x7fffff, v3
	v_bfe_u32 v3, v3, 23, 8
	v_cmp_gt_u32_e64 s[26:27], s96, v3
	v_sub_u32_e32 v5, 0x79, v3
	v_cmp_eq_u32_e32 vcc, 0, v3
	v_cndmask_b32_e64 v5, 0, v5, s[26:27]
	v_or_b32_e32 v7, 0x800000, v6
	v_cndmask_b32_e32 v5, v5, v36, vcc
	v_cndmask_b32_e32 v28, v7, v6, vcc
	v_add_u32_e32 v6, 20, v5
	v_lshlrev_b64 v[6:7], v6, -1
	v_add_u32_e32 v8, 19, v5
	v_lshlrev_b64 v[8:9], v8, 1
	v_bfi_b32 v7, v7, 0, 0
	v_bfi_b32 v6, v6, 0, v28
	v_cmp_eq_u64_e64 s[26:27], v[6:7], v[8:9]
	v_lshrrev_b64 v[8:9], v5, v[28:29]
	v_mov_b32_e32 v47, v9
	v_mov_b32_e32 v46, v8
	s_and_saveexec_b64 s[36:37], s[26:27]
; %bb.370:                              ;   in Loop: Header=BB2_132 Depth=3
	v_bfe_u32 v6, v8, 20, 1
	v_add_co_u32_e64 v6, s[26:27], v8, v6
	v_add_co_u32_e64 v46, s[26:27], -1, v6
; %bb.371:                              ;   in Loop: Header=BB2_132 Depth=3
	s_or_b64 exec, exec, s[36:37]
	v_add_u32_e32 v3, 0xffffff81, v3
	v_cndmask_b32_e32 v3, v3, v37, vcc
	v_lshrrev_b32_e32 v6, 23, v8
	v_add3_u32 v6, v5, v3, v6
	v_add_u32_e32 v5, 6, v6
	v_and_b32_e32 v3, 0xfffff, v46
	v_add_u32_e32 v28, v3, v8
	v_cmp_ne_u32_e32 vcc, 0, v5
                                        ; implicit-def: $vgpr8_vgpr9
                                        ; implicit-def: $vgpr3
	s_and_saveexec_b64 s[26:27], vcc
	s_xor_b64 s[26:27], exec, s[26:27]
; %bb.372:                              ;   in Loop: Header=BB2_132 Depth=3
	v_cmp_lt_u64_e32 vcc, s[88:89], v[28:29]
	v_add_u32_e32 v3, 7, v6
	v_cndmask_b32_e32 v3, v5, v3, vcc
	v_cndmask_b32_e64 v5, 0, 1, vcc
	v_lshrrev_b64 v[8:9], v5, v[28:29]
; %bb.373:                              ;   in Loop: Header=BB2_132 Depth=3
	s_andn2_saveexec_b64 s[26:27], s[26:27]
; %bb.374:                              ;   in Loop: Header=BB2_132 Depth=3
	v_mov_b32_e32 v8, v28
	v_bfe_u32 v3, v28, 23, 1
	v_mov_b32_e32 v9, v29
; %bb.375:                              ;   in Loop: Header=BB2_132 Depth=3
	s_or_b64 exec, exec, s[26:27]
	v_lshrrev_b64 v[5:6], 20, v[8:9]
	v_cmp_gt_i32_e32 vcc, 16, v3
	v_cndmask_b32_e32 v6, 0, v6, vcc
	v_cndmask_b32_e32 v5, 7, v5, vcc
	v_cmp_eq_u32_e32 vcc, 0, v3
	v_min_i32_e32 v3, 15, v3
	v_cmp_eq_u64_e64 s[26:27], 0, v[5:6]
	v_lshlrev_b32_e32 v3, 3, v3
	v_and_b32_e32 v3, 0xf8, v3
	v_and_or_b32 v3, v5, 7, v3
	s_and_b64 s[26:27], vcc, s[26:27]
	v_cndmask_b32_e64 v3, v3, 0, s[26:27]
	v_or_b32_e32 v53, v3, v2
.LBB2_376:                              ;   in Loop: Header=BB2_132 Depth=3
	s_or_b64 exec, exec, s[34:35]
                                        ; implicit-def: $vgpr2
.LBB2_377:                              ;   in Loop: Header=BB2_132 Depth=3
	s_andn2_saveexec_b64 s[26:27], s[30:31]
; %bb.378:                              ;   in Loop: Header=BB2_132 Depth=3
	v_or_b32_e32 v53, 0x7e, v2
; %bb.379:                              ;   in Loop: Header=BB2_132 Depth=3
	s_or_b64 exec, exec, s[26:27]
                                        ; implicit-def: $vgpr3
.LBB2_380:                              ;   in Loop: Header=BB2_132 Depth=3
	s_andn2_saveexec_b64 s[26:27], s[94:95]
; %bb.381:                              ;   in Loop: Header=BB2_132 Depth=3
	v_or_b32_sdwa v53, v3, s85 dst_sel:DWORD dst_unused:UNUSED_PAD src0_sel:BYTE_3 src1_sel:DWORD
; %bb.382:                              ;   in Loop: Header=BB2_132 Depth=3
	s_or_b64 exec, exec, s[26:27]
	v_cmp_lt_u32_e32 vcc, s57, v10
	v_mov_b32_e32 v2, 0
	s_and_saveexec_b64 s[26:27], vcc
	s_cbranch_execz .LBB2_388
; %bb.383:                              ;   in Loop: Header=BB2_132 Depth=3
	v_lshrrev_b32_e32 v8, 24, v10
	v_cmp_ne_u32_e32 vcc, s87, v8
	v_bfrev_b32_e32 v2, 1
	s_and_saveexec_b64 s[94:95], vcc
	s_cbranch_execz .LBB2_387
; %bb.384:                              ;   in Loop: Header=BB2_132 Depth=3
	v_bfe_u32 v3, v10, 24, 7
	v_cmp_ne_u32_e32 vcc, s85, v3
	v_mov_b32_e32 v2, 0x7f800001
	s_and_saveexec_b64 s[30:31], vcc
	s_cbranch_execz .LBB2_386
; %bb.385:                              ;   in Loop: Header=BB2_132 Depth=3
	v_and_b32_e32 v5, 7, v8
	v_ffbh_u32_e32 v2, v5
	v_min_u32_e32 v7, 32, v2
	v_subrev_u32_e32 v2, 28, v7
	v_lshrrev_b32_e32 v6, 3, v3
	v_cmp_gt_u32_e32 vcc, 8, v3
	v_lshlrev_b64 v[2:3], v2, v[8:9]
	v_sub_u32_e32 v3, 29, v7
	v_and_b32_e32 v2, 7, v2
	v_cndmask_b32_e32 v3, v6, v3, vcc
	v_cndmask_b32_e32 v2, v5, v2, vcc
	v_lshlrev_b32_e32 v5, 24, v8
	v_lshlrev_b32_e32 v2, 20, v2
	v_and_b32_e32 v5, 0x80000000, v5
	v_lshl_add_u32 v3, v3, 23, v17
	v_or3_b32 v2, v5, v3, v2
.LBB2_386:                              ;   in Loop: Header=BB2_132 Depth=3
	s_or_b64 exec, exec, s[30:31]
.LBB2_387:                              ;   in Loop: Header=BB2_132 Depth=3
	s_or_b64 exec, exec, s[94:95]
.LBB2_388:                              ;   in Loop: Header=BB2_132 Depth=3
	s_or_b64 exec, exec, s[26:27]
	v_mul_f32_e32 v3, v19, v2
	v_and_b32_e32 v28, 0x7f800000, v3
	v_cmp_ne_u64_e32 vcc, s[76:77], v[28:29]
                                        ; implicit-def: $vgpr51
	s_and_saveexec_b64 s[26:27], vcc
	s_xor_b64 s[94:95], exec, s[26:27]
	s_cbranch_execz .LBB2_402
; %bb.389:                              ;   in Loop: Header=BB2_132 Depth=3
	v_and_b32_e32 v28, 0x7fffffff, v3
	v_cmp_gt_u64_e32 vcc, s[78:79], v[28:29]
	v_and_b32_sdwa v2, v3, s87 dst_sel:DWORD dst_unused:UNUSED_PAD src0_sel:BYTE_3 src1_sel:DWORD
                                        ; implicit-def: $vgpr51
	s_and_saveexec_b64 s[26:27], vcc
	s_xor_b64 s[30:31], exec, s[26:27]
	s_cbranch_execz .LBB2_399
; %bb.390:                              ;   in Loop: Header=BB2_132 Depth=3
	v_mov_b32_e32 v51, 0
	v_cmp_ne_u32_e32 vcc, 0, v3
	s_and_saveexec_b64 s[34:35], vcc
	s_cbranch_execz .LBB2_398
; %bb.391:                              ;   in Loop: Header=BB2_132 Depth=3
	v_and_b32_e32 v6, 0x7fffff, v3
	v_bfe_u32 v3, v3, 23, 8
	v_cmp_gt_u32_e64 s[26:27], s96, v3
	v_sub_u32_e32 v5, 0x79, v3
	v_cmp_eq_u32_e32 vcc, 0, v3
	v_cndmask_b32_e64 v5, 0, v5, s[26:27]
	v_or_b32_e32 v7, 0x800000, v6
	v_cndmask_b32_e32 v5, v5, v36, vcc
	v_cndmask_b32_e32 v28, v7, v6, vcc
	v_add_u32_e32 v6, 20, v5
	v_lshlrev_b64 v[6:7], v6, -1
	v_add_u32_e32 v8, 19, v5
	v_lshlrev_b64 v[8:9], v8, 1
	v_bfi_b32 v7, v7, 0, 0
	v_bfi_b32 v6, v6, 0, v28
	v_cmp_eq_u64_e64 s[26:27], v[6:7], v[8:9]
	v_lshrrev_b64 v[8:9], v5, v[28:29]
	v_mov_b32_e32 v47, v9
	v_mov_b32_e32 v46, v8
	s_and_saveexec_b64 s[36:37], s[26:27]
; %bb.392:                              ;   in Loop: Header=BB2_132 Depth=3
	v_bfe_u32 v6, v8, 20, 1
	v_add_co_u32_e64 v6, s[26:27], v8, v6
	v_add_co_u32_e64 v46, s[26:27], -1, v6
; %bb.393:                              ;   in Loop: Header=BB2_132 Depth=3
	s_or_b64 exec, exec, s[36:37]
	v_add_u32_e32 v3, 0xffffff81, v3
	v_cndmask_b32_e32 v3, v3, v37, vcc
	v_lshrrev_b32_e32 v6, 23, v8
	v_add3_u32 v6, v5, v3, v6
	v_add_u32_e32 v5, 6, v6
	v_and_b32_e32 v3, 0xfffff, v46
	v_add_u32_e32 v28, v3, v8
	v_cmp_ne_u32_e32 vcc, 0, v5
                                        ; implicit-def: $vgpr8_vgpr9
                                        ; implicit-def: $vgpr3
	s_and_saveexec_b64 s[26:27], vcc
	s_xor_b64 s[26:27], exec, s[26:27]
; %bb.394:                              ;   in Loop: Header=BB2_132 Depth=3
	v_cmp_lt_u64_e32 vcc, s[88:89], v[28:29]
	v_add_u32_e32 v3, 7, v6
	v_cndmask_b32_e32 v3, v5, v3, vcc
	v_cndmask_b32_e64 v5, 0, 1, vcc
	v_lshrrev_b64 v[8:9], v5, v[28:29]
; %bb.395:                              ;   in Loop: Header=BB2_132 Depth=3
	s_andn2_saveexec_b64 s[26:27], s[26:27]
; %bb.396:                              ;   in Loop: Header=BB2_132 Depth=3
	v_mov_b32_e32 v8, v28
	v_bfe_u32 v3, v28, 23, 1
	v_mov_b32_e32 v9, v29
; %bb.397:                              ;   in Loop: Header=BB2_132 Depth=3
	s_or_b64 exec, exec, s[26:27]
	v_lshrrev_b64 v[5:6], 20, v[8:9]
	v_cmp_gt_i32_e32 vcc, 16, v3
	v_cndmask_b32_e32 v6, 0, v6, vcc
	v_cndmask_b32_e32 v5, 7, v5, vcc
	v_cmp_eq_u32_e32 vcc, 0, v3
	v_min_i32_e32 v3, 15, v3
	v_cmp_eq_u64_e64 s[26:27], 0, v[5:6]
	v_lshlrev_b32_e32 v3, 3, v3
	v_and_b32_e32 v3, 0xf8, v3
	v_and_or_b32 v3, v5, 7, v3
	s_and_b64 s[26:27], vcc, s[26:27]
	v_cndmask_b32_e64 v3, v3, 0, s[26:27]
	v_or_b32_e32 v51, v3, v2
.LBB2_398:                              ;   in Loop: Header=BB2_132 Depth=3
	s_or_b64 exec, exec, s[34:35]
                                        ; implicit-def: $vgpr2
.LBB2_399:                              ;   in Loop: Header=BB2_132 Depth=3
	s_andn2_saveexec_b64 s[26:27], s[30:31]
; %bb.400:                              ;   in Loop: Header=BB2_132 Depth=3
	v_or_b32_e32 v51, 0x7e, v2
; %bb.401:                              ;   in Loop: Header=BB2_132 Depth=3
	s_or_b64 exec, exec, s[26:27]
                                        ; implicit-def: $vgpr3
.LBB2_402:                              ;   in Loop: Header=BB2_132 Depth=3
	s_andn2_saveexec_b64 s[26:27], s[94:95]
; %bb.403:                              ;   in Loop: Header=BB2_132 Depth=3
	v_or_b32_sdwa v51, v3, s85 dst_sel:DWORD dst_unused:UNUSED_PAD src0_sel:BYTE_3 src1_sel:DWORD
; %bb.404:                              ;   in Loop: Header=BB2_132 Depth=3
	s_or_b64 exec, exec, s[26:27]
	v_mov_b32_e32 v28, v11
	v_cmp_ne_u16_sdwa s[94:95], v11, v29 src0_sel:BYTE_0 src1_sel:DWORD
	v_mov_b32_e32 v2, 0
	s_and_saveexec_b64 s[26:27], s[94:95]
	s_cbranch_execz .LBB2_410
; %bb.405:                              ;   in Loop: Header=BB2_132 Depth=3
	v_cmp_ne_u16_sdwa vcc, v11, s87 src0_sel:BYTE_0 src1_sel:DWORD
	v_bfrev_b32_e32 v2, 1
	s_and_saveexec_b64 s[94:95], vcc
	s_cbranch_execz .LBB2_409
; %bb.406:                              ;   in Loop: Header=BB2_132 Depth=3
	v_and_b32_e32 v3, 0x7f, v11
	v_cmp_ne_u32_e32 vcc, s85, v3
	v_mov_b32_e32 v2, 0x7f800001
	s_and_saveexec_b64 s[30:31], vcc
	s_cbranch_execz .LBB2_408
; %bb.407:                              ;   in Loop: Header=BB2_132 Depth=3
	v_and_b32_e32 v2, 7, v11
	v_ffbh_u32_e32 v2, v2
	v_min_u32_e32 v2, 32, v2
	v_lshrrev_b32_e32 v5, 3, v3
	v_cmp_gt_u32_e32 vcc, 8, v3
	v_subrev_u32_e32 v3, 28, v2
	v_sub_u32_e32 v2, 29, v2
	v_cndmask_b32_e32 v5, v5, v2, vcc
	v_cndmask_b32_e32 v2, 0, v3, vcc
	v_lshlrev_b64 v[2:3], v2, v[28:29]
	v_lshlrev_b32_e32 v3, 24, v28
	v_lshlrev_b32_e32 v2, 20, v2
	v_and_b32_e32 v2, 0x700000, v2
	v_and_b32_e32 v3, 0x80000000, v3
	v_lshl_add_u32 v5, v5, 23, v17
	v_or3_b32 v2, v3, v5, v2
.LBB2_408:                              ;   in Loop: Header=BB2_132 Depth=3
	s_or_b64 exec, exec, s[30:31]
.LBB2_409:                              ;   in Loop: Header=BB2_132 Depth=3
	s_or_b64 exec, exec, s[94:95]
.LBB2_410:                              ;   in Loop: Header=BB2_132 Depth=3
	s_or_b64 exec, exec, s[26:27]
	v_mul_f32_e32 v3, v19, v2
	v_and_b32_e32 v5, 0x7f800000, v3
	v_mov_b32_e32 v6, v29
	v_cmp_ne_u64_e32 vcc, s[76:77], v[5:6]
                                        ; implicit-def: $vgpr18
	s_and_saveexec_b64 s[26:27], vcc
	s_xor_b64 s[94:95], exec, s[26:27]
	s_cbranch_execz .LBB2_424
; %bb.411:                              ;   in Loop: Header=BB2_132 Depth=3
	v_and_b32_e32 v5, 0x7fffffff, v3
	v_mov_b32_e32 v6, v29
	v_cmp_gt_u64_e32 vcc, s[78:79], v[5:6]
	v_and_b32_sdwa v2, v3, s87 dst_sel:DWORD dst_unused:UNUSED_PAD src0_sel:BYTE_3 src1_sel:DWORD
                                        ; implicit-def: $vgpr18
	s_and_saveexec_b64 s[26:27], vcc
	s_xor_b64 s[30:31], exec, s[26:27]
	s_cbranch_execz .LBB2_421
; %bb.412:                              ;   in Loop: Header=BB2_132 Depth=3
	v_mov_b32_e32 v18, 0
	v_cmp_ne_u32_e32 vcc, 0, v3
	s_and_saveexec_b64 s[34:35], vcc
	s_cbranch_execz .LBB2_420
; %bb.413:                              ;   in Loop: Header=BB2_132 Depth=3
	v_and_b32_e32 v6, 0x7fffff, v3
	v_bfe_u32 v3, v3, 23, 8
	v_cmp_gt_u32_e64 s[26:27], s96, v3
	v_sub_u32_e32 v5, 0x79, v3
	v_cmp_eq_u32_e32 vcc, 0, v3
	v_cndmask_b32_e64 v5, 0, v5, s[26:27]
	v_cndmask_b32_e32 v5, v5, v36, vcc
	v_add_u32_e32 v8, 20, v5
	v_or_b32_e32 v7, 0x800000, v6
	v_lshlrev_b64 v[8:9], v8, -1
	v_add_u32_e32 v16, 19, v5
	v_cndmask_b32_e32 v6, v7, v6, vcc
	v_lshlrev_b64 v[22:23], v16, 1
	v_mov_b32_e32 v7, v29
	v_bfi_b32 v9, v9, 0, 0
	v_bfi_b32 v8, v8, 0, v6
	v_cmp_eq_u64_e64 s[26:27], v[8:9], v[22:23]
	v_lshrrev_b64 v[8:9], v5, v[6:7]
	v_mov_b32_e32 v47, v9
	v_mov_b32_e32 v46, v8
	s_and_saveexec_b64 s[36:37], s[26:27]
; %bb.414:                              ;   in Loop: Header=BB2_132 Depth=3
	v_bfe_u32 v6, v8, 20, 1
	v_add_co_u32_e64 v6, s[26:27], v8, v6
	v_add_co_u32_e64 v46, s[26:27], -1, v6
; %bb.415:                              ;   in Loop: Header=BB2_132 Depth=3
	s_or_b64 exec, exec, s[36:37]
	v_add_u32_e32 v3, 0xffffff81, v3
	v_cndmask_b32_e32 v3, v3, v37, vcc
	v_lshrrev_b32_e32 v6, 23, v8
	v_add3_u32 v6, v5, v3, v6
	v_add_u32_e32 v5, 6, v6
	v_and_b32_e32 v3, 0xfffff, v46
	v_add_u32_e32 v8, v3, v8
	v_mov_b32_e32 v9, v29
	v_cmp_ne_u32_e32 vcc, 0, v5
                                        ; implicit-def: $vgpr3
	s_and_saveexec_b64 s[26:27], vcc
	s_xor_b64 s[26:27], exec, s[26:27]
; %bb.416:                              ;   in Loop: Header=BB2_132 Depth=3
	v_cmp_lt_u64_e32 vcc, s[88:89], v[8:9]
	v_add_u32_e32 v3, 7, v6
	v_cndmask_b32_e32 v3, v5, v3, vcc
	v_cndmask_b32_e64 v5, 0, 1, vcc
	v_lshrrev_b64 v[8:9], v5, v[8:9]
; %bb.417:                              ;   in Loop: Header=BB2_132 Depth=3
	s_andn2_saveexec_b64 s[26:27], s[26:27]
; %bb.418:                              ;   in Loop: Header=BB2_132 Depth=3
	v_bfe_u32 v3, v8, 23, 1
; %bb.419:                              ;   in Loop: Header=BB2_132 Depth=3
	s_or_b64 exec, exec, s[26:27]
	v_lshrrev_b64 v[5:6], 20, v[8:9]
	v_cmp_gt_i32_e32 vcc, 16, v3
	v_cndmask_b32_e32 v6, 0, v6, vcc
	v_cndmask_b32_e32 v5, 7, v5, vcc
	v_cmp_eq_u32_e32 vcc, 0, v3
	v_min_i32_e32 v3, 15, v3
	v_cmp_eq_u64_e64 s[26:27], 0, v[5:6]
	v_lshlrev_b32_e32 v3, 3, v3
	v_and_b32_e32 v3, 0xf8, v3
	v_and_or_b32 v3, v5, 7, v3
	s_and_b64 s[26:27], vcc, s[26:27]
	v_cndmask_b32_e64 v3, v3, 0, s[26:27]
	v_or_b32_e32 v18, v3, v2
.LBB2_420:                              ;   in Loop: Header=BB2_132 Depth=3
	s_or_b64 exec, exec, s[34:35]
                                        ; implicit-def: $vgpr2
.LBB2_421:                              ;   in Loop: Header=BB2_132 Depth=3
	s_andn2_saveexec_b64 s[26:27], s[30:31]
; %bb.422:                              ;   in Loop: Header=BB2_132 Depth=3
	v_or_b32_e32 v18, 0x7e, v2
; %bb.423:                              ;   in Loop: Header=BB2_132 Depth=3
	s_or_b64 exec, exec, s[26:27]
                                        ; implicit-def: $vgpr3
.LBB2_424:                              ;   in Loop: Header=BB2_132 Depth=3
	s_andn2_saveexec_b64 s[26:27], s[94:95]
; %bb.425:                              ;   in Loop: Header=BB2_132 Depth=3
	v_or_b32_sdwa v18, v3, s85 dst_sel:DWORD dst_unused:UNUSED_PAD src0_sel:BYTE_3 src1_sel:DWORD
; %bb.426:                              ;   in Loop: Header=BB2_132 Depth=3
	s_or_b64 exec, exec, s[26:27]
	v_lshrrev_b16_e32 v8, 8, v28
	v_cmp_ne_u16_e32 vcc, 0, v8
	v_mov_b32_e32 v2, 0
	s_and_saveexec_b64 s[26:27], vcc
	s_cbranch_execz .LBB2_432
; %bb.427:                              ;   in Loop: Header=BB2_132 Depth=3
	v_cmp_ne_u16_e32 vcc, s87, v8
	v_bfrev_b32_e32 v2, 1
	s_and_saveexec_b64 s[94:95], vcc
	s_cbranch_execz .LBB2_431
; %bb.428:                              ;   in Loop: Header=BB2_132 Depth=3
	v_and_b32_e32 v3, 0x7f, v8
	v_cmp_ne_u32_e32 vcc, s85, v3
	v_mov_b32_e32 v2, 0x7f800001
	s_and_saveexec_b64 s[30:31], vcc
	s_cbranch_execz .LBB2_430
; %bb.429:                              ;   in Loop: Header=BB2_132 Depth=3
	v_and_b32_e32 v5, 7, v8
	v_ffbh_u32_e32 v2, v5
	v_min_u32_e32 v7, 32, v2
	v_subrev_u32_e32 v2, 28, v7
	v_lshrrev_b32_e32 v6, 3, v3
	v_cmp_gt_u32_e32 vcc, 8, v3
	v_lshlrev_b64 v[2:3], v2, v[8:9]
	v_sub_u32_e32 v3, 29, v7
	v_and_b32_e32 v2, 7, v2
	v_cndmask_b32_e32 v3, v6, v3, vcc
	v_cndmask_b32_e32 v2, v5, v2, vcc
	v_lshlrev_b32_e32 v5, 16, v28
	v_lshlrev_b32_e32 v2, 20, v2
	v_and_b32_e32 v5, 0x80000000, v5
	v_lshl_add_u32 v3, v3, 23, v17
	v_or3_b32 v2, v5, v3, v2
.LBB2_430:                              ;   in Loop: Header=BB2_132 Depth=3
	s_or_b64 exec, exec, s[30:31]
.LBB2_431:                              ;   in Loop: Header=BB2_132 Depth=3
	s_or_b64 exec, exec, s[94:95]
.LBB2_432:                              ;   in Loop: Header=BB2_132 Depth=3
	s_or_b64 exec, exec, s[26:27]
	v_mul_f32_e32 v3, v19, v2
	v_and_b32_e32 v28, 0x7f800000, v3
	v_cmp_ne_u64_e32 vcc, s[76:77], v[28:29]
                                        ; implicit-def: $vgpr6
	s_and_saveexec_b64 s[26:27], vcc
	s_xor_b64 s[94:95], exec, s[26:27]
	s_cbranch_execz .LBB2_446
; %bb.433:                              ;   in Loop: Header=BB2_132 Depth=3
	v_and_b32_e32 v28, 0x7fffffff, v3
	v_cmp_gt_u64_e32 vcc, s[78:79], v[28:29]
	v_and_b32_sdwa v2, v3, s87 dst_sel:DWORD dst_unused:UNUSED_PAD src0_sel:BYTE_3 src1_sel:DWORD
                                        ; implicit-def: $vgpr6
	s_and_saveexec_b64 s[26:27], vcc
	s_xor_b64 s[30:31], exec, s[26:27]
	s_cbranch_execz .LBB2_443
; %bb.434:                              ;   in Loop: Header=BB2_132 Depth=3
	v_mov_b32_e32 v6, 0
	v_cmp_ne_u32_e32 vcc, 0, v3
	s_and_saveexec_b64 s[34:35], vcc
	s_cbranch_execz .LBB2_442
; %bb.435:                              ;   in Loop: Header=BB2_132 Depth=3
	v_and_b32_e32 v6, 0x7fffff, v3
	v_bfe_u32 v3, v3, 23, 8
	v_cmp_gt_u32_e64 s[26:27], s96, v3
	v_sub_u32_e32 v5, 0x79, v3
	v_cmp_eq_u32_e32 vcc, 0, v3
	v_cndmask_b32_e64 v5, 0, v5, s[26:27]
	v_or_b32_e32 v7, 0x800000, v6
	v_cndmask_b32_e32 v5, v5, v36, vcc
	v_cndmask_b32_e32 v28, v7, v6, vcc
	v_add_u32_e32 v6, 20, v5
	v_lshlrev_b64 v[6:7], v6, -1
	v_add_u32_e32 v8, 19, v5
	v_lshlrev_b64 v[8:9], v8, 1
	v_bfi_b32 v7, v7, 0, 0
	v_bfi_b32 v6, v6, 0, v28
	v_cmp_eq_u64_e64 s[26:27], v[6:7], v[8:9]
	v_lshrrev_b64 v[8:9], v5, v[28:29]
	v_mov_b32_e32 v47, v9
	v_mov_b32_e32 v46, v8
	s_and_saveexec_b64 s[36:37], s[26:27]
; %bb.436:                              ;   in Loop: Header=BB2_132 Depth=3
	v_bfe_u32 v6, v8, 20, 1
	v_add_co_u32_e64 v6, s[26:27], v8, v6
	v_add_co_u32_e64 v46, s[26:27], -1, v6
; %bb.437:                              ;   in Loop: Header=BB2_132 Depth=3
	s_or_b64 exec, exec, s[36:37]
	v_add_u32_e32 v3, 0xffffff81, v3
	v_cndmask_b32_e32 v3, v3, v37, vcc
	v_lshrrev_b32_e32 v6, 23, v8
	v_add3_u32 v6, v5, v3, v6
	v_add_u32_e32 v5, 6, v6
	v_and_b32_e32 v3, 0xfffff, v46
	v_add_u32_e32 v28, v3, v8
	v_cmp_ne_u32_e32 vcc, 0, v5
                                        ; implicit-def: $vgpr8_vgpr9
                                        ; implicit-def: $vgpr3
	s_and_saveexec_b64 s[26:27], vcc
	s_xor_b64 s[26:27], exec, s[26:27]
; %bb.438:                              ;   in Loop: Header=BB2_132 Depth=3
	v_cmp_lt_u64_e32 vcc, s[88:89], v[28:29]
	v_add_u32_e32 v3, 7, v6
	v_cndmask_b32_e32 v3, v5, v3, vcc
	v_cndmask_b32_e64 v5, 0, 1, vcc
	v_lshrrev_b64 v[8:9], v5, v[28:29]
; %bb.439:                              ;   in Loop: Header=BB2_132 Depth=3
	s_andn2_saveexec_b64 s[26:27], s[26:27]
; %bb.440:                              ;   in Loop: Header=BB2_132 Depth=3
	v_mov_b32_e32 v8, v28
	v_bfe_u32 v3, v28, 23, 1
	v_mov_b32_e32 v9, v29
; %bb.441:                              ;   in Loop: Header=BB2_132 Depth=3
	s_or_b64 exec, exec, s[26:27]
	v_lshrrev_b64 v[5:6], 20, v[8:9]
	v_cmp_gt_i32_e32 vcc, 16, v3
	v_cndmask_b32_e32 v6, 0, v6, vcc
	v_cndmask_b32_e32 v5, 7, v5, vcc
	v_cmp_eq_u32_e32 vcc, 0, v3
	v_min_i32_e32 v3, 15, v3
	v_cmp_eq_u64_e64 s[26:27], 0, v[5:6]
	v_lshlrev_b32_e32 v3, 3, v3
	v_and_b32_e32 v3, 0xf8, v3
	v_and_or_b32 v3, v5, 7, v3
	s_and_b64 s[26:27], vcc, s[26:27]
	v_cndmask_b32_e64 v3, v3, 0, s[26:27]
	v_or_b32_e32 v6, v3, v2
.LBB2_442:                              ;   in Loop: Header=BB2_132 Depth=3
	s_or_b64 exec, exec, s[34:35]
                                        ; implicit-def: $vgpr2
.LBB2_443:                              ;   in Loop: Header=BB2_132 Depth=3
	s_andn2_saveexec_b64 s[26:27], s[30:31]
; %bb.444:                              ;   in Loop: Header=BB2_132 Depth=3
	v_or_b32_e32 v6, 0x7e, v2
; %bb.445:                              ;   in Loop: Header=BB2_132 Depth=3
	s_or_b64 exec, exec, s[26:27]
                                        ; implicit-def: $vgpr3
.LBB2_446:                              ;   in Loop: Header=BB2_132 Depth=3
	s_andn2_saveexec_b64 s[26:27], s[94:95]
; %bb.447:                              ;   in Loop: Header=BB2_132 Depth=3
	v_or_b32_sdwa v6, v3, s85 dst_sel:DWORD dst_unused:UNUSED_PAD src0_sel:BYTE_3 src1_sel:DWORD
; %bb.448:                              ;   in Loop: Header=BB2_132 Depth=3
	s_or_b64 exec, exec, s[26:27]
	v_lshrrev_b32_e32 v8, 16, v11
	v_cmp_ne_u16_sdwa s[94:95], v8, v29 src0_sel:BYTE_0 src1_sel:DWORD
	v_mov_b32_e32 v2, 0
	s_and_saveexec_b64 s[26:27], s[94:95]
	s_cbranch_execz .LBB2_454
; %bb.449:                              ;   in Loop: Header=BB2_132 Depth=3
	v_cmp_ne_u16_sdwa vcc, v8, s87 src0_sel:BYTE_0 src1_sel:DWORD
	v_bfrev_b32_e32 v2, 1
	s_and_saveexec_b64 s[94:95], vcc
	s_cbranch_execz .LBB2_453
; %bb.450:                              ;   in Loop: Header=BB2_132 Depth=3
	v_bfe_u32 v3, v11, 16, 7
	v_cmp_ne_u32_e32 vcc, s85, v3
	v_mov_b32_e32 v2, 0x7f800001
	s_and_saveexec_b64 s[30:31], vcc
	s_cbranch_execz .LBB2_452
; %bb.451:                              ;   in Loop: Header=BB2_132 Depth=3
	v_and_b32_e32 v5, 7, v8
	v_ffbh_u32_e32 v2, v5
	v_min_u32_e32 v9, 32, v2
	v_subrev_u32_e32 v2, 28, v9
	v_lshrrev_b32_e32 v7, 3, v3
	v_cmp_gt_u32_e32 vcc, 8, v3
	v_lshlrev_b64 v[2:3], v2, v[8:9]
	v_sub_u32_e32 v3, 29, v9
	v_and_b32_e32 v2, 7, v2
	v_cndmask_b32_e32 v3, v7, v3, vcc
	v_cndmask_b32_e32 v2, v5, v2, vcc
	v_lshlrev_b32_e32 v5, 24, v8
	v_lshlrev_b32_e32 v2, 20, v2
	v_and_b32_e32 v5, 0x80000000, v5
	v_lshl_add_u32 v3, v3, 23, v17
	v_or3_b32 v2, v5, v3, v2
.LBB2_452:                              ;   in Loop: Header=BB2_132 Depth=3
	s_or_b64 exec, exec, s[30:31]
.LBB2_453:                              ;   in Loop: Header=BB2_132 Depth=3
	s_or_b64 exec, exec, s[94:95]
.LBB2_454:                              ;   in Loop: Header=BB2_132 Depth=3
	s_or_b64 exec, exec, s[26:27]
	v_mul_f32_e32 v5, v19, v2
	v_and_b32_e32 v28, 0x7f800000, v5
	v_cmp_ne_u64_e32 vcc, s[76:77], v[28:29]
                                        ; implicit-def: $vgpr2
	s_and_saveexec_b64 s[26:27], vcc
	s_xor_b64 s[94:95], exec, s[26:27]
	s_cbranch_execz .LBB2_468
; %bb.455:                              ;   in Loop: Header=BB2_132 Depth=3
	v_and_b32_e32 v28, 0x7fffffff, v5
	v_cmp_gt_u64_e32 vcc, s[78:79], v[28:29]
	v_and_b32_sdwa v3, v5, s87 dst_sel:DWORD dst_unused:UNUSED_PAD src0_sel:BYTE_3 src1_sel:DWORD
                                        ; implicit-def: $vgpr2
	s_and_saveexec_b64 s[26:27], vcc
	s_xor_b64 s[30:31], exec, s[26:27]
	s_cbranch_execz .LBB2_465
; %bb.456:                              ;   in Loop: Header=BB2_132 Depth=3
	v_mov_b32_e32 v2, 0
	v_cmp_ne_u32_e32 vcc, 0, v5
	s_and_saveexec_b64 s[34:35], vcc
	s_cbranch_execz .LBB2_464
; %bb.457:                              ;   in Loop: Header=BB2_132 Depth=3
	v_bfe_u32 v2, v5, 23, 8
	v_and_b32_e32 v7, 0x7fffff, v5
	v_cmp_gt_u32_e64 s[26:27], s96, v2
	v_sub_u32_e32 v5, 0x79, v2
	v_cmp_eq_u32_e32 vcc, 0, v2
	v_cndmask_b32_e64 v5, 0, v5, s[26:27]
	v_or_b32_e32 v8, 0x800000, v7
	v_cndmask_b32_e32 v5, v5, v36, vcc
	v_cndmask_b32_e32 v28, v8, v7, vcc
	v_add_u32_e32 v7, 20, v5
	v_lshlrev_b64 v[7:8], v7, -1
	v_add_u32_e32 v9, 19, v5
	v_lshlrev_b64 v[22:23], v9, 1
	v_bfi_b32 v8, v8, 0, 0
	v_bfi_b32 v7, v7, 0, v28
	v_cmp_eq_u64_e64 s[26:27], v[7:8], v[22:23]
	v_lshrrev_b64 v[8:9], v5, v[28:29]
	v_mov_b32_e32 v47, v9
	v_mov_b32_e32 v46, v8
	s_and_saveexec_b64 s[36:37], s[26:27]
; %bb.458:                              ;   in Loop: Header=BB2_132 Depth=3
	v_bfe_u32 v7, v8, 20, 1
	v_add_co_u32_e64 v7, s[26:27], v8, v7
	v_add_co_u32_e64 v46, s[26:27], -1, v7
; %bb.459:                              ;   in Loop: Header=BB2_132 Depth=3
	s_or_b64 exec, exec, s[36:37]
	v_add_u32_e32 v2, 0xffffff81, v2
	v_cndmask_b32_e32 v2, v2, v37, vcc
	v_lshrrev_b32_e32 v7, 23, v8
	v_add3_u32 v7, v5, v2, v7
	v_add_u32_e32 v5, 6, v7
	v_and_b32_e32 v2, 0xfffff, v46
	v_add_u32_e32 v28, v2, v8
	v_cmp_ne_u32_e32 vcc, 0, v5
                                        ; implicit-def: $vgpr8_vgpr9
                                        ; implicit-def: $vgpr2
	s_and_saveexec_b64 s[26:27], vcc
	s_xor_b64 s[26:27], exec, s[26:27]
; %bb.460:                              ;   in Loop: Header=BB2_132 Depth=3
	v_cmp_lt_u64_e32 vcc, s[88:89], v[28:29]
	v_add_u32_e32 v2, 7, v7
	v_cndmask_b32_e32 v2, v5, v2, vcc
	v_cndmask_b32_e64 v5, 0, 1, vcc
	v_lshrrev_b64 v[8:9], v5, v[28:29]
; %bb.461:                              ;   in Loop: Header=BB2_132 Depth=3
	s_andn2_saveexec_b64 s[26:27], s[26:27]
; %bb.462:                              ;   in Loop: Header=BB2_132 Depth=3
	v_mov_b32_e32 v8, v28
	v_bfe_u32 v2, v28, 23, 1
	v_mov_b32_e32 v9, v29
; %bb.463:                              ;   in Loop: Header=BB2_132 Depth=3
	s_or_b64 exec, exec, s[26:27]
	v_lshrrev_b64 v[7:8], 20, v[8:9]
	v_cmp_gt_i32_e32 vcc, 16, v2
	v_cndmask_b32_e32 v8, 0, v8, vcc
	v_cndmask_b32_e32 v7, 7, v7, vcc
	v_cmp_eq_u32_e32 vcc, 0, v2
	v_min_i32_e32 v2, 15, v2
	v_cmp_eq_u64_e64 s[26:27], 0, v[7:8]
	v_lshlrev_b32_e32 v2, 3, v2
	v_and_b32_e32 v2, 0xf8, v2
	v_and_or_b32 v2, v7, 7, v2
	s_and_b64 s[26:27], vcc, s[26:27]
	v_cndmask_b32_e64 v2, v2, 0, s[26:27]
	v_or_b32_e32 v2, v2, v3
.LBB2_464:                              ;   in Loop: Header=BB2_132 Depth=3
	s_or_b64 exec, exec, s[34:35]
                                        ; implicit-def: $vgpr3
.LBB2_465:                              ;   in Loop: Header=BB2_132 Depth=3
	s_andn2_saveexec_b64 s[26:27], s[30:31]
; %bb.466:                              ;   in Loop: Header=BB2_132 Depth=3
	v_or_b32_e32 v2, 0x7e, v3
; %bb.467:                              ;   in Loop: Header=BB2_132 Depth=3
	s_or_b64 exec, exec, s[26:27]
                                        ; implicit-def: $vgpr5
.LBB2_468:                              ;   in Loop: Header=BB2_132 Depth=3
	s_andn2_saveexec_b64 s[26:27], s[94:95]
; %bb.469:                              ;   in Loop: Header=BB2_132 Depth=3
	v_or_b32_sdwa v2, v5, s85 dst_sel:DWORD dst_unused:UNUSED_PAD src0_sel:BYTE_3 src1_sel:DWORD
; %bb.470:                              ;   in Loop: Header=BB2_132 Depth=3
	s_or_b64 exec, exec, s[26:27]
	v_cmp_lt_u64_e32 vcc, s[56:57], v[10:11]
	v_mov_b32_e32 v3, 0
	s_and_saveexec_b64 s[26:27], vcc
	s_cbranch_execz .LBB2_476
; %bb.471:                              ;   in Loop: Header=BB2_132 Depth=3
	v_lshrrev_b32_e32 v8, 24, v11
	v_cmp_ne_u32_e32 vcc, s87, v8
	v_bfrev_b32_e32 v3, 1
	s_and_saveexec_b64 s[94:95], vcc
	s_cbranch_execz .LBB2_475
; %bb.472:                              ;   in Loop: Header=BB2_132 Depth=3
	v_bfe_u32 v5, v11, 24, 7
	v_cmp_ne_u32_e32 vcc, s85, v5
	v_mov_b32_e32 v3, 0x7f800001
	s_and_saveexec_b64 s[30:31], vcc
	s_cbranch_execz .LBB2_474
; %bb.473:                              ;   in Loop: Header=BB2_132 Depth=3
	v_and_b32_e32 v3, 7, v8
	v_lshrrev_b32_e32 v7, 3, v5
	v_cmp_gt_u32_e32 vcc, 8, v5
	v_ffbh_u32_e32 v5, v3
	v_min_u32_e32 v5, 32, v5
	v_subrev_u32_e32 v9, 28, v5
	v_lshlrev_b64 v[9:10], v9, v[8:9]
	v_sub_u32_e32 v5, 29, v5
	v_and_b32_e32 v9, 7, v9
	v_cndmask_b32_e32 v5, v7, v5, vcc
	v_cndmask_b32_e32 v3, v3, v9, vcc
	v_lshlrev_b32_e32 v7, 24, v8
	v_lshlrev_b32_e32 v3, 20, v3
	v_and_b32_e32 v7, 0x80000000, v7
	v_lshl_add_u32 v5, v5, 23, v17
	v_or3_b32 v3, v7, v5, v3
.LBB2_474:                              ;   in Loop: Header=BB2_132 Depth=3
	s_or_b64 exec, exec, s[30:31]
.LBB2_475:                              ;   in Loop: Header=BB2_132 Depth=3
	s_or_b64 exec, exec, s[94:95]
.LBB2_476:                              ;   in Loop: Header=BB2_132 Depth=3
	s_or_b64 exec, exec, s[26:27]
	v_mul_f32_e32 v7, v19, v3
	v_and_b32_e32 v28, 0x7f800000, v7
	v_cmp_ne_u64_e32 vcc, s[76:77], v[28:29]
                                        ; implicit-def: $vgpr3
	s_and_saveexec_b64 s[26:27], vcc
	s_xor_b64 s[94:95], exec, s[26:27]
	s_cbranch_execz .LBB2_490
; %bb.477:                              ;   in Loop: Header=BB2_132 Depth=3
	v_and_b32_e32 v28, 0x7fffffff, v7
	v_cmp_gt_u64_e32 vcc, s[78:79], v[28:29]
	v_and_b32_sdwa v5, v7, s87 dst_sel:DWORD dst_unused:UNUSED_PAD src0_sel:BYTE_3 src1_sel:DWORD
                                        ; implicit-def: $vgpr3
	s_and_saveexec_b64 s[26:27], vcc
	s_xor_b64 s[30:31], exec, s[26:27]
	s_cbranch_execz .LBB2_487
; %bb.478:                              ;   in Loop: Header=BB2_132 Depth=3
	v_mov_b32_e32 v3, 0
	v_cmp_ne_u32_e32 vcc, 0, v7
	s_and_saveexec_b64 s[34:35], vcc
	s_cbranch_execz .LBB2_486
; %bb.479:                              ;   in Loop: Header=BB2_132 Depth=3
	v_bfe_u32 v3, v7, 23, 8
	v_and_b32_e32 v8, 0x7fffff, v7
	v_cmp_gt_u32_e64 s[26:27], s96, v3
	v_sub_u32_e32 v7, 0x79, v3
	v_cmp_eq_u32_e32 vcc, 0, v3
	v_cndmask_b32_e64 v7, 0, v7, s[26:27]
	v_or_b32_e32 v9, 0x800000, v8
	v_cndmask_b32_e32 v7, v7, v36, vcc
	v_cndmask_b32_e32 v28, v9, v8, vcc
	v_add_u32_e32 v8, 20, v7
	v_lshlrev_b64 v[8:9], v8, -1
	v_add_u32_e32 v10, 19, v7
	v_lshlrev_b64 v[10:11], v10, 1
	v_bfi_b32 v9, v9, 0, 0
	v_bfi_b32 v8, v8, 0, v28
	v_cmp_eq_u64_e64 s[26:27], v[8:9], v[10:11]
	v_lshrrev_b64 v[8:9], v7, v[28:29]
	v_mov_b32_e32 v10, v9
	v_mov_b32_e32 v9, v8
	s_and_saveexec_b64 s[36:37], s[26:27]
; %bb.480:                              ;   in Loop: Header=BB2_132 Depth=3
	v_bfe_u32 v9, v8, 20, 1
	v_add_co_u32_e64 v9, s[26:27], v8, v9
	v_add_co_u32_e64 v9, s[26:27], -1, v9
; %bb.481:                              ;   in Loop: Header=BB2_132 Depth=3
	s_or_b64 exec, exec, s[36:37]
	v_add_u32_e32 v3, 0xffffff81, v3
	v_cndmask_b32_e32 v3, v3, v37, vcc
	v_lshrrev_b32_e32 v10, 23, v8
	v_add3_u32 v10, v7, v3, v10
	v_add_u32_e32 v7, 6, v10
	v_and_b32_e32 v3, 0xfffff, v9
	v_add_u32_e32 v28, v3, v8
	v_cmp_ne_u32_e32 vcc, 0, v7
                                        ; implicit-def: $vgpr8_vgpr9
                                        ; implicit-def: $vgpr3
	s_and_saveexec_b64 s[26:27], vcc
	s_xor_b64 s[26:27], exec, s[26:27]
; %bb.482:                              ;   in Loop: Header=BB2_132 Depth=3
	v_cmp_lt_u64_e32 vcc, s[88:89], v[28:29]
	v_add_u32_e32 v3, 7, v10
	v_cndmask_b32_e32 v3, v7, v3, vcc
	v_cndmask_b32_e64 v7, 0, 1, vcc
	v_lshrrev_b64 v[8:9], v7, v[28:29]
; %bb.483:                              ;   in Loop: Header=BB2_132 Depth=3
	s_andn2_saveexec_b64 s[26:27], s[26:27]
; %bb.484:                              ;   in Loop: Header=BB2_132 Depth=3
	v_mov_b32_e32 v8, v28
	v_bfe_u32 v3, v28, 23, 1
	v_mov_b32_e32 v9, v29
; %bb.485:                              ;   in Loop: Header=BB2_132 Depth=3
	s_or_b64 exec, exec, s[26:27]
	v_lshrrev_b64 v[7:8], 20, v[8:9]
	v_cmp_gt_i32_e32 vcc, 16, v3
	v_cndmask_b32_e32 v8, 0, v8, vcc
	v_cndmask_b32_e32 v7, 7, v7, vcc
	v_cmp_eq_u32_e32 vcc, 0, v3
	v_min_i32_e32 v3, 15, v3
	v_cmp_eq_u64_e64 s[26:27], 0, v[7:8]
	v_lshlrev_b32_e32 v3, 3, v3
	v_and_b32_e32 v3, 0xf8, v3
	v_and_or_b32 v3, v7, 7, v3
	s_and_b64 s[26:27], vcc, s[26:27]
	v_cndmask_b32_e64 v3, v3, 0, s[26:27]
	v_or_b32_e32 v3, v3, v5
.LBB2_486:                              ;   in Loop: Header=BB2_132 Depth=3
	s_or_b64 exec, exec, s[34:35]
                                        ; implicit-def: $vgpr5
.LBB2_487:                              ;   in Loop: Header=BB2_132 Depth=3
	s_andn2_saveexec_b64 s[26:27], s[30:31]
; %bb.488:                              ;   in Loop: Header=BB2_132 Depth=3
	v_or_b32_e32 v3, 0x7e, v5
; %bb.489:                              ;   in Loop: Header=BB2_132 Depth=3
	s_or_b64 exec, exec, s[26:27]
                                        ; implicit-def: $vgpr7
.LBB2_490:                              ;   in Loop: Header=BB2_132 Depth=3
	s_andn2_saveexec_b64 s[26:27], s[94:95]
; %bb.491:                              ;   in Loop: Header=BB2_132 Depth=3
	v_or_b32_sdwa v3, v7, s85 dst_sel:DWORD dst_unused:UNUSED_PAD src0_sel:BYTE_3 src1_sel:DWORD
; %bb.492:                              ;   in Loop: Header=BB2_132 Depth=3
	s_or_b64 exec, exec, s[26:27]
	global_load_dwordx4 v[8:11], v[44:45], off offset:1024 glc slc
	v_mov_b32_e32 v5, 0
	s_waitcnt vmcnt(0)
	v_cmp_ne_u16_sdwa s[94:95], v8, v29 src0_sel:BYTE_0 src1_sel:DWORD
	s_and_saveexec_b64 s[26:27], s[94:95]
	s_cbranch_execz .LBB2_498
; %bb.493:                              ;   in Loop: Header=BB2_132 Depth=3
	v_cmp_ne_u16_sdwa vcc, v8, s87 src0_sel:BYTE_0 src1_sel:DWORD
	v_bfrev_b32_e32 v5, 1
	s_and_saveexec_b64 s[94:95], vcc
	s_cbranch_execz .LBB2_497
; %bb.494:                              ;   in Loop: Header=BB2_132 Depth=3
	v_and_b32_e32 v7, 0x7f, v8
	v_cmp_ne_u32_e32 vcc, s85, v7
	v_mov_b32_e32 v5, 0x7f800001
	s_and_saveexec_b64 s[30:31], vcc
	s_cbranch_execz .LBB2_496
; %bb.495:                              ;   in Loop: Header=BB2_132 Depth=3
	v_and_b32_e32 v5, 7, v8
	v_ffbh_u32_e32 v5, v5
	v_min_u32_e32 v5, 32, v5
	v_lshrrev_b32_e32 v16, 3, v7
	v_cmp_gt_u32_e32 vcc, 8, v7
	v_subrev_u32_e32 v7, 28, v5
	v_cndmask_b32_e32 v7, 0, v7, vcc
	v_lshlrev_b64 v[22:23], v7, v[8:9]
	v_sub_u32_e32 v5, 29, v5
	v_cndmask_b32_e32 v5, v16, v5, vcc
	v_lshlrev_b32_e32 v7, 20, v22
	v_lshlrev_b32_e32 v16, 24, v8
	v_and_b32_e32 v7, 0x700000, v7
	v_and_b32_e32 v16, 0x80000000, v16
	v_lshl_add_u32 v5, v5, 23, v17
	v_or3_b32 v5, v16, v5, v7
.LBB2_496:                              ;   in Loop: Header=BB2_132 Depth=3
	s_or_b64 exec, exec, s[30:31]
.LBB2_497:                              ;   in Loop: Header=BB2_132 Depth=3
	s_or_b64 exec, exec, s[94:95]
.LBB2_498:                              ;   in Loop: Header=BB2_132 Depth=3
	s_or_b64 exec, exec, s[26:27]
	v_mul_f32_e32 v16, v19, v5
	v_and_b32_e32 v28, 0x7f800000, v16
	v_cmp_ne_u64_e32 vcc, s[76:77], v[28:29]
                                        ; implicit-def: $vgpr5
	s_and_saveexec_b64 s[26:27], vcc
	s_xor_b64 s[94:95], exec, s[26:27]
	s_cbranch_execz .LBB2_512
; %bb.499:                              ;   in Loop: Header=BB2_132 Depth=3
	v_and_b32_e32 v28, 0x7fffffff, v16
	v_cmp_gt_u64_e32 vcc, s[78:79], v[28:29]
	v_and_b32_sdwa v7, v16, s87 dst_sel:DWORD dst_unused:UNUSED_PAD src0_sel:BYTE_3 src1_sel:DWORD
                                        ; implicit-def: $vgpr5
	s_and_saveexec_b64 s[26:27], vcc
	s_xor_b64 s[30:31], exec, s[26:27]
	s_cbranch_execz .LBB2_509
; %bb.500:                              ;   in Loop: Header=BB2_132 Depth=3
	v_mov_b32_e32 v5, 0
	v_cmp_ne_u32_e32 vcc, 0, v16
	s_and_saveexec_b64 s[34:35], vcc
	s_cbranch_execz .LBB2_508
; %bb.501:                              ;   in Loop: Header=BB2_132 Depth=3
	v_bfe_u32 v5, v16, 23, 8
	v_and_b32_e32 v22, 0x7fffff, v16
	v_cmp_gt_u32_e64 s[26:27], s96, v5
	v_sub_u32_e32 v16, 0x79, v5
	v_cmp_eq_u32_e32 vcc, 0, v5
	v_cndmask_b32_e64 v16, 0, v16, s[26:27]
	v_or_b32_e32 v23, 0x800000, v22
	v_cndmask_b32_e32 v16, v16, v36, vcc
	v_cndmask_b32_e32 v28, v23, v22, vcc
	v_add_u32_e32 v22, 20, v16
	v_lshlrev_b64 v[22:23], v22, -1
	v_add_u32_e32 v24, 19, v16
	v_lshlrev_b64 v[24:25], v24, 1
	v_lshrrev_b64 v[44:45], v16, v[28:29]
	v_bfi_b32 v23, v23, 0, 0
	v_bfi_b32 v22, v22, 0, v28
	v_cmp_eq_u64_e64 s[26:27], v[22:23], v[24:25]
	v_mov_b32_e32 v46, v45
	v_mov_b32_e32 v45, v44
	s_and_saveexec_b64 s[36:37], s[26:27]
; %bb.502:                              ;   in Loop: Header=BB2_132 Depth=3
	v_bfe_u32 v22, v44, 20, 1
	v_add_co_u32_e64 v22, s[26:27], v44, v22
	v_add_co_u32_e64 v45, s[26:27], -1, v22
; %bb.503:                              ;   in Loop: Header=BB2_132 Depth=3
	s_or_b64 exec, exec, s[36:37]
	v_add_u32_e32 v5, 0xffffff81, v5
	v_cndmask_b32_e32 v5, v5, v37, vcc
	v_lshrrev_b32_e32 v22, 23, v44
	v_add3_u32 v22, v16, v5, v22
	v_add_u32_e32 v16, 6, v22
	v_and_b32_e32 v5, 0xfffff, v45
	v_add_u32_e32 v28, v5, v44
	v_cmp_ne_u32_e32 vcc, 0, v16
                                        ; implicit-def: $vgpr44_vgpr45
                                        ; implicit-def: $vgpr5
	s_and_saveexec_b64 s[26:27], vcc
	s_xor_b64 s[26:27], exec, s[26:27]
; %bb.504:                              ;   in Loop: Header=BB2_132 Depth=3
	v_cmp_lt_u64_e32 vcc, s[88:89], v[28:29]
	v_add_u32_e32 v5, 7, v22
	v_cndmask_b32_e32 v5, v16, v5, vcc
	v_cndmask_b32_e64 v16, 0, 1, vcc
	v_lshrrev_b64 v[44:45], v16, v[28:29]
; %bb.505:                              ;   in Loop: Header=BB2_132 Depth=3
	s_andn2_saveexec_b64 s[26:27], s[26:27]
; %bb.506:                              ;   in Loop: Header=BB2_132 Depth=3
	v_mov_b32_e32 v45, v29
	v_bfe_u32 v5, v28, 23, 1
	v_mov_b32_e32 v44, v28
; %bb.507:                              ;   in Loop: Header=BB2_132 Depth=3
	s_or_b64 exec, exec, s[26:27]
	v_lshrrev_b64 v[22:23], 20, v[44:45]
	v_cmp_gt_i32_e32 vcc, 16, v5
	v_cndmask_b32_e32 v23, 0, v23, vcc
	v_cndmask_b32_e32 v22, 7, v22, vcc
	v_cmp_eq_u32_e32 vcc, 0, v5
	v_min_i32_e32 v5, 15, v5
	v_cmp_eq_u64_e64 s[26:27], 0, v[22:23]
	v_lshlrev_b32_e32 v5, 3, v5
	v_and_b32_e32 v5, 0xf8, v5
	v_and_or_b32 v5, v22, 7, v5
	s_and_b64 s[26:27], vcc, s[26:27]
	v_cndmask_b32_e64 v5, v5, 0, s[26:27]
	v_or_b32_e32 v5, v5, v7
.LBB2_508:                              ;   in Loop: Header=BB2_132 Depth=3
	s_or_b64 exec, exec, s[34:35]
                                        ; implicit-def: $vgpr7
.LBB2_509:                              ;   in Loop: Header=BB2_132 Depth=3
	s_andn2_saveexec_b64 s[26:27], s[30:31]
; %bb.510:                              ;   in Loop: Header=BB2_132 Depth=3
	v_or_b32_e32 v5, 0x7e, v7
; %bb.511:                              ;   in Loop: Header=BB2_132 Depth=3
	s_or_b64 exec, exec, s[26:27]
                                        ; implicit-def: $vgpr16
.LBB2_512:                              ;   in Loop: Header=BB2_132 Depth=3
	s_andn2_saveexec_b64 s[26:27], s[94:95]
; %bb.513:                              ;   in Loop: Header=BB2_132 Depth=3
	v_or_b32_sdwa v5, v16, s85 dst_sel:DWORD dst_unused:UNUSED_PAD src0_sel:BYTE_3 src1_sel:DWORD
; %bb.514:                              ;   in Loop: Header=BB2_132 Depth=3
	s_or_b64 exec, exec, s[26:27]
	v_lshrrev_b16_e32 v28, 8, v8
	v_cmp_ne_u16_e32 vcc, 0, v28
	v_mov_b32_e32 v7, 0
	s_and_saveexec_b64 s[26:27], vcc
	s_cbranch_execz .LBB2_520
; %bb.515:                              ;   in Loop: Header=BB2_132 Depth=3
	v_cmp_ne_u16_e32 vcc, s87, v28
	v_bfrev_b32_e32 v7, 1
	s_and_saveexec_b64 s[94:95], vcc
	s_cbranch_execz .LBB2_519
; %bb.516:                              ;   in Loop: Header=BB2_132 Depth=3
	v_and_b32_e32 v16, 0x7f, v28
	v_cmp_ne_u32_e32 vcc, s85, v16
	v_mov_b32_e32 v7, 0x7f800001
	s_and_saveexec_b64 s[30:31], vcc
	s_cbranch_execz .LBB2_518
; %bb.517:                              ;   in Loop: Header=BB2_132 Depth=3
	v_and_b32_e32 v7, 7, v28
	v_lshrrev_b32_e32 v24, 3, v16
	v_cmp_gt_u32_e32 vcc, 8, v16
	v_ffbh_u32_e32 v16, v7
	v_min_u32_e32 v16, 32, v16
	v_subrev_u32_e32 v22, 28, v16
	v_lshlrev_b64 v[22:23], v22, v[28:29]
	v_sub_u32_e32 v16, 29, v16
	v_and_b32_e32 v22, 7, v22
	v_cndmask_b32_e32 v16, v24, v16, vcc
	v_cndmask_b32_e32 v7, v7, v22, vcc
	v_lshlrev_b32_e32 v22, 16, v8
	v_lshlrev_b32_e32 v7, 20, v7
	v_and_b32_e32 v22, 0x80000000, v22
	v_lshl_add_u32 v16, v16, 23, v17
	v_or3_b32 v7, v22, v16, v7
.LBB2_518:                              ;   in Loop: Header=BB2_132 Depth=3
	s_or_b64 exec, exec, s[30:31]
.LBB2_519:                              ;   in Loop: Header=BB2_132 Depth=3
	s_or_b64 exec, exec, s[94:95]
.LBB2_520:                              ;   in Loop: Header=BB2_132 Depth=3
	s_or_b64 exec, exec, s[26:27]
	v_mul_f32_e32 v22, v19, v7
	v_and_b32_e32 v28, 0x7f800000, v22
	v_cmp_ne_u64_e32 vcc, s[76:77], v[28:29]
                                        ; implicit-def: $vgpr7
	s_and_saveexec_b64 s[26:27], vcc
	s_xor_b64 s[94:95], exec, s[26:27]
	s_cbranch_execz .LBB2_534
; %bb.521:                              ;   in Loop: Header=BB2_132 Depth=3
	v_and_b32_e32 v28, 0x7fffffff, v22
	v_cmp_gt_u64_e32 vcc, s[78:79], v[28:29]
	v_and_b32_sdwa v16, v22, s87 dst_sel:DWORD dst_unused:UNUSED_PAD src0_sel:BYTE_3 src1_sel:DWORD
                                        ; implicit-def: $vgpr7
	s_and_saveexec_b64 s[26:27], vcc
	s_xor_b64 s[30:31], exec, s[26:27]
	s_cbranch_execz .LBB2_531
; %bb.522:                              ;   in Loop: Header=BB2_132 Depth=3
	v_mov_b32_e32 v7, 0
	v_cmp_ne_u32_e32 vcc, 0, v22
	s_and_saveexec_b64 s[34:35], vcc
	s_cbranch_execz .LBB2_530
; %bb.523:                              ;   in Loop: Header=BB2_132 Depth=3
	v_bfe_u32 v7, v22, 23, 8
	v_and_b32_e32 v23, 0x7fffff, v22
	v_cmp_gt_u32_e64 s[26:27], s96, v7
	v_sub_u32_e32 v22, 0x79, v7
	v_cmp_eq_u32_e32 vcc, 0, v7
	v_cndmask_b32_e64 v22, 0, v22, s[26:27]
	v_or_b32_e32 v24, 0x800000, v23
	v_cndmask_b32_e32 v22, v22, v36, vcc
	v_cndmask_b32_e32 v28, v24, v23, vcc
	v_add_u32_e32 v23, 20, v22
	v_lshlrev_b64 v[23:24], v23, -1
	v_add_u32_e32 v25, 19, v22
	v_lshlrev_b64 v[30:31], v25, 1
	v_lshrrev_b64 v[44:45], v22, v[28:29]
	v_bfi_b32 v24, v24, 0, 0
	v_bfi_b32 v23, v23, 0, v28
	v_cmp_eq_u64_e64 s[26:27], v[23:24], v[30:31]
	v_mov_b32_e32 v46, v45
	v_mov_b32_e32 v45, v44
	s_and_saveexec_b64 s[36:37], s[26:27]
; %bb.524:                              ;   in Loop: Header=BB2_132 Depth=3
	v_bfe_u32 v23, v44, 20, 1
	v_add_co_u32_e64 v23, s[26:27], v44, v23
	v_add_co_u32_e64 v45, s[26:27], -1, v23
; %bb.525:                              ;   in Loop: Header=BB2_132 Depth=3
	s_or_b64 exec, exec, s[36:37]
	v_add_u32_e32 v7, 0xffffff81, v7
	v_cndmask_b32_e32 v7, v7, v37, vcc
	v_lshrrev_b32_e32 v23, 23, v44
	v_add3_u32 v23, v22, v7, v23
	v_add_u32_e32 v22, 6, v23
	v_and_b32_e32 v7, 0xfffff, v45
	v_add_u32_e32 v28, v7, v44
	v_cmp_ne_u32_e32 vcc, 0, v22
                                        ; implicit-def: $vgpr44_vgpr45
                                        ; implicit-def: $vgpr7
	s_and_saveexec_b64 s[26:27], vcc
	s_xor_b64 s[26:27], exec, s[26:27]
; %bb.526:                              ;   in Loop: Header=BB2_132 Depth=3
	v_cmp_lt_u64_e32 vcc, s[88:89], v[28:29]
	v_add_u32_e32 v7, 7, v23
	v_cndmask_b32_e32 v7, v22, v7, vcc
	v_cndmask_b32_e64 v22, 0, 1, vcc
	v_lshrrev_b64 v[44:45], v22, v[28:29]
; %bb.527:                              ;   in Loop: Header=BB2_132 Depth=3
	s_andn2_saveexec_b64 s[26:27], s[26:27]
; %bb.528:                              ;   in Loop: Header=BB2_132 Depth=3
	v_mov_b32_e32 v45, v29
	v_bfe_u32 v7, v28, 23, 1
	v_mov_b32_e32 v44, v28
; %bb.529:                              ;   in Loop: Header=BB2_132 Depth=3
	s_or_b64 exec, exec, s[26:27]
	v_lshrrev_b64 v[22:23], 20, v[44:45]
	v_cmp_gt_i32_e32 vcc, 16, v7
	v_cndmask_b32_e32 v23, 0, v23, vcc
	v_cndmask_b32_e32 v22, 7, v22, vcc
	v_cmp_eq_u32_e32 vcc, 0, v7
	v_min_i32_e32 v7, 15, v7
	v_cmp_eq_u64_e64 s[26:27], 0, v[22:23]
	v_lshlrev_b32_e32 v7, 3, v7
	v_and_b32_e32 v7, 0xf8, v7
	v_and_or_b32 v7, v22, 7, v7
	s_and_b64 s[26:27], vcc, s[26:27]
	v_cndmask_b32_e64 v7, v7, 0, s[26:27]
	v_or_b32_e32 v7, v7, v16
.LBB2_530:                              ;   in Loop: Header=BB2_132 Depth=3
	s_or_b64 exec, exec, s[34:35]
                                        ; implicit-def: $vgpr16
.LBB2_531:                              ;   in Loop: Header=BB2_132 Depth=3
	s_andn2_saveexec_b64 s[26:27], s[30:31]
; %bb.532:                              ;   in Loop: Header=BB2_132 Depth=3
	v_or_b32_e32 v7, 0x7e, v16
; %bb.533:                              ;   in Loop: Header=BB2_132 Depth=3
	s_or_b64 exec, exec, s[26:27]
                                        ; implicit-def: $vgpr22
.LBB2_534:                              ;   in Loop: Header=BB2_132 Depth=3
	s_andn2_saveexec_b64 s[26:27], s[94:95]
; %bb.535:                              ;   in Loop: Header=BB2_132 Depth=3
	v_or_b32_sdwa v7, v22, s85 dst_sel:DWORD dst_unused:UNUSED_PAD src0_sel:BYTE_3 src1_sel:DWORD
; %bb.536:                              ;   in Loop: Header=BB2_132 Depth=3
	s_or_b64 exec, exec, s[26:27]
	v_lshrrev_b32_e32 v28, 16, v8
	v_cmp_ne_u16_sdwa s[94:95], v28, v29 src0_sel:BYTE_0 src1_sel:DWORD
	v_mov_b32_e32 v16, 0
	s_and_saveexec_b64 s[26:27], s[94:95]
	s_cbranch_execz .LBB2_542
; %bb.537:                              ;   in Loop: Header=BB2_132 Depth=3
	v_cmp_ne_u16_sdwa vcc, v28, s87 src0_sel:BYTE_0 src1_sel:DWORD
	v_bfrev_b32_e32 v16, 1
	s_and_saveexec_b64 s[94:95], vcc
	s_cbranch_execz .LBB2_541
; %bb.538:                              ;   in Loop: Header=BB2_132 Depth=3
	v_bfe_u32 v22, v8, 16, 7
	v_cmp_ne_u32_e32 vcc, s85, v22
	v_mov_b32_e32 v16, 0x7f800001
	s_and_saveexec_b64 s[30:31], vcc
	s_cbranch_execz .LBB2_540
; %bb.539:                              ;   in Loop: Header=BB2_132 Depth=3
	v_and_b32_e32 v16, 7, v28
	v_lshrrev_b32_e32 v24, 3, v22
	v_cmp_gt_u32_e32 vcc, 8, v22
	v_ffbh_u32_e32 v22, v16
	v_min_u32_e32 v25, 32, v22
	v_subrev_u32_e32 v22, 28, v25
	v_lshlrev_b64 v[22:23], v22, v[28:29]
	v_sub_u32_e32 v23, 29, v25
	v_and_b32_e32 v22, 7, v22
	v_cndmask_b32_e32 v23, v24, v23, vcc
	v_cndmask_b32_e32 v16, v16, v22, vcc
	v_lshlrev_b32_e32 v22, 24, v28
	v_lshlrev_b32_e32 v16, 20, v16
	v_and_b32_e32 v22, 0x80000000, v22
	v_lshl_add_u32 v23, v23, 23, v17
	v_or3_b32 v16, v22, v23, v16
.LBB2_540:                              ;   in Loop: Header=BB2_132 Depth=3
	s_or_b64 exec, exec, s[30:31]
.LBB2_541:                              ;   in Loop: Header=BB2_132 Depth=3
	s_or_b64 exec, exec, s[94:95]
.LBB2_542:                              ;   in Loop: Header=BB2_132 Depth=3
	s_or_b64 exec, exec, s[26:27]
	v_mul_f32_e32 v23, v19, v16
	v_and_b32_e32 v28, 0x7f800000, v23
	v_cmp_ne_u64_e32 vcc, s[76:77], v[28:29]
                                        ; implicit-def: $vgpr16
	s_and_saveexec_b64 s[26:27], vcc
	s_xor_b64 s[94:95], exec, s[26:27]
	s_cbranch_execz .LBB2_556
; %bb.543:                              ;   in Loop: Header=BB2_132 Depth=3
	v_and_b32_e32 v28, 0x7fffffff, v23
	v_cmp_gt_u64_e32 vcc, s[78:79], v[28:29]
	v_and_b32_sdwa v22, v23, s87 dst_sel:DWORD dst_unused:UNUSED_PAD src0_sel:BYTE_3 src1_sel:DWORD
                                        ; implicit-def: $vgpr16
	s_and_saveexec_b64 s[26:27], vcc
	s_xor_b64 s[30:31], exec, s[26:27]
	s_cbranch_execz .LBB2_553
; %bb.544:                              ;   in Loop: Header=BB2_132 Depth=3
	v_mov_b32_e32 v16, 0
	v_cmp_ne_u32_e32 vcc, 0, v23
	s_and_saveexec_b64 s[34:35], vcc
	s_cbranch_execz .LBB2_552
; %bb.545:                              ;   in Loop: Header=BB2_132 Depth=3
	v_bfe_u32 v16, v23, 23, 8
	v_and_b32_e32 v24, 0x7fffff, v23
	v_cmp_gt_u32_e64 s[26:27], s96, v16
	v_sub_u32_e32 v23, 0x79, v16
	v_cmp_eq_u32_e32 vcc, 0, v16
	v_cndmask_b32_e64 v23, 0, v23, s[26:27]
	v_or_b32_e32 v25, 0x800000, v24
	v_cndmask_b32_e32 v23, v23, v36, vcc
	v_cndmask_b32_e32 v28, v25, v24, vcc
	v_add_u32_e32 v24, 20, v23
	v_lshlrev_b64 v[24:25], v24, -1
	v_add_u32_e32 v30, 19, v23
	v_lshlrev_b64 v[30:31], v30, 1
	v_lshrrev_b64 v[44:45], v23, v[28:29]
	v_bfi_b32 v25, v25, 0, 0
	v_bfi_b32 v24, v24, 0, v28
	v_cmp_eq_u64_e64 s[26:27], v[24:25], v[30:31]
	v_mov_b32_e32 v46, v45
	v_mov_b32_e32 v45, v44
	s_and_saveexec_b64 s[36:37], s[26:27]
; %bb.546:                              ;   in Loop: Header=BB2_132 Depth=3
	v_bfe_u32 v24, v44, 20, 1
	v_add_co_u32_e64 v24, s[26:27], v44, v24
	v_add_co_u32_e64 v45, s[26:27], -1, v24
; %bb.547:                              ;   in Loop: Header=BB2_132 Depth=3
	s_or_b64 exec, exec, s[36:37]
	v_add_u32_e32 v16, 0xffffff81, v16
	v_cndmask_b32_e32 v16, v16, v37, vcc
	v_lshrrev_b32_e32 v24, 23, v44
	v_add3_u32 v24, v23, v16, v24
	v_add_u32_e32 v23, 6, v24
	v_and_b32_e32 v16, 0xfffff, v45
	v_add_u32_e32 v28, v16, v44
	v_cmp_ne_u32_e32 vcc, 0, v23
                                        ; implicit-def: $vgpr44_vgpr45
                                        ; implicit-def: $vgpr16
	s_and_saveexec_b64 s[26:27], vcc
	s_xor_b64 s[26:27], exec, s[26:27]
; %bb.548:                              ;   in Loop: Header=BB2_132 Depth=3
	v_cmp_lt_u64_e32 vcc, s[88:89], v[28:29]
	v_add_u32_e32 v16, 7, v24
	v_cndmask_b32_e32 v16, v23, v16, vcc
	v_cndmask_b32_e64 v23, 0, 1, vcc
	v_lshrrev_b64 v[44:45], v23, v[28:29]
; %bb.549:                              ;   in Loop: Header=BB2_132 Depth=3
	s_andn2_saveexec_b64 s[26:27], s[26:27]
; %bb.550:                              ;   in Loop: Header=BB2_132 Depth=3
	v_mov_b32_e32 v45, v29
	v_bfe_u32 v16, v28, 23, 1
	v_mov_b32_e32 v44, v28
; %bb.551:                              ;   in Loop: Header=BB2_132 Depth=3
	s_or_b64 exec, exec, s[26:27]
	v_lshrrev_b64 v[23:24], 20, v[44:45]
	v_cmp_gt_i32_e32 vcc, 16, v16
	v_cndmask_b32_e32 v24, 0, v24, vcc
	v_cndmask_b32_e32 v23, 7, v23, vcc
	v_cmp_eq_u32_e32 vcc, 0, v16
	v_min_i32_e32 v16, 15, v16
	v_cmp_eq_u64_e64 s[26:27], 0, v[23:24]
	v_lshlrev_b32_e32 v16, 3, v16
	v_and_b32_e32 v16, 0xf8, v16
	v_and_or_b32 v16, v23, 7, v16
	s_and_b64 s[26:27], vcc, s[26:27]
	v_cndmask_b32_e64 v16, v16, 0, s[26:27]
	v_or_b32_e32 v16, v16, v22
.LBB2_552:                              ;   in Loop: Header=BB2_132 Depth=3
	s_or_b64 exec, exec, s[34:35]
                                        ; implicit-def: $vgpr22
.LBB2_553:                              ;   in Loop: Header=BB2_132 Depth=3
	s_andn2_saveexec_b64 s[26:27], s[30:31]
; %bb.554:                              ;   in Loop: Header=BB2_132 Depth=3
	v_or_b32_e32 v16, 0x7e, v22
; %bb.555:                              ;   in Loop: Header=BB2_132 Depth=3
	s_or_b64 exec, exec, s[26:27]
                                        ; implicit-def: $vgpr23
.LBB2_556:                              ;   in Loop: Header=BB2_132 Depth=3
	s_andn2_saveexec_b64 s[26:27], s[94:95]
; %bb.557:                              ;   in Loop: Header=BB2_132 Depth=3
	v_or_b32_sdwa v16, v23, s85 dst_sel:DWORD dst_unused:UNUSED_PAD src0_sel:BYTE_3 src1_sel:DWORD
; %bb.558:                              ;   in Loop: Header=BB2_132 Depth=3
	s_or_b64 exec, exec, s[26:27]
	v_cmp_lt_u32_e32 vcc, s57, v8
	v_mov_b32_e32 v22, 0
	s_and_saveexec_b64 s[26:27], vcc
	s_cbranch_execz .LBB2_564
; %bb.559:                              ;   in Loop: Header=BB2_132 Depth=3
	v_lshrrev_b32_e32 v28, 24, v8
	v_cmp_ne_u32_e32 vcc, s87, v28
	v_bfrev_b32_e32 v22, 1
	s_and_saveexec_b64 s[94:95], vcc
	s_cbranch_execz .LBB2_563
; %bb.560:                              ;   in Loop: Header=BB2_132 Depth=3
	v_bfe_u32 v23, v8, 24, 7
	v_cmp_ne_u32_e32 vcc, s85, v23
	v_mov_b32_e32 v22, 0x7f800001
	s_and_saveexec_b64 s[30:31], vcc
	s_cbranch_execz .LBB2_562
; %bb.561:                              ;   in Loop: Header=BB2_132 Depth=3
	v_and_b32_e32 v24, 7, v28
	v_ffbh_u32_e32 v22, v24
	v_min_u32_e32 v30, 32, v22
	v_subrev_u32_e32 v22, 28, v30
	v_lshrrev_b32_e32 v25, 3, v23
	v_cmp_gt_u32_e32 vcc, 8, v23
	v_lshlrev_b64 v[22:23], v22, v[28:29]
	v_sub_u32_e32 v23, 29, v30
	v_and_b32_e32 v22, 7, v22
	v_cndmask_b32_e32 v23, v25, v23, vcc
	v_cndmask_b32_e32 v22, v24, v22, vcc
	v_lshlrev_b32_e32 v24, 24, v28
	v_lshlrev_b32_e32 v22, 20, v22
	v_and_b32_e32 v24, 0x80000000, v24
	v_lshl_add_u32 v23, v23, 23, v17
	v_or3_b32 v22, v24, v23, v22
.LBB2_562:                              ;   in Loop: Header=BB2_132 Depth=3
	s_or_b64 exec, exec, s[30:31]
.LBB2_563:                              ;   in Loop: Header=BB2_132 Depth=3
	s_or_b64 exec, exec, s[94:95]
.LBB2_564:                              ;   in Loop: Header=BB2_132 Depth=3
	s_or_b64 exec, exec, s[26:27]
	v_mul_f32_e32 v24, v19, v22
	v_and_b32_e32 v28, 0x7f800000, v24
	v_cmp_ne_u64_e32 vcc, s[76:77], v[28:29]
                                        ; implicit-def: $vgpr22
	s_and_saveexec_b64 s[26:27], vcc
	s_xor_b64 s[94:95], exec, s[26:27]
	s_cbranch_execz .LBB2_578
; %bb.565:                              ;   in Loop: Header=BB2_132 Depth=3
	v_and_b32_e32 v28, 0x7fffffff, v24
	v_cmp_gt_u64_e32 vcc, s[78:79], v[28:29]
	v_and_b32_sdwa v23, v24, s87 dst_sel:DWORD dst_unused:UNUSED_PAD src0_sel:BYTE_3 src1_sel:DWORD
                                        ; implicit-def: $vgpr22
	s_and_saveexec_b64 s[26:27], vcc
	s_xor_b64 s[30:31], exec, s[26:27]
	s_cbranch_execz .LBB2_575
; %bb.566:                              ;   in Loop: Header=BB2_132 Depth=3
	v_mov_b32_e32 v22, 0
	v_cmp_ne_u32_e32 vcc, 0, v24
	s_and_saveexec_b64 s[34:35], vcc
	s_cbranch_execz .LBB2_574
; %bb.567:                              ;   in Loop: Header=BB2_132 Depth=3
	v_bfe_u32 v22, v24, 23, 8
	v_and_b32_e32 v25, 0x7fffff, v24
	v_cmp_gt_u32_e64 s[26:27], s96, v22
	v_sub_u32_e32 v24, 0x79, v22
	v_cmp_eq_u32_e32 vcc, 0, v22
	v_cndmask_b32_e64 v24, 0, v24, s[26:27]
	v_or_b32_e32 v28, 0x800000, v25
	v_cndmask_b32_e32 v24, v24, v36, vcc
	v_cndmask_b32_e32 v28, v28, v25, vcc
	v_add_u32_e32 v25, 20, v24
	v_lshlrev_b64 v[30:31], v25, -1
	v_add_u32_e32 v25, 19, v24
	v_lshlrev_b64 v[33:34], v25, 1
	v_lshrrev_b64 v[44:45], v24, v[28:29]
	v_bfi_b32 v31, v31, 0, 0
	v_bfi_b32 v30, v30, 0, v28
	v_cmp_eq_u64_e64 s[26:27], v[30:31], v[33:34]
	v_mov_b32_e32 v46, v45
	v_mov_b32_e32 v45, v44
	s_and_saveexec_b64 s[36:37], s[26:27]
; %bb.568:                              ;   in Loop: Header=BB2_132 Depth=3
	v_bfe_u32 v25, v44, 20, 1
	v_add_co_u32_e64 v25, s[26:27], v44, v25
	v_add_co_u32_e64 v45, s[26:27], -1, v25
; %bb.569:                              ;   in Loop: Header=BB2_132 Depth=3
	s_or_b64 exec, exec, s[36:37]
	v_add_u32_e32 v22, 0xffffff81, v22
	v_cndmask_b32_e32 v22, v22, v37, vcc
	v_lshrrev_b32_e32 v25, 23, v44
	v_add3_u32 v25, v24, v22, v25
	v_add_u32_e32 v24, 6, v25
	v_and_b32_e32 v22, 0xfffff, v45
	v_add_u32_e32 v28, v22, v44
	v_cmp_ne_u32_e32 vcc, 0, v24
                                        ; implicit-def: $vgpr44_vgpr45
                                        ; implicit-def: $vgpr22
	s_and_saveexec_b64 s[26:27], vcc
	s_xor_b64 s[26:27], exec, s[26:27]
; %bb.570:                              ;   in Loop: Header=BB2_132 Depth=3
	v_cmp_lt_u64_e32 vcc, s[88:89], v[28:29]
	v_add_u32_e32 v22, 7, v25
	v_cndmask_b32_e32 v22, v24, v22, vcc
	v_cndmask_b32_e64 v24, 0, 1, vcc
	v_lshrrev_b64 v[44:45], v24, v[28:29]
; %bb.571:                              ;   in Loop: Header=BB2_132 Depth=3
	s_andn2_saveexec_b64 s[26:27], s[26:27]
; %bb.572:                              ;   in Loop: Header=BB2_132 Depth=3
	v_mov_b32_e32 v45, v29
	v_bfe_u32 v22, v28, 23, 1
	v_mov_b32_e32 v44, v28
; %bb.573:                              ;   in Loop: Header=BB2_132 Depth=3
	s_or_b64 exec, exec, s[26:27]
	v_lshrrev_b64 v[24:25], 20, v[44:45]
	v_cmp_gt_i32_e32 vcc, 16, v22
	v_cndmask_b32_e32 v25, 0, v25, vcc
	v_cndmask_b32_e32 v24, 7, v24, vcc
	v_cmp_eq_u32_e32 vcc, 0, v22
	v_min_i32_e32 v22, 15, v22
	v_cmp_eq_u64_e64 s[26:27], 0, v[24:25]
	v_lshlrev_b32_e32 v22, 3, v22
	v_and_b32_e32 v22, 0xf8, v22
	v_and_or_b32 v22, v24, 7, v22
	s_and_b64 s[26:27], vcc, s[26:27]
	v_cndmask_b32_e64 v22, v22, 0, s[26:27]
	v_or_b32_e32 v22, v22, v23
.LBB2_574:                              ;   in Loop: Header=BB2_132 Depth=3
	s_or_b64 exec, exec, s[34:35]
                                        ; implicit-def: $vgpr23
.LBB2_575:                              ;   in Loop: Header=BB2_132 Depth=3
	s_andn2_saveexec_b64 s[26:27], s[30:31]
; %bb.576:                              ;   in Loop: Header=BB2_132 Depth=3
	v_or_b32_e32 v22, 0x7e, v23
; %bb.577:                              ;   in Loop: Header=BB2_132 Depth=3
	s_or_b64 exec, exec, s[26:27]
                                        ; implicit-def: $vgpr24
.LBB2_578:                              ;   in Loop: Header=BB2_132 Depth=3
	s_andn2_saveexec_b64 s[26:27], s[94:95]
; %bb.579:                              ;   in Loop: Header=BB2_132 Depth=3
	v_or_b32_sdwa v22, v24, s85 dst_sel:DWORD dst_unused:UNUSED_PAD src0_sel:BYTE_3 src1_sel:DWORD
; %bb.580:                              ;   in Loop: Header=BB2_132 Depth=3
	s_or_b64 exec, exec, s[26:27]
	v_mov_b32_e32 v28, v9
	v_cmp_ne_u16_sdwa s[94:95], v9, v29 src0_sel:BYTE_0 src1_sel:DWORD
	v_mov_b32_e32 v23, 0
	s_and_saveexec_b64 s[26:27], s[94:95]
	s_cbranch_execz .LBB2_586
; %bb.581:                              ;   in Loop: Header=BB2_132 Depth=3
	v_cmp_ne_u16_sdwa vcc, v9, s87 src0_sel:BYTE_0 src1_sel:DWORD
	v_bfrev_b32_e32 v23, 1
	s_and_saveexec_b64 s[94:95], vcc
	s_cbranch_execz .LBB2_585
; %bb.582:                              ;   in Loop: Header=BB2_132 Depth=3
	v_and_b32_e32 v24, 0x7f, v9
	v_cmp_ne_u32_e32 vcc, s85, v24
	v_mov_b32_e32 v23, 0x7f800001
	s_and_saveexec_b64 s[30:31], vcc
	s_cbranch_execz .LBB2_584
; %bb.583:                              ;   in Loop: Header=BB2_132 Depth=3
	v_and_b32_e32 v23, 7, v9
	v_ffbh_u32_e32 v23, v23
	v_min_u32_e32 v23, 32, v23
	v_lshrrev_b32_e32 v25, 3, v24
	v_cmp_gt_u32_e32 vcc, 8, v24
	v_subrev_u32_e32 v24, 28, v23
	v_sub_u32_e32 v23, 29, v23
	v_cndmask_b32_e32 v25, v25, v23, vcc
	v_cndmask_b32_e32 v23, 0, v24, vcc
	v_lshlrev_b64 v[23:24], v23, v[28:29]
	v_lshlrev_b32_e32 v24, 24, v28
	v_lshlrev_b32_e32 v23, 20, v23
	v_and_b32_e32 v23, 0x700000, v23
	v_and_b32_e32 v24, 0x80000000, v24
	v_lshl_add_u32 v25, v25, 23, v17
	v_or3_b32 v23, v24, v25, v23
.LBB2_584:                              ;   in Loop: Header=BB2_132 Depth=3
	s_or_b64 exec, exec, s[30:31]
.LBB2_585:                              ;   in Loop: Header=BB2_132 Depth=3
	s_or_b64 exec, exec, s[94:95]
.LBB2_586:                              ;   in Loop: Header=BB2_132 Depth=3
	s_or_b64 exec, exec, s[26:27]
	v_mul_f32_e32 v25, v19, v23
	v_and_b32_e32 v23, 0x7f800000, v25
	v_mov_b32_e32 v24, v29
	v_cmp_ne_u64_e32 vcc, s[76:77], v[23:24]
                                        ; implicit-def: $vgpr23
	s_and_saveexec_b64 s[26:27], vcc
	s_xor_b64 s[94:95], exec, s[26:27]
	s_cbranch_execz .LBB2_600
; %bb.587:                              ;   in Loop: Header=BB2_132 Depth=3
	v_and_b32_e32 v23, 0x7fffffff, v25
	v_mov_b32_e32 v24, v29
	v_cmp_gt_u64_e32 vcc, s[78:79], v[23:24]
	v_and_b32_sdwa v24, v25, s87 dst_sel:DWORD dst_unused:UNUSED_PAD src0_sel:BYTE_3 src1_sel:DWORD
                                        ; implicit-def: $vgpr23
	s_and_saveexec_b64 s[26:27], vcc
	s_xor_b64 s[30:31], exec, s[26:27]
	s_cbranch_execz .LBB2_597
; %bb.588:                              ;   in Loop: Header=BB2_132 Depth=3
	v_mov_b32_e32 v23, 0
	v_cmp_ne_u32_e32 vcc, 0, v25
	s_and_saveexec_b64 s[34:35], vcc
	s_cbranch_execz .LBB2_596
; %bb.589:                              ;   in Loop: Header=BB2_132 Depth=3
	v_bfe_u32 v23, v25, 23, 8
	v_and_b32_e32 v30, 0x7fffff, v25
	v_cmp_gt_u32_e64 s[26:27], s96, v23
	v_sub_u32_e32 v25, 0x79, v23
	v_cmp_eq_u32_e32 vcc, 0, v23
	v_cndmask_b32_e64 v25, 0, v25, s[26:27]
	v_cndmask_b32_e32 v25, v25, v36, vcc
	v_add_u32_e32 v33, 20, v25
	v_or_b32_e32 v31, 0x800000, v30
	v_lshlrev_b64 v[33:34], v33, -1
	v_add_u32_e32 v35, 19, v25
	v_cndmask_b32_e32 v30, v31, v30, vcc
	v_lshlrev_b64 v[44:45], v35, 1
	v_mov_b32_e32 v31, v29
	v_bfi_b32 v34, v34, 0, 0
	v_bfi_b32 v33, v33, 0, v30
	v_cmp_eq_u64_e64 s[26:27], v[33:34], v[44:45]
	v_lshrrev_b64 v[44:45], v25, v[30:31]
	v_mov_b32_e32 v46, v45
	v_mov_b32_e32 v45, v44
	s_and_saveexec_b64 s[36:37], s[26:27]
; %bb.590:                              ;   in Loop: Header=BB2_132 Depth=3
	v_bfe_u32 v30, v44, 20, 1
	v_add_co_u32_e64 v30, s[26:27], v44, v30
	v_add_co_u32_e64 v45, s[26:27], -1, v30
; %bb.591:                              ;   in Loop: Header=BB2_132 Depth=3
	s_or_b64 exec, exec, s[36:37]
	v_add_u32_e32 v23, 0xffffff81, v23
	v_cndmask_b32_e32 v23, v23, v37, vcc
	v_lshrrev_b32_e32 v30, 23, v44
	v_add3_u32 v30, v25, v23, v30
	v_add_u32_e32 v25, 6, v30
	v_and_b32_e32 v23, 0xfffff, v45
	v_add_u32_e32 v44, v23, v44
	v_mov_b32_e32 v45, v29
	v_cmp_ne_u32_e32 vcc, 0, v25
                                        ; implicit-def: $vgpr23
	s_and_saveexec_b64 s[26:27], vcc
	s_xor_b64 s[26:27], exec, s[26:27]
; %bb.592:                              ;   in Loop: Header=BB2_132 Depth=3
	v_cmp_lt_u64_e32 vcc, s[88:89], v[44:45]
	v_add_u32_e32 v23, 7, v30
	v_cndmask_b32_e32 v23, v25, v23, vcc
	v_cndmask_b32_e64 v25, 0, 1, vcc
	v_lshrrev_b64 v[44:45], v25, v[44:45]
; %bb.593:                              ;   in Loop: Header=BB2_132 Depth=3
	s_andn2_saveexec_b64 s[26:27], s[26:27]
; %bb.594:                              ;   in Loop: Header=BB2_132 Depth=3
	v_bfe_u32 v23, v44, 23, 1
; %bb.595:                              ;   in Loop: Header=BB2_132 Depth=3
	s_or_b64 exec, exec, s[26:27]
	v_lshrrev_b64 v[30:31], 20, v[44:45]
	v_cmp_gt_i32_e32 vcc, 16, v23
	v_cndmask_b32_e32 v31, 0, v31, vcc
	v_cndmask_b32_e32 v30, 7, v30, vcc
	v_cmp_eq_u32_e32 vcc, 0, v23
	v_min_i32_e32 v23, 15, v23
	v_cmp_eq_u64_e64 s[26:27], 0, v[30:31]
	v_lshlrev_b32_e32 v23, 3, v23
	v_and_b32_e32 v23, 0xf8, v23
	v_and_or_b32 v23, v30, 7, v23
	s_and_b64 s[26:27], vcc, s[26:27]
	v_cndmask_b32_e64 v23, v23, 0, s[26:27]
	v_or_b32_e32 v23, v23, v24
.LBB2_596:                              ;   in Loop: Header=BB2_132 Depth=3
	s_or_b64 exec, exec, s[34:35]
                                        ; implicit-def: $vgpr24
.LBB2_597:                              ;   in Loop: Header=BB2_132 Depth=3
	s_andn2_saveexec_b64 s[26:27], s[30:31]
; %bb.598:                              ;   in Loop: Header=BB2_132 Depth=3
	v_or_b32_e32 v23, 0x7e, v24
; %bb.599:                              ;   in Loop: Header=BB2_132 Depth=3
	s_or_b64 exec, exec, s[26:27]
                                        ; implicit-def: $vgpr25
.LBB2_600:                              ;   in Loop: Header=BB2_132 Depth=3
	s_andn2_saveexec_b64 s[26:27], s[94:95]
; %bb.601:                              ;   in Loop: Header=BB2_132 Depth=3
	v_or_b32_sdwa v23, v25, s85 dst_sel:DWORD dst_unused:UNUSED_PAD src0_sel:BYTE_3 src1_sel:DWORD
; %bb.602:                              ;   in Loop: Header=BB2_132 Depth=3
	s_or_b64 exec, exec, s[26:27]
	v_lshrrev_b16_e32 v30, 8, v28
	v_cmp_ne_u16_e32 vcc, 0, v30
	v_mov_b32_e32 v24, 0
	s_and_saveexec_b64 s[26:27], vcc
	s_cbranch_execz .LBB2_608
; %bb.603:                              ;   in Loop: Header=BB2_132 Depth=3
	v_cmp_ne_u16_e32 vcc, s87, v30
	v_bfrev_b32_e32 v24, 1
	s_and_saveexec_b64 s[94:95], vcc
	s_cbranch_execz .LBB2_607
; %bb.604:                              ;   in Loop: Header=BB2_132 Depth=3
	v_and_b32_e32 v25, 0x7f, v30
	v_cmp_ne_u32_e32 vcc, s85, v25
	v_mov_b32_e32 v24, 0x7f800001
	s_and_saveexec_b64 s[30:31], vcc
	s_cbranch_execz .LBB2_606
; %bb.605:                              ;   in Loop: Header=BB2_132 Depth=3
	v_and_b32_e32 v31, 7, v30
	v_ffbh_u32_e32 v24, v31
	v_min_u32_e32 v34, 32, v24
	v_subrev_u32_e32 v24, 28, v34
	v_lshrrev_b32_e32 v33, 3, v25
	v_cmp_gt_u32_e32 vcc, 8, v25
	v_lshlrev_b64 v[24:25], v24, v[30:31]
	v_sub_u32_e32 v25, 29, v34
	v_and_b32_e32 v24, 7, v24
	v_cndmask_b32_e32 v25, v33, v25, vcc
	v_cndmask_b32_e32 v24, v31, v24, vcc
	v_lshlrev_b32_e32 v28, 16, v28
	v_lshlrev_b32_e32 v24, 20, v24
	v_and_b32_e32 v28, 0x80000000, v28
	v_lshl_add_u32 v25, v25, 23, v17
	v_or3_b32 v24, v28, v25, v24
.LBB2_606:                              ;   in Loop: Header=BB2_132 Depth=3
	s_or_b64 exec, exec, s[30:31]
.LBB2_607:                              ;   in Loop: Header=BB2_132 Depth=3
	s_or_b64 exec, exec, s[94:95]
.LBB2_608:                              ;   in Loop: Header=BB2_132 Depth=3
	s_or_b64 exec, exec, s[26:27]
	v_mul_f32_e32 v25, v19, v24
	v_and_b32_e32 v28, 0x7f800000, v25
	v_cmp_ne_u64_e32 vcc, s[76:77], v[28:29]
                                        ; implicit-def: $vgpr30
	s_and_saveexec_b64 s[26:27], vcc
	s_xor_b64 s[94:95], exec, s[26:27]
	s_cbranch_execz .LBB2_622
; %bb.609:                              ;   in Loop: Header=BB2_132 Depth=3
	v_and_b32_e32 v28, 0x7fffffff, v25
	v_cmp_gt_u64_e32 vcc, s[78:79], v[28:29]
	v_and_b32_sdwa v24, v25, s87 dst_sel:DWORD dst_unused:UNUSED_PAD src0_sel:BYTE_3 src1_sel:DWORD
                                        ; implicit-def: $vgpr30
	s_and_saveexec_b64 s[26:27], vcc
	s_xor_b64 s[30:31], exec, s[26:27]
	s_cbranch_execz .LBB2_619
; %bb.610:                              ;   in Loop: Header=BB2_132 Depth=3
	v_mov_b32_e32 v30, 0
	v_cmp_ne_u32_e32 vcc, 0, v25
	s_and_saveexec_b64 s[34:35], vcc
	s_cbranch_execz .LBB2_618
; %bb.611:                              ;   in Loop: Header=BB2_132 Depth=3
	v_and_b32_e32 v28, 0x7fffff, v25
	v_bfe_u32 v25, v25, 23, 8
	v_cmp_gt_u32_e64 s[26:27], s96, v25
	v_sub_u32_e32 v30, 0x79, v25
	v_cmp_eq_u32_e32 vcc, 0, v25
	v_cndmask_b32_e64 v30, 0, v30, s[26:27]
	v_or_b32_e32 v31, 0x800000, v28
	v_cndmask_b32_e32 v30, v30, v36, vcc
	v_cndmask_b32_e32 v28, v31, v28, vcc
	v_add_u32_e32 v31, 20, v30
	v_lshlrev_b64 v[33:34], v31, -1
	v_add_u32_e32 v31, 19, v30
	v_lshlrev_b64 v[44:45], v31, 1
	v_bfi_b32 v34, v34, 0, 0
	v_bfi_b32 v33, v33, 0, v28
	v_cmp_eq_u64_e64 s[26:27], v[33:34], v[44:45]
	v_lshrrev_b64 v[44:45], v30, v[28:29]
	v_mov_b32_e32 v46, v45
	v_mov_b32_e32 v45, v44
	s_and_saveexec_b64 s[36:37], s[26:27]
; %bb.612:                              ;   in Loop: Header=BB2_132 Depth=3
	v_bfe_u32 v28, v44, 20, 1
	v_add_co_u32_e64 v28, s[26:27], v44, v28
	v_add_co_u32_e64 v45, s[26:27], -1, v28
; %bb.613:                              ;   in Loop: Header=BB2_132 Depth=3
	s_or_b64 exec, exec, s[36:37]
	v_add_u32_e32 v25, 0xffffff81, v25
	v_cndmask_b32_e32 v25, v25, v37, vcc
	v_lshrrev_b32_e32 v28, 23, v44
	v_add3_u32 v31, v30, v25, v28
	v_add_u32_e32 v30, 6, v31
	v_and_b32_e32 v25, 0xfffff, v45
	v_add_u32_e32 v28, v25, v44
	v_cmp_ne_u32_e32 vcc, 0, v30
                                        ; implicit-def: $vgpr44_vgpr45
                                        ; implicit-def: $vgpr25
	s_and_saveexec_b64 s[26:27], vcc
	s_xor_b64 s[26:27], exec, s[26:27]
; %bb.614:                              ;   in Loop: Header=BB2_132 Depth=3
	v_cmp_lt_u64_e32 vcc, s[88:89], v[28:29]
	v_add_u32_e32 v25, 7, v31
	v_cndmask_b32_e32 v25, v30, v25, vcc
	v_cndmask_b32_e64 v30, 0, 1, vcc
	v_lshrrev_b64 v[44:45], v30, v[28:29]
; %bb.615:                              ;   in Loop: Header=BB2_132 Depth=3
	s_andn2_saveexec_b64 s[26:27], s[26:27]
; %bb.616:                              ;   in Loop: Header=BB2_132 Depth=3
	v_mov_b32_e32 v45, v29
	v_bfe_u32 v25, v28, 23, 1
	v_mov_b32_e32 v44, v28
; %bb.617:                              ;   in Loop: Header=BB2_132 Depth=3
	s_or_b64 exec, exec, s[26:27]
	v_lshrrev_b64 v[30:31], 20, v[44:45]
	v_cmp_gt_i32_e32 vcc, 16, v25
	v_cndmask_b32_e32 v31, 0, v31, vcc
	v_cndmask_b32_e32 v30, 7, v30, vcc
	v_cmp_eq_u32_e32 vcc, 0, v25
	v_min_i32_e32 v25, 15, v25
	v_cmp_eq_u64_e64 s[26:27], 0, v[30:31]
	v_lshlrev_b32_e32 v25, 3, v25
	v_and_b32_e32 v25, 0xf8, v25
	v_and_or_b32 v25, v30, 7, v25
	s_and_b64 s[26:27], vcc, s[26:27]
	v_cndmask_b32_e64 v25, v25, 0, s[26:27]
	v_or_b32_e32 v30, v25, v24
.LBB2_618:                              ;   in Loop: Header=BB2_132 Depth=3
	s_or_b64 exec, exec, s[34:35]
                                        ; implicit-def: $vgpr24
.LBB2_619:                              ;   in Loop: Header=BB2_132 Depth=3
	s_andn2_saveexec_b64 s[26:27], s[30:31]
; %bb.620:                              ;   in Loop: Header=BB2_132 Depth=3
	v_or_b32_e32 v30, 0x7e, v24
; %bb.621:                              ;   in Loop: Header=BB2_132 Depth=3
	s_or_b64 exec, exec, s[26:27]
                                        ; implicit-def: $vgpr25
.LBB2_622:                              ;   in Loop: Header=BB2_132 Depth=3
	s_andn2_saveexec_b64 s[26:27], s[94:95]
; %bb.623:                              ;   in Loop: Header=BB2_132 Depth=3
	v_or_b32_sdwa v30, v25, s85 dst_sel:DWORD dst_unused:UNUSED_PAD src0_sel:BYTE_3 src1_sel:DWORD
; %bb.624:                              ;   in Loop: Header=BB2_132 Depth=3
	s_or_b64 exec, exec, s[26:27]
	v_lshrrev_b32_e32 v28, 16, v9
	v_cmp_ne_u16_sdwa s[94:95], v28, v29 src0_sel:BYTE_0 src1_sel:DWORD
	v_mov_b32_e32 v24, 0
	s_and_saveexec_b64 s[26:27], s[94:95]
	s_cbranch_execz .LBB2_630
; %bb.625:                              ;   in Loop: Header=BB2_132 Depth=3
	v_cmp_ne_u16_sdwa vcc, v28, s87 src0_sel:BYTE_0 src1_sel:DWORD
	v_bfrev_b32_e32 v24, 1
	s_and_saveexec_b64 s[94:95], vcc
	s_cbranch_execz .LBB2_629
; %bb.626:                              ;   in Loop: Header=BB2_132 Depth=3
	v_bfe_u32 v25, v9, 16, 7
	v_cmp_ne_u32_e32 vcc, s85, v25
	v_mov_b32_e32 v24, 0x7f800001
	s_and_saveexec_b64 s[30:31], vcc
	s_cbranch_execz .LBB2_628
; %bb.627:                              ;   in Loop: Header=BB2_132 Depth=3
	v_and_b32_e32 v31, 7, v28
	v_ffbh_u32_e32 v24, v31
	v_min_u32_e32 v34, 32, v24
	v_subrev_u32_e32 v24, 28, v34
	v_lshrrev_b32_e32 v33, 3, v25
	v_cmp_gt_u32_e32 vcc, 8, v25
	v_lshlrev_b64 v[24:25], v24, v[28:29]
	v_sub_u32_e32 v25, 29, v34
	v_and_b32_e32 v24, 7, v24
	v_cndmask_b32_e32 v25, v33, v25, vcc
	v_cndmask_b32_e32 v24, v31, v24, vcc
	v_lshlrev_b32_e32 v28, 24, v28
	v_lshlrev_b32_e32 v24, 20, v24
	v_and_b32_e32 v28, 0x80000000, v28
	v_lshl_add_u32 v25, v25, 23, v17
	v_or3_b32 v24, v28, v25, v24
.LBB2_628:                              ;   in Loop: Header=BB2_132 Depth=3
	s_or_b64 exec, exec, s[30:31]
.LBB2_629:                              ;   in Loop: Header=BB2_132 Depth=3
	s_or_b64 exec, exec, s[94:95]
.LBB2_630:                              ;   in Loop: Header=BB2_132 Depth=3
	s_or_b64 exec, exec, s[26:27]
	v_mul_f32_e32 v25, v19, v24
	v_and_b32_e32 v28, 0x7f800000, v25
	v_cmp_ne_u64_e32 vcc, s[76:77], v[28:29]
                                        ; implicit-def: $vgpr33
	s_and_saveexec_b64 s[26:27], vcc
	s_xor_b64 s[94:95], exec, s[26:27]
	s_cbranch_execz .LBB2_644
; %bb.631:                              ;   in Loop: Header=BB2_132 Depth=3
	v_and_b32_e32 v28, 0x7fffffff, v25
	v_cmp_gt_u64_e32 vcc, s[78:79], v[28:29]
	v_and_b32_sdwa v24, v25, s87 dst_sel:DWORD dst_unused:UNUSED_PAD src0_sel:BYTE_3 src1_sel:DWORD
                                        ; implicit-def: $vgpr33
	s_and_saveexec_b64 s[26:27], vcc
	s_xor_b64 s[30:31], exec, s[26:27]
	s_cbranch_execz .LBB2_641
; %bb.632:                              ;   in Loop: Header=BB2_132 Depth=3
	v_mov_b32_e32 v33, 0
	v_cmp_ne_u32_e32 vcc, 0, v25
	s_and_saveexec_b64 s[34:35], vcc
	s_cbranch_execz .LBB2_640
; %bb.633:                              ;   in Loop: Header=BB2_132 Depth=3
	v_and_b32_e32 v28, 0x7fffff, v25
	v_bfe_u32 v25, v25, 23, 8
	v_cmp_gt_u32_e64 s[26:27], s96, v25
	v_sub_u32_e32 v31, 0x79, v25
	v_cmp_eq_u32_e32 vcc, 0, v25
	v_cndmask_b32_e64 v31, 0, v31, s[26:27]
	v_or_b32_e32 v33, 0x800000, v28
	v_cndmask_b32_e32 v31, v31, v36, vcc
	v_cndmask_b32_e32 v28, v33, v28, vcc
	v_add_u32_e32 v33, 20, v31
	v_lshlrev_b64 v[33:34], v33, -1
	v_add_u32_e32 v35, 19, v31
	v_lshlrev_b64 v[44:45], v35, 1
	v_bfi_b32 v34, v34, 0, 0
	v_bfi_b32 v33, v33, 0, v28
	v_cmp_eq_u64_e64 s[26:27], v[33:34], v[44:45]
	v_lshrrev_b64 v[44:45], v31, v[28:29]
	v_mov_b32_e32 v46, v45
	v_mov_b32_e32 v45, v44
	s_and_saveexec_b64 s[36:37], s[26:27]
; %bb.634:                              ;   in Loop: Header=BB2_132 Depth=3
	v_bfe_u32 v28, v44, 20, 1
	v_add_co_u32_e64 v28, s[26:27], v44, v28
	v_add_co_u32_e64 v45, s[26:27], -1, v28
; %bb.635:                              ;   in Loop: Header=BB2_132 Depth=3
	s_or_b64 exec, exec, s[36:37]
	v_add_u32_e32 v25, 0xffffff81, v25
	v_cndmask_b32_e32 v25, v25, v37, vcc
	v_lshrrev_b32_e32 v28, 23, v44
	v_add3_u32 v33, v31, v25, v28
	v_add_u32_e32 v31, 6, v33
	v_and_b32_e32 v25, 0xfffff, v45
	v_add_u32_e32 v28, v25, v44
	v_cmp_ne_u32_e32 vcc, 0, v31
                                        ; implicit-def: $vgpr44_vgpr45
                                        ; implicit-def: $vgpr25
	s_and_saveexec_b64 s[26:27], vcc
	s_xor_b64 s[26:27], exec, s[26:27]
; %bb.636:                              ;   in Loop: Header=BB2_132 Depth=3
	v_cmp_lt_u64_e32 vcc, s[88:89], v[28:29]
	v_add_u32_e32 v25, 7, v33
	v_cndmask_b32_e32 v25, v31, v25, vcc
	v_cndmask_b32_e64 v31, 0, 1, vcc
	v_lshrrev_b64 v[44:45], v31, v[28:29]
; %bb.637:                              ;   in Loop: Header=BB2_132 Depth=3
	s_andn2_saveexec_b64 s[26:27], s[26:27]
; %bb.638:                              ;   in Loop: Header=BB2_132 Depth=3
	v_mov_b32_e32 v45, v29
	v_bfe_u32 v25, v28, 23, 1
	v_mov_b32_e32 v44, v28
; %bb.639:                              ;   in Loop: Header=BB2_132 Depth=3
	s_or_b64 exec, exec, s[26:27]
	v_lshrrev_b64 v[33:34], 20, v[44:45]
	v_cmp_gt_i32_e32 vcc, 16, v25
	v_cndmask_b32_e32 v34, 0, v34, vcc
	v_cndmask_b32_e32 v33, 7, v33, vcc
	v_cmp_eq_u32_e32 vcc, 0, v25
	v_min_i32_e32 v25, 15, v25
	v_cmp_eq_u64_e64 s[26:27], 0, v[33:34]
	v_lshlrev_b32_e32 v25, 3, v25
	v_and_b32_e32 v25, 0xf8, v25
	v_and_or_b32 v25, v33, 7, v25
	s_and_b64 s[26:27], vcc, s[26:27]
	v_cndmask_b32_e64 v25, v25, 0, s[26:27]
	v_or_b32_e32 v33, v25, v24
.LBB2_640:                              ;   in Loop: Header=BB2_132 Depth=3
	s_or_b64 exec, exec, s[34:35]
                                        ; implicit-def: $vgpr24
.LBB2_641:                              ;   in Loop: Header=BB2_132 Depth=3
	s_andn2_saveexec_b64 s[26:27], s[30:31]
; %bb.642:                              ;   in Loop: Header=BB2_132 Depth=3
	v_or_b32_e32 v33, 0x7e, v24
; %bb.643:                              ;   in Loop: Header=BB2_132 Depth=3
	s_or_b64 exec, exec, s[26:27]
                                        ; implicit-def: $vgpr25
.LBB2_644:                              ;   in Loop: Header=BB2_132 Depth=3
	s_andn2_saveexec_b64 s[26:27], s[94:95]
; %bb.645:                              ;   in Loop: Header=BB2_132 Depth=3
	v_or_b32_sdwa v33, v25, s85 dst_sel:DWORD dst_unused:UNUSED_PAD src0_sel:BYTE_3 src1_sel:DWORD
; %bb.646:                              ;   in Loop: Header=BB2_132 Depth=3
	s_or_b64 exec, exec, s[26:27]
	v_cmp_lt_u64_e32 vcc, s[56:57], v[8:9]
	v_mov_b32_e32 v24, 0
	s_and_saveexec_b64 s[26:27], vcc
	s_cbranch_execz .LBB2_652
; %bb.647:                              ;   in Loop: Header=BB2_132 Depth=3
	v_lshrrev_b32_e32 v8, 24, v9
	v_cmp_ne_u32_e32 vcc, s87, v8
	v_bfrev_b32_e32 v24, 1
	s_and_saveexec_b64 s[94:95], vcc
	s_cbranch_execz .LBB2_651
; %bb.648:                              ;   in Loop: Header=BB2_132 Depth=3
	v_bfe_u32 v9, v9, 24, 7
	v_cmp_ne_u32_e32 vcc, s85, v9
	v_mov_b32_e32 v24, 0x7f800001
	s_and_saveexec_b64 s[30:31], vcc
	s_cbranch_execz .LBB2_650
; %bb.649:                              ;   in Loop: Header=BB2_132 Depth=3
	v_and_b32_e32 v28, 7, v8
	v_lshrrev_b32_e32 v31, 3, v9
	v_cmp_gt_u32_e32 vcc, 8, v9
	v_ffbh_u32_e32 v9, v28
	v_min_u32_e32 v9, 32, v9
	v_subrev_u32_e32 v24, 28, v9
	v_lshlrev_b64 v[24:25], v24, v[8:9]
	v_sub_u32_e32 v9, 29, v9
	v_and_b32_e32 v24, 7, v24
	v_cndmask_b32_e32 v9, v31, v9, vcc
	v_cndmask_b32_e32 v24, v28, v24, vcc
	v_lshlrev_b32_e32 v8, 24, v8
	v_lshlrev_b32_e32 v24, 20, v24
	v_and_b32_e32 v8, 0x80000000, v8
	v_lshl_add_u32 v9, v9, 23, v17
	v_or3_b32 v24, v8, v9, v24
.LBB2_650:                              ;   in Loop: Header=BB2_132 Depth=3
	s_or_b64 exec, exec, s[30:31]
.LBB2_651:                              ;   in Loop: Header=BB2_132 Depth=3
	s_or_b64 exec, exec, s[94:95]
.LBB2_652:                              ;   in Loop: Header=BB2_132 Depth=3
	s_or_b64 exec, exec, s[26:27]
	v_mul_f32_e32 v8, v19, v24
	v_and_b32_e32 v28, 0x7f800000, v8
	v_cmp_ne_u64_e32 vcc, s[76:77], v[28:29]
                                        ; implicit-def: $vgpr34
	s_and_saveexec_b64 s[26:27], vcc
	s_xor_b64 s[94:95], exec, s[26:27]
	s_cbranch_execz .LBB2_666
; %bb.653:                              ;   in Loop: Header=BB2_132 Depth=3
	v_and_b32_e32 v28, 0x7fffffff, v8
	v_cmp_gt_u64_e32 vcc, s[78:79], v[28:29]
	v_and_b32_sdwa v24, v8, s87 dst_sel:DWORD dst_unused:UNUSED_PAD src0_sel:BYTE_3 src1_sel:DWORD
                                        ; implicit-def: $vgpr34
	s_and_saveexec_b64 s[26:27], vcc
	s_xor_b64 s[30:31], exec, s[26:27]
	s_cbranch_execz .LBB2_663
; %bb.654:                              ;   in Loop: Header=BB2_132 Depth=3
	v_mov_b32_e32 v34, 0
	v_cmp_ne_u32_e32 vcc, 0, v8
	s_and_saveexec_b64 s[34:35], vcc
	s_cbranch_execz .LBB2_662
; %bb.655:                              ;   in Loop: Header=BB2_132 Depth=3
	v_bfe_u32 v25, v8, 23, 8
	v_and_b32_e32 v9, 0x7fffff, v8
	v_cmp_gt_u32_e64 s[26:27], s96, v25
	v_sub_u32_e32 v8, 0x79, v25
	v_cmp_eq_u32_e32 vcc, 0, v25
	v_cndmask_b32_e64 v8, 0, v8, s[26:27]
	v_cndmask_b32_e32 v31, v8, v36, vcc
	v_or_b32_e32 v28, 0x800000, v9
	v_add_u32_e32 v8, 20, v31
	v_cndmask_b32_e32 v28, v28, v9, vcc
	v_lshlrev_b64 v[8:9], v8, -1
	v_add_u32_e32 v34, 19, v31
	v_lshlrev_b64 v[34:35], v34, 1
	v_bfi_b32 v9, v9, 0, 0
	v_bfi_b32 v8, v8, 0, v28
	v_cmp_eq_u64_e64 s[26:27], v[8:9], v[34:35]
	v_lshrrev_b64 v[8:9], v31, v[28:29]
	v_mov_b32_e32 v45, v9
	v_mov_b32_e32 v44, v8
	s_and_saveexec_b64 s[36:37], s[26:27]
; %bb.656:                              ;   in Loop: Header=BB2_132 Depth=3
	v_bfe_u32 v9, v8, 20, 1
	v_add_co_u32_e64 v9, s[26:27], v8, v9
	v_add_co_u32_e64 v44, s[26:27], -1, v9
; %bb.657:                              ;   in Loop: Header=BB2_132 Depth=3
	s_or_b64 exec, exec, s[36:37]
	v_add_u32_e32 v9, 0xffffff81, v25
	v_cndmask_b32_e32 v9, v9, v37, vcc
	v_lshrrev_b32_e32 v25, 23, v8
	v_add3_u32 v34, v31, v9, v25
	v_add_u32_e32 v31, 6, v34
	v_and_b32_e32 v9, 0xfffff, v44
	v_add_u32_e32 v28, v9, v8
	v_cmp_ne_u32_e32 vcc, 0, v31
                                        ; implicit-def: $vgpr8_vgpr9
                                        ; implicit-def: $vgpr25
	s_and_saveexec_b64 s[26:27], vcc
	s_xor_b64 s[26:27], exec, s[26:27]
; %bb.658:                              ;   in Loop: Header=BB2_132 Depth=3
	v_cmp_lt_u64_e32 vcc, s[88:89], v[28:29]
	v_add_u32_e32 v8, 7, v34
	v_cndmask_b32_e32 v25, v31, v8, vcc
	v_cndmask_b32_e64 v8, 0, 1, vcc
	v_lshrrev_b64 v[8:9], v8, v[28:29]
; %bb.659:                              ;   in Loop: Header=BB2_132 Depth=3
	s_andn2_saveexec_b64 s[26:27], s[26:27]
; %bb.660:                              ;   in Loop: Header=BB2_132 Depth=3
	v_mov_b32_e32 v8, v28
	v_bfe_u32 v25, v28, 23, 1
	v_mov_b32_e32 v9, v29
; %bb.661:                              ;   in Loop: Header=BB2_132 Depth=3
	s_or_b64 exec, exec, s[26:27]
	v_lshrrev_b64 v[8:9], 20, v[8:9]
	v_cmp_gt_i32_e32 vcc, 16, v25
	v_cndmask_b32_e32 v9, 0, v9, vcc
	v_cndmask_b32_e32 v8, 7, v8, vcc
	v_cmp_eq_u64_e64 s[26:27], 0, v[8:9]
	v_min_i32_e32 v9, 15, v25
	v_lshlrev_b32_e32 v9, 3, v9
	v_cmp_eq_u32_e32 vcc, 0, v25
	v_and_b32_e32 v9, 0xf8, v9
	v_and_or_b32 v8, v8, 7, v9
	s_and_b64 s[26:27], vcc, s[26:27]
	v_cndmask_b32_e64 v8, v8, 0, s[26:27]
	v_or_b32_e32 v34, v8, v24
.LBB2_662:                              ;   in Loop: Header=BB2_132 Depth=3
	s_or_b64 exec, exec, s[34:35]
                                        ; implicit-def: $vgpr24
.LBB2_663:                              ;   in Loop: Header=BB2_132 Depth=3
	s_andn2_saveexec_b64 s[26:27], s[30:31]
; %bb.664:                              ;   in Loop: Header=BB2_132 Depth=3
	v_or_b32_e32 v34, 0x7e, v24
; %bb.665:                              ;   in Loop: Header=BB2_132 Depth=3
	s_or_b64 exec, exec, s[26:27]
                                        ; implicit-def: $vgpr8
.LBB2_666:                              ;   in Loop: Header=BB2_132 Depth=3
	s_andn2_saveexec_b64 s[26:27], s[94:95]
; %bb.667:                              ;   in Loop: Header=BB2_132 Depth=3
	v_or_b32_sdwa v34, v8, s85 dst_sel:DWORD dst_unused:UNUSED_PAD src0_sel:BYTE_3 src1_sel:DWORD
; %bb.668:                              ;   in Loop: Header=BB2_132 Depth=3
	s_or_b64 exec, exec, s[26:27]
	v_cmp_ne_u16_sdwa s[94:95], v10, v29 src0_sel:BYTE_0 src1_sel:DWORD
	v_mov_b32_e32 v8, 0
	s_and_saveexec_b64 s[26:27], s[94:95]
	s_cbranch_execz .LBB2_674
; %bb.669:                              ;   in Loop: Header=BB2_132 Depth=3
	v_cmp_ne_u16_sdwa vcc, v10, s87 src0_sel:BYTE_0 src1_sel:DWORD
	v_bfrev_b32_e32 v8, 1
	s_and_saveexec_b64 s[94:95], vcc
	s_cbranch_execz .LBB2_673
; %bb.670:                              ;   in Loop: Header=BB2_132 Depth=3
	v_and_b32_e32 v9, 0x7f, v10
	v_cmp_ne_u32_e32 vcc, s85, v9
	v_mov_b32_e32 v8, 0x7f800001
	s_and_saveexec_b64 s[30:31], vcc
	s_cbranch_execz .LBB2_672
; %bb.671:                              ;   in Loop: Header=BB2_132 Depth=3
	v_and_b32_e32 v8, 7, v10
	v_ffbh_u32_e32 v8, v8
	v_min_u32_e32 v8, 32, v8
	v_lshrrev_b32_e32 v24, 3, v9
	v_cmp_gt_u32_e32 vcc, 8, v9
	v_subrev_u32_e32 v9, 28, v8
	v_sub_u32_e32 v8, 29, v8
	v_cndmask_b32_e32 v24, v24, v8, vcc
	v_cndmask_b32_e32 v8, 0, v9, vcc
	v_lshlrev_b64 v[8:9], v8, v[10:11]
	v_lshlrev_b32_e32 v9, 24, v10
	v_lshlrev_b32_e32 v8, 20, v8
	v_and_b32_e32 v8, 0x700000, v8
	v_and_b32_e32 v9, 0x80000000, v9
	v_lshl_add_u32 v24, v24, 23, v17
	v_or3_b32 v8, v9, v24, v8
.LBB2_672:                              ;   in Loop: Header=BB2_132 Depth=3
	s_or_b64 exec, exec, s[30:31]
.LBB2_673:                              ;   in Loop: Header=BB2_132 Depth=3
	s_or_b64 exec, exec, s[94:95]
.LBB2_674:                              ;   in Loop: Header=BB2_132 Depth=3
	s_or_b64 exec, exec, s[26:27]
	v_mul_f32_e32 v8, v19, v8
	v_and_b32_e32 v28, 0x7f800000, v8
	v_cmp_ne_u64_e32 vcc, s[76:77], v[28:29]
                                        ; implicit-def: $vgpr46
	s_and_saveexec_b64 s[26:27], vcc
	s_xor_b64 s[94:95], exec, s[26:27]
	s_cbranch_execz .LBB2_688
; %bb.675:                              ;   in Loop: Header=BB2_132 Depth=3
	v_and_b32_e32 v28, 0x7fffffff, v8
	v_cmp_gt_u64_e32 vcc, s[78:79], v[28:29]
	v_and_b32_sdwa v24, v8, s87 dst_sel:DWORD dst_unused:UNUSED_PAD src0_sel:BYTE_3 src1_sel:DWORD
                                        ; implicit-def: $vgpr46
	s_and_saveexec_b64 s[26:27], vcc
	s_xor_b64 s[30:31], exec, s[26:27]
	s_cbranch_execz .LBB2_685
; %bb.676:                              ;   in Loop: Header=BB2_132 Depth=3
	v_mov_b32_e32 v46, 0
	v_cmp_ne_u32_e32 vcc, 0, v8
	s_and_saveexec_b64 s[34:35], vcc
	s_cbranch_execz .LBB2_684
; %bb.677:                              ;   in Loop: Header=BB2_132 Depth=3
	v_bfe_u32 v25, v8, 23, 8
	v_and_b32_e32 v9, 0x7fffff, v8
	v_cmp_gt_u32_e64 s[26:27], s96, v25
	v_sub_u32_e32 v8, 0x79, v25
	v_cmp_eq_u32_e32 vcc, 0, v25
	v_cndmask_b32_e64 v8, 0, v8, s[26:27]
	v_cndmask_b32_e32 v31, v8, v36, vcc
	v_or_b32_e32 v28, 0x800000, v9
	v_add_u32_e32 v8, 20, v31
	v_cndmask_b32_e32 v28, v28, v9, vcc
	v_lshlrev_b64 v[8:9], v8, -1
	v_add_u32_e32 v35, 19, v31
	v_lshlrev_b64 v[44:45], v35, 1
	v_bfi_b32 v9, v9, 0, 0
	v_bfi_b32 v8, v8, 0, v28
	v_cmp_eq_u64_e64 s[26:27], v[8:9], v[44:45]
	v_lshrrev_b64 v[8:9], v31, v[28:29]
	v_mov_b32_e32 v45, v9
	v_mov_b32_e32 v44, v8
	s_and_saveexec_b64 s[36:37], s[26:27]
; %bb.678:                              ;   in Loop: Header=BB2_132 Depth=3
	v_bfe_u32 v9, v8, 20, 1
	v_add_co_u32_e64 v9, s[26:27], v8, v9
	v_add_co_u32_e64 v44, s[26:27], -1, v9
; %bb.679:                              ;   in Loop: Header=BB2_132 Depth=3
	s_or_b64 exec, exec, s[36:37]
	v_add_u32_e32 v9, 0xffffff81, v25
	v_cndmask_b32_e32 v9, v9, v37, vcc
	v_lshrrev_b32_e32 v25, 23, v8
	v_add3_u32 v35, v31, v9, v25
	v_add_u32_e32 v31, 6, v35
	v_and_b32_e32 v9, 0xfffff, v44
	v_add_u32_e32 v28, v9, v8
	v_cmp_ne_u32_e32 vcc, 0, v31
                                        ; implicit-def: $vgpr8_vgpr9
                                        ; implicit-def: $vgpr25
	s_and_saveexec_b64 s[26:27], vcc
	s_xor_b64 s[26:27], exec, s[26:27]
; %bb.680:                              ;   in Loop: Header=BB2_132 Depth=3
	v_cmp_lt_u64_e32 vcc, s[88:89], v[28:29]
	v_add_u32_e32 v8, 7, v35
	v_cndmask_b32_e32 v25, v31, v8, vcc
	v_cndmask_b32_e64 v8, 0, 1, vcc
	v_lshrrev_b64 v[8:9], v8, v[28:29]
; %bb.681:                              ;   in Loop: Header=BB2_132 Depth=3
	s_andn2_saveexec_b64 s[26:27], s[26:27]
; %bb.682:                              ;   in Loop: Header=BB2_132 Depth=3
	v_mov_b32_e32 v8, v28
	v_bfe_u32 v25, v28, 23, 1
	v_mov_b32_e32 v9, v29
; %bb.683:                              ;   in Loop: Header=BB2_132 Depth=3
	s_or_b64 exec, exec, s[26:27]
	v_lshrrev_b64 v[8:9], 20, v[8:9]
	v_cmp_gt_i32_e32 vcc, 16, v25
	v_cndmask_b32_e32 v9, 0, v9, vcc
	v_cndmask_b32_e32 v8, 7, v8, vcc
	v_cmp_eq_u64_e64 s[26:27], 0, v[8:9]
	v_min_i32_e32 v9, 15, v25
	v_lshlrev_b32_e32 v9, 3, v9
	v_cmp_eq_u32_e32 vcc, 0, v25
	v_and_b32_e32 v9, 0xf8, v9
	v_and_or_b32 v8, v8, 7, v9
	s_and_b64 s[26:27], vcc, s[26:27]
	v_cndmask_b32_e64 v8, v8, 0, s[26:27]
	v_or_b32_e32 v46, v8, v24
.LBB2_684:                              ;   in Loop: Header=BB2_132 Depth=3
	s_or_b64 exec, exec, s[34:35]
                                        ; implicit-def: $vgpr24
.LBB2_685:                              ;   in Loop: Header=BB2_132 Depth=3
	s_andn2_saveexec_b64 s[26:27], s[30:31]
; %bb.686:                              ;   in Loop: Header=BB2_132 Depth=3
	v_or_b32_e32 v46, 0x7e, v24
; %bb.687:                              ;   in Loop: Header=BB2_132 Depth=3
	s_or_b64 exec, exec, s[26:27]
                                        ; implicit-def: $vgpr8
.LBB2_688:                              ;   in Loop: Header=BB2_132 Depth=3
	s_andn2_saveexec_b64 s[26:27], s[94:95]
; %bb.689:                              ;   in Loop: Header=BB2_132 Depth=3
	v_or_b32_sdwa v46, v8, s85 dst_sel:DWORD dst_unused:UNUSED_PAD src0_sel:BYTE_3 src1_sel:DWORD
; %bb.690:                              ;   in Loop: Header=BB2_132 Depth=3
	s_or_b64 exec, exec, s[26:27]
	v_lshrrev_b16_e32 v8, 8, v10
	v_cmp_ne_u16_e32 vcc, 0, v8
	v_mov_b32_e32 v9, 0
	s_and_saveexec_b64 s[26:27], vcc
	s_cbranch_execz .LBB2_696
; %bb.691:                              ;   in Loop: Header=BB2_132 Depth=3
	v_cmp_ne_u16_e32 vcc, s87, v8
	v_bfrev_b32_e32 v9, 1
	s_and_saveexec_b64 s[94:95], vcc
	s_cbranch_execz .LBB2_695
; %bb.692:                              ;   in Loop: Header=BB2_132 Depth=3
	v_and_b32_e32 v24, 0x7f, v8
	v_cmp_ne_u32_e32 vcc, s85, v24
	v_mov_b32_e32 v9, 0x7f800001
	s_and_saveexec_b64 s[30:31], vcc
	s_cbranch_execz .LBB2_694
; %bb.693:                              ;   in Loop: Header=BB2_132 Depth=3
	v_and_b32_e32 v25, 7, v8
	v_ffbh_u32_e32 v9, v25
	v_lshrrev_b32_e32 v28, 3, v24
	v_cmp_gt_u32_e32 vcc, 8, v24
	v_min_u32_e32 v24, 32, v9
	v_subrev_u32_e32 v9, 28, v24
	v_lshlrev_b64 v[8:9], v9, v[8:9]
	v_sub_u32_e32 v9, 29, v24
	v_and_b32_e32 v8, 7, v8
	v_cndmask_b32_e32 v9, v28, v9, vcc
	v_cndmask_b32_e32 v8, v25, v8, vcc
	v_lshlrev_b32_e32 v24, 16, v10
	v_lshlrev_b32_e32 v8, 20, v8
	v_and_b32_e32 v24, 0x80000000, v24
	v_lshl_add_u32 v9, v9, 23, v17
	v_or3_b32 v9, v24, v9, v8
.LBB2_694:                              ;   in Loop: Header=BB2_132 Depth=3
	s_or_b64 exec, exec, s[30:31]
.LBB2_695:                              ;   in Loop: Header=BB2_132 Depth=3
	s_or_b64 exec, exec, s[94:95]
.LBB2_696:                              ;   in Loop: Header=BB2_132 Depth=3
	s_or_b64 exec, exec, s[26:27]
	v_mul_f32_e32 v8, v19, v9
	v_and_b32_e32 v28, 0x7f800000, v8
	v_cmp_ne_u64_e32 vcc, s[76:77], v[28:29]
                                        ; implicit-def: $vgpr47
	s_and_saveexec_b64 s[26:27], vcc
	s_xor_b64 s[94:95], exec, s[26:27]
	s_cbranch_execz .LBB2_710
; %bb.697:                              ;   in Loop: Header=BB2_132 Depth=3
	v_and_b32_e32 v28, 0x7fffffff, v8
	v_cmp_gt_u64_e32 vcc, s[78:79], v[28:29]
	v_and_b32_sdwa v24, v8, s87 dst_sel:DWORD dst_unused:UNUSED_PAD src0_sel:BYTE_3 src1_sel:DWORD
                                        ; implicit-def: $vgpr47
	s_and_saveexec_b64 s[26:27], vcc
	s_xor_b64 s[30:31], exec, s[26:27]
	s_cbranch_execz .LBB2_707
; %bb.698:                              ;   in Loop: Header=BB2_132 Depth=3
	v_mov_b32_e32 v47, 0
	v_cmp_ne_u32_e32 vcc, 0, v8
	s_and_saveexec_b64 s[34:35], vcc
	s_cbranch_execz .LBB2_706
; %bb.699:                              ;   in Loop: Header=BB2_132 Depth=3
	v_bfe_u32 v25, v8, 23, 8
	v_and_b32_e32 v9, 0x7fffff, v8
	v_cmp_gt_u32_e64 s[26:27], s96, v25
	v_sub_u32_e32 v8, 0x79, v25
	v_cmp_eq_u32_e32 vcc, 0, v25
	v_cndmask_b32_e64 v8, 0, v8, s[26:27]
	v_cndmask_b32_e32 v31, v8, v36, vcc
	v_or_b32_e32 v28, 0x800000, v9
	v_add_u32_e32 v8, 20, v31
	v_cndmask_b32_e32 v28, v28, v9, vcc
	v_lshlrev_b64 v[8:9], v8, -1
	v_add_u32_e32 v35, 19, v31
	v_lshlrev_b64 v[44:45], v35, 1
	v_bfi_b32 v9, v9, 0, 0
	v_bfi_b32 v8, v8, 0, v28
	v_cmp_eq_u64_e64 s[26:27], v[8:9], v[44:45]
	v_lshrrev_b64 v[8:9], v31, v[28:29]
	v_mov_b32_e32 v45, v9
	v_mov_b32_e32 v44, v8
	s_and_saveexec_b64 s[36:37], s[26:27]
; %bb.700:                              ;   in Loop: Header=BB2_132 Depth=3
	v_bfe_u32 v9, v8, 20, 1
	v_add_co_u32_e64 v9, s[26:27], v8, v9
	v_add_co_u32_e64 v44, s[26:27], -1, v9
; %bb.701:                              ;   in Loop: Header=BB2_132 Depth=3
	s_or_b64 exec, exec, s[36:37]
	v_add_u32_e32 v9, 0xffffff81, v25
	v_cndmask_b32_e32 v9, v9, v37, vcc
	v_lshrrev_b32_e32 v25, 23, v8
	v_add3_u32 v35, v31, v9, v25
	v_add_u32_e32 v31, 6, v35
	v_and_b32_e32 v9, 0xfffff, v44
	v_add_u32_e32 v28, v9, v8
	v_cmp_ne_u32_e32 vcc, 0, v31
                                        ; implicit-def: $vgpr8_vgpr9
                                        ; implicit-def: $vgpr25
	s_and_saveexec_b64 s[26:27], vcc
	s_xor_b64 s[26:27], exec, s[26:27]
; %bb.702:                              ;   in Loop: Header=BB2_132 Depth=3
	v_cmp_lt_u64_e32 vcc, s[88:89], v[28:29]
	v_add_u32_e32 v8, 7, v35
	v_cndmask_b32_e32 v25, v31, v8, vcc
	v_cndmask_b32_e64 v8, 0, 1, vcc
	v_lshrrev_b64 v[8:9], v8, v[28:29]
; %bb.703:                              ;   in Loop: Header=BB2_132 Depth=3
	s_andn2_saveexec_b64 s[26:27], s[26:27]
; %bb.704:                              ;   in Loop: Header=BB2_132 Depth=3
	v_mov_b32_e32 v8, v28
	v_bfe_u32 v25, v28, 23, 1
	v_mov_b32_e32 v9, v29
; %bb.705:                              ;   in Loop: Header=BB2_132 Depth=3
	s_or_b64 exec, exec, s[26:27]
	v_lshrrev_b64 v[8:9], 20, v[8:9]
	v_cmp_gt_i32_e32 vcc, 16, v25
	v_cndmask_b32_e32 v9, 0, v9, vcc
	v_cndmask_b32_e32 v8, 7, v8, vcc
	v_cmp_eq_u64_e64 s[26:27], 0, v[8:9]
	v_min_i32_e32 v9, 15, v25
	v_lshlrev_b32_e32 v9, 3, v9
	v_cmp_eq_u32_e32 vcc, 0, v25
	v_and_b32_e32 v9, 0xf8, v9
	v_and_or_b32 v8, v8, 7, v9
	s_and_b64 s[26:27], vcc, s[26:27]
	v_cndmask_b32_e64 v8, v8, 0, s[26:27]
	v_or_b32_e32 v47, v8, v24
.LBB2_706:                              ;   in Loop: Header=BB2_132 Depth=3
	s_or_b64 exec, exec, s[34:35]
                                        ; implicit-def: $vgpr24
.LBB2_707:                              ;   in Loop: Header=BB2_132 Depth=3
	s_andn2_saveexec_b64 s[26:27], s[30:31]
; %bb.708:                              ;   in Loop: Header=BB2_132 Depth=3
	v_or_b32_e32 v47, 0x7e, v24
; %bb.709:                              ;   in Loop: Header=BB2_132 Depth=3
	s_or_b64 exec, exec, s[26:27]
                                        ; implicit-def: $vgpr8
.LBB2_710:                              ;   in Loop: Header=BB2_132 Depth=3
	s_andn2_saveexec_b64 s[26:27], s[94:95]
; %bb.711:                              ;   in Loop: Header=BB2_132 Depth=3
	v_or_b32_sdwa v47, v8, s85 dst_sel:DWORD dst_unused:UNUSED_PAD src0_sel:BYTE_3 src1_sel:DWORD
; %bb.712:                              ;   in Loop: Header=BB2_132 Depth=3
	s_or_b64 exec, exec, s[26:27]
	v_lshrrev_b32_e32 v8, 16, v10
	v_cmp_ne_u16_sdwa s[94:95], v8, v29 src0_sel:BYTE_0 src1_sel:DWORD
	v_mov_b32_e32 v9, 0
	s_and_saveexec_b64 s[26:27], s[94:95]
	s_cbranch_execz .LBB2_718
; %bb.713:                              ;   in Loop: Header=BB2_132 Depth=3
	v_cmp_ne_u16_sdwa vcc, v8, s87 src0_sel:BYTE_0 src1_sel:DWORD
	v_bfrev_b32_e32 v9, 1
	s_and_saveexec_b64 s[94:95], vcc
	s_cbranch_execz .LBB2_717
; %bb.714:                              ;   in Loop: Header=BB2_132 Depth=3
	v_bfe_u32 v24, v10, 16, 7
	v_cmp_ne_u32_e32 vcc, s85, v24
	v_mov_b32_e32 v9, 0x7f800001
	s_and_saveexec_b64 s[30:31], vcc
	s_cbranch_execz .LBB2_716
; %bb.715:                              ;   in Loop: Header=BB2_132 Depth=3
	v_and_b32_e32 v9, 7, v8
	v_lshrrev_b32_e32 v28, 3, v24
	v_cmp_gt_u32_e32 vcc, 8, v24
	v_ffbh_u32_e32 v24, v9
	v_min_u32_e32 v31, 32, v24
	v_subrev_u32_e32 v24, 28, v31
	v_lshlrev_b64 v[24:25], v24, v[8:9]
	v_sub_u32_e32 v25, 29, v31
	v_and_b32_e32 v24, 7, v24
	v_cndmask_b32_e32 v25, v28, v25, vcc
	v_cndmask_b32_e32 v9, v9, v24, vcc
	v_lshlrev_b32_e32 v8, 24, v8
	v_lshlrev_b32_e32 v9, 20, v9
	v_and_b32_e32 v8, 0x80000000, v8
	v_lshl_add_u32 v24, v25, 23, v17
	v_or3_b32 v9, v8, v24, v9
.LBB2_716:                              ;   in Loop: Header=BB2_132 Depth=3
	s_or_b64 exec, exec, s[30:31]
.LBB2_717:                              ;   in Loop: Header=BB2_132 Depth=3
	s_or_b64 exec, exec, s[94:95]
.LBB2_718:                              ;   in Loop: Header=BB2_132 Depth=3
	s_or_b64 exec, exec, s[26:27]
	v_mul_f32_e32 v8, v19, v9
	v_and_b32_e32 v28, 0x7f800000, v8
	v_cmp_ne_u64_e32 vcc, s[76:77], v[28:29]
                                        ; implicit-def: $vgpr48
	s_and_saveexec_b64 s[26:27], vcc
	s_xor_b64 s[94:95], exec, s[26:27]
	s_cbranch_execz .LBB2_732
; %bb.719:                              ;   in Loop: Header=BB2_132 Depth=3
	v_and_b32_e32 v28, 0x7fffffff, v8
	v_cmp_gt_u64_e32 vcc, s[78:79], v[28:29]
	v_and_b32_sdwa v24, v8, s87 dst_sel:DWORD dst_unused:UNUSED_PAD src0_sel:BYTE_3 src1_sel:DWORD
                                        ; implicit-def: $vgpr48
	s_and_saveexec_b64 s[26:27], vcc
	s_xor_b64 s[30:31], exec, s[26:27]
	s_cbranch_execz .LBB2_729
; %bb.720:                              ;   in Loop: Header=BB2_132 Depth=3
	v_mov_b32_e32 v48, 0
	v_cmp_ne_u32_e32 vcc, 0, v8
	s_and_saveexec_b64 s[34:35], vcc
	s_cbranch_execz .LBB2_728
; %bb.721:                              ;   in Loop: Header=BB2_132 Depth=3
	v_bfe_u32 v25, v8, 23, 8
	v_and_b32_e32 v9, 0x7fffff, v8
	v_cmp_gt_u32_e64 s[26:27], s96, v25
	v_sub_u32_e32 v8, 0x79, v25
	v_cmp_eq_u32_e32 vcc, 0, v25
	v_cndmask_b32_e64 v8, 0, v8, s[26:27]
	v_cndmask_b32_e32 v31, v8, v36, vcc
	v_or_b32_e32 v28, 0x800000, v9
	v_add_u32_e32 v8, 20, v31
	v_cndmask_b32_e32 v28, v28, v9, vcc
	v_lshlrev_b64 v[8:9], v8, -1
	v_add_u32_e32 v35, 19, v31
	v_lshlrev_b64 v[44:45], v35, 1
	v_bfi_b32 v9, v9, 0, 0
	v_bfi_b32 v8, v8, 0, v28
	v_cmp_eq_u64_e64 s[26:27], v[8:9], v[44:45]
	v_lshrrev_b64 v[8:9], v31, v[28:29]
	v_mov_b32_e32 v45, v9
	v_mov_b32_e32 v44, v8
	s_and_saveexec_b64 s[36:37], s[26:27]
; %bb.722:                              ;   in Loop: Header=BB2_132 Depth=3
	v_bfe_u32 v9, v8, 20, 1
	v_add_co_u32_e64 v9, s[26:27], v8, v9
	v_add_co_u32_e64 v44, s[26:27], -1, v9
; %bb.723:                              ;   in Loop: Header=BB2_132 Depth=3
	s_or_b64 exec, exec, s[36:37]
	v_add_u32_e32 v9, 0xffffff81, v25
	v_cndmask_b32_e32 v9, v9, v37, vcc
	v_lshrrev_b32_e32 v25, 23, v8
	v_add3_u32 v35, v31, v9, v25
	v_add_u32_e32 v31, 6, v35
	v_and_b32_e32 v9, 0xfffff, v44
	v_add_u32_e32 v28, v9, v8
	v_cmp_ne_u32_e32 vcc, 0, v31
                                        ; implicit-def: $vgpr8_vgpr9
                                        ; implicit-def: $vgpr25
	s_and_saveexec_b64 s[26:27], vcc
	s_xor_b64 s[26:27], exec, s[26:27]
; %bb.724:                              ;   in Loop: Header=BB2_132 Depth=3
	v_cmp_lt_u64_e32 vcc, s[88:89], v[28:29]
	v_add_u32_e32 v8, 7, v35
	v_cndmask_b32_e32 v25, v31, v8, vcc
	v_cndmask_b32_e64 v8, 0, 1, vcc
	v_lshrrev_b64 v[8:9], v8, v[28:29]
; %bb.725:                              ;   in Loop: Header=BB2_132 Depth=3
	s_andn2_saveexec_b64 s[26:27], s[26:27]
; %bb.726:                              ;   in Loop: Header=BB2_132 Depth=3
	v_mov_b32_e32 v8, v28
	v_bfe_u32 v25, v28, 23, 1
	v_mov_b32_e32 v9, v29
; %bb.727:                              ;   in Loop: Header=BB2_132 Depth=3
	s_or_b64 exec, exec, s[26:27]
	v_lshrrev_b64 v[8:9], 20, v[8:9]
	v_cmp_gt_i32_e32 vcc, 16, v25
	v_cndmask_b32_e32 v9, 0, v9, vcc
	v_cndmask_b32_e32 v8, 7, v8, vcc
	v_cmp_eq_u64_e64 s[26:27], 0, v[8:9]
	v_min_i32_e32 v9, 15, v25
	v_lshlrev_b32_e32 v9, 3, v9
	v_cmp_eq_u32_e32 vcc, 0, v25
	v_and_b32_e32 v9, 0xf8, v9
	v_and_or_b32 v8, v8, 7, v9
	s_and_b64 s[26:27], vcc, s[26:27]
	v_cndmask_b32_e64 v8, v8, 0, s[26:27]
	v_or_b32_e32 v48, v8, v24
.LBB2_728:                              ;   in Loop: Header=BB2_132 Depth=3
	s_or_b64 exec, exec, s[34:35]
                                        ; implicit-def: $vgpr24
.LBB2_729:                              ;   in Loop: Header=BB2_132 Depth=3
	s_andn2_saveexec_b64 s[26:27], s[30:31]
; %bb.730:                              ;   in Loop: Header=BB2_132 Depth=3
	v_or_b32_e32 v48, 0x7e, v24
; %bb.731:                              ;   in Loop: Header=BB2_132 Depth=3
	s_or_b64 exec, exec, s[26:27]
                                        ; implicit-def: $vgpr8
.LBB2_732:                              ;   in Loop: Header=BB2_132 Depth=3
	s_andn2_saveexec_b64 s[26:27], s[94:95]
; %bb.733:                              ;   in Loop: Header=BB2_132 Depth=3
	v_or_b32_sdwa v48, v8, s85 dst_sel:DWORD dst_unused:UNUSED_PAD src0_sel:BYTE_3 src1_sel:DWORD
; %bb.734:                              ;   in Loop: Header=BB2_132 Depth=3
	s_or_b64 exec, exec, s[26:27]
	v_cmp_lt_u32_e32 vcc, s57, v10
	v_mov_b32_e32 v9, 0
	s_and_saveexec_b64 s[26:27], vcc
	s_cbranch_execz .LBB2_740
; %bb.735:                              ;   in Loop: Header=BB2_132 Depth=3
	v_lshrrev_b32_e32 v8, 24, v10
	v_cmp_ne_u32_e32 vcc, s87, v8
	v_bfrev_b32_e32 v9, 1
	s_and_saveexec_b64 s[94:95], vcc
	s_cbranch_execz .LBB2_739
; %bb.736:                              ;   in Loop: Header=BB2_132 Depth=3
	v_bfe_u32 v24, v10, 24, 7
	v_cmp_ne_u32_e32 vcc, s85, v24
	v_mov_b32_e32 v9, 0x7f800001
	s_and_saveexec_b64 s[30:31], vcc
	s_cbranch_execz .LBB2_738
; %bb.737:                              ;   in Loop: Header=BB2_132 Depth=3
	v_and_b32_e32 v9, 7, v8
	v_lshrrev_b32_e32 v28, 3, v24
	v_cmp_gt_u32_e32 vcc, 8, v24
	v_ffbh_u32_e32 v24, v9
	v_min_u32_e32 v31, 32, v24
	v_subrev_u32_e32 v24, 28, v31
	v_lshlrev_b64 v[24:25], v24, v[8:9]
	v_sub_u32_e32 v25, 29, v31
	v_and_b32_e32 v24, 7, v24
	v_cndmask_b32_e32 v25, v28, v25, vcc
	v_cndmask_b32_e32 v9, v9, v24, vcc
	v_lshlrev_b32_e32 v8, 24, v8
	v_lshlrev_b32_e32 v9, 20, v9
	v_and_b32_e32 v8, 0x80000000, v8
	v_lshl_add_u32 v24, v25, 23, v17
	v_or3_b32 v9, v8, v24, v9
.LBB2_738:                              ;   in Loop: Header=BB2_132 Depth=3
	s_or_b64 exec, exec, s[30:31]
.LBB2_739:                              ;   in Loop: Header=BB2_132 Depth=3
	s_or_b64 exec, exec, s[94:95]
.LBB2_740:                              ;   in Loop: Header=BB2_132 Depth=3
	s_or_b64 exec, exec, s[26:27]
	v_mul_f32_e32 v8, v19, v9
	v_and_b32_e32 v28, 0x7f800000, v8
	v_cmp_ne_u64_e32 vcc, s[76:77], v[28:29]
                                        ; implicit-def: $vgpr50
	s_and_saveexec_b64 s[26:27], vcc
	s_xor_b64 s[94:95], exec, s[26:27]
	s_cbranch_execz .LBB2_754
; %bb.741:                              ;   in Loop: Header=BB2_132 Depth=3
	v_and_b32_e32 v28, 0x7fffffff, v8
	v_cmp_gt_u64_e32 vcc, s[78:79], v[28:29]
	v_and_b32_sdwa v24, v8, s87 dst_sel:DWORD dst_unused:UNUSED_PAD src0_sel:BYTE_3 src1_sel:DWORD
                                        ; implicit-def: $vgpr50
	s_and_saveexec_b64 s[26:27], vcc
	s_xor_b64 s[30:31], exec, s[26:27]
	s_cbranch_execz .LBB2_751
; %bb.742:                              ;   in Loop: Header=BB2_132 Depth=3
	v_mov_b32_e32 v50, 0
	v_cmp_ne_u32_e32 vcc, 0, v8
	s_and_saveexec_b64 s[34:35], vcc
	s_cbranch_execz .LBB2_750
; %bb.743:                              ;   in Loop: Header=BB2_132 Depth=3
	v_bfe_u32 v25, v8, 23, 8
	v_and_b32_e32 v9, 0x7fffff, v8
	v_cmp_gt_u32_e64 s[26:27], s96, v25
	v_sub_u32_e32 v8, 0x79, v25
	v_cmp_eq_u32_e32 vcc, 0, v25
	v_cndmask_b32_e64 v8, 0, v8, s[26:27]
	v_cndmask_b32_e32 v31, v8, v36, vcc
	v_or_b32_e32 v28, 0x800000, v9
	v_add_u32_e32 v8, 20, v31
	v_cndmask_b32_e32 v28, v28, v9, vcc
	v_lshlrev_b64 v[8:9], v8, -1
	v_add_u32_e32 v35, 19, v31
	v_lshlrev_b64 v[44:45], v35, 1
	v_bfi_b32 v9, v9, 0, 0
	v_bfi_b32 v8, v8, 0, v28
	v_cmp_eq_u64_e64 s[26:27], v[8:9], v[44:45]
	v_lshrrev_b64 v[8:9], v31, v[28:29]
	v_mov_b32_e32 v45, v9
	v_mov_b32_e32 v44, v8
	s_and_saveexec_b64 s[36:37], s[26:27]
; %bb.744:                              ;   in Loop: Header=BB2_132 Depth=3
	v_bfe_u32 v9, v8, 20, 1
	v_add_co_u32_e64 v9, s[26:27], v8, v9
	v_add_co_u32_e64 v44, s[26:27], -1, v9
; %bb.745:                              ;   in Loop: Header=BB2_132 Depth=3
	s_or_b64 exec, exec, s[36:37]
	v_add_u32_e32 v9, 0xffffff81, v25
	v_cndmask_b32_e32 v9, v9, v37, vcc
	v_lshrrev_b32_e32 v25, 23, v8
	v_add3_u32 v35, v31, v9, v25
	v_add_u32_e32 v31, 6, v35
	v_and_b32_e32 v9, 0xfffff, v44
	v_add_u32_e32 v28, v9, v8
	v_cmp_ne_u32_e32 vcc, 0, v31
                                        ; implicit-def: $vgpr8_vgpr9
                                        ; implicit-def: $vgpr25
	s_and_saveexec_b64 s[26:27], vcc
	s_xor_b64 s[26:27], exec, s[26:27]
; %bb.746:                              ;   in Loop: Header=BB2_132 Depth=3
	v_cmp_lt_u64_e32 vcc, s[88:89], v[28:29]
	v_add_u32_e32 v8, 7, v35
	v_cndmask_b32_e32 v25, v31, v8, vcc
	v_cndmask_b32_e64 v8, 0, 1, vcc
	v_lshrrev_b64 v[8:9], v8, v[28:29]
; %bb.747:                              ;   in Loop: Header=BB2_132 Depth=3
	s_andn2_saveexec_b64 s[26:27], s[26:27]
; %bb.748:                              ;   in Loop: Header=BB2_132 Depth=3
	v_mov_b32_e32 v8, v28
	v_bfe_u32 v25, v28, 23, 1
	v_mov_b32_e32 v9, v29
; %bb.749:                              ;   in Loop: Header=BB2_132 Depth=3
	s_or_b64 exec, exec, s[26:27]
	v_lshrrev_b64 v[8:9], 20, v[8:9]
	v_cmp_gt_i32_e32 vcc, 16, v25
	v_cndmask_b32_e32 v9, 0, v9, vcc
	v_cndmask_b32_e32 v8, 7, v8, vcc
	v_cmp_eq_u64_e64 s[26:27], 0, v[8:9]
	v_min_i32_e32 v9, 15, v25
	v_lshlrev_b32_e32 v9, 3, v9
	v_cmp_eq_u32_e32 vcc, 0, v25
	v_and_b32_e32 v9, 0xf8, v9
	v_and_or_b32 v8, v8, 7, v9
	s_and_b64 s[26:27], vcc, s[26:27]
	v_cndmask_b32_e64 v8, v8, 0, s[26:27]
	v_or_b32_e32 v50, v8, v24
.LBB2_750:                              ;   in Loop: Header=BB2_132 Depth=3
	s_or_b64 exec, exec, s[34:35]
                                        ; implicit-def: $vgpr24
.LBB2_751:                              ;   in Loop: Header=BB2_132 Depth=3
	s_andn2_saveexec_b64 s[26:27], s[30:31]
; %bb.752:                              ;   in Loop: Header=BB2_132 Depth=3
	v_or_b32_e32 v50, 0x7e, v24
; %bb.753:                              ;   in Loop: Header=BB2_132 Depth=3
	s_or_b64 exec, exec, s[26:27]
                                        ; implicit-def: $vgpr8
.LBB2_754:                              ;   in Loop: Header=BB2_132 Depth=3
	s_andn2_saveexec_b64 s[26:27], s[94:95]
; %bb.755:                              ;   in Loop: Header=BB2_132 Depth=3
	v_or_b32_sdwa v50, v8, s85 dst_sel:DWORD dst_unused:UNUSED_PAD src0_sel:BYTE_3 src1_sel:DWORD
; %bb.756:                              ;   in Loop: Header=BB2_132 Depth=3
	s_or_b64 exec, exec, s[26:27]
	v_mov_b32_e32 v28, v11
	v_cmp_ne_u16_sdwa s[94:95], v11, v29 src0_sel:BYTE_0 src1_sel:DWORD
	v_mov_b32_e32 v8, 0
	s_and_saveexec_b64 s[26:27], s[94:95]
	s_cbranch_execz .LBB2_762
; %bb.757:                              ;   in Loop: Header=BB2_132 Depth=3
	v_cmp_ne_u16_sdwa vcc, v11, s87 src0_sel:BYTE_0 src1_sel:DWORD
	v_bfrev_b32_e32 v8, 1
	s_and_saveexec_b64 s[94:95], vcc
	s_cbranch_execz .LBB2_761
; %bb.758:                              ;   in Loop: Header=BB2_132 Depth=3
	v_and_b32_e32 v9, 0x7f, v11
	v_cmp_ne_u32_e32 vcc, s85, v9
	v_mov_b32_e32 v8, 0x7f800001
	s_and_saveexec_b64 s[30:31], vcc
	s_cbranch_execz .LBB2_760
; %bb.759:                              ;   in Loop: Header=BB2_132 Depth=3
	v_and_b32_e32 v8, 7, v11
	v_ffbh_u32_e32 v8, v8
	v_min_u32_e32 v8, 32, v8
	v_lshrrev_b32_e32 v24, 3, v9
	v_cmp_gt_u32_e32 vcc, 8, v9
	v_subrev_u32_e32 v9, 28, v8
	v_sub_u32_e32 v8, 29, v8
	v_cndmask_b32_e32 v24, v24, v8, vcc
	v_cndmask_b32_e32 v8, 0, v9, vcc
	v_lshlrev_b64 v[8:9], v8, v[28:29]
	v_lshlrev_b32_e32 v9, 24, v28
	v_lshlrev_b32_e32 v8, 20, v8
	v_and_b32_e32 v8, 0x700000, v8
	v_and_b32_e32 v9, 0x80000000, v9
	v_lshl_add_u32 v24, v24, 23, v17
	v_or3_b32 v8, v9, v24, v8
.LBB2_760:                              ;   in Loop: Header=BB2_132 Depth=3
	s_or_b64 exec, exec, s[30:31]
.LBB2_761:                              ;   in Loop: Header=BB2_132 Depth=3
	s_or_b64 exec, exec, s[94:95]
.LBB2_762:                              ;   in Loop: Header=BB2_132 Depth=3
	s_or_b64 exec, exec, s[26:27]
	v_mul_f32_e32 v8, v19, v8
	v_and_b32_e32 v24, 0x7f800000, v8
	v_mov_b32_e32 v25, v29
	v_cmp_ne_u64_e32 vcc, s[76:77], v[24:25]
                                        ; implicit-def: $vgpr24
	s_and_saveexec_b64 s[26:27], vcc
	s_xor_b64 s[94:95], exec, s[26:27]
	s_cbranch_execz .LBB2_776
; %bb.763:                              ;   in Loop: Header=BB2_132 Depth=3
	v_and_b32_e32 v24, 0x7fffffff, v8
	v_mov_b32_e32 v25, v29
	v_cmp_gt_u64_e32 vcc, s[78:79], v[24:25]
	v_and_b32_sdwa v25, v8, s87 dst_sel:DWORD dst_unused:UNUSED_PAD src0_sel:BYTE_3 src1_sel:DWORD
                                        ; implicit-def: $vgpr24
	s_and_saveexec_b64 s[26:27], vcc
	s_xor_b64 s[30:31], exec, s[26:27]
	s_cbranch_execz .LBB2_773
; %bb.764:                              ;   in Loop: Header=BB2_132 Depth=3
	v_mov_b32_e32 v24, 0
	v_cmp_ne_u32_e32 vcc, 0, v8
	s_and_saveexec_b64 s[34:35], vcc
	s_cbranch_execz .LBB2_772
; %bb.765:                              ;   in Loop: Header=BB2_132 Depth=3
	v_bfe_u32 v24, v8, 23, 8
	v_and_b32_e32 v9, 0x7fffff, v8
	v_cmp_gt_u32_e64 s[26:27], s96, v24
	v_sub_u32_e32 v8, 0x79, v24
	v_cmp_eq_u32_e32 vcc, 0, v24
	v_cndmask_b32_e64 v8, 0, v8, s[26:27]
	v_or_b32_e32 v35, 0x800000, v9
	v_cndmask_b32_e32 v31, v8, v36, vcc
	v_cndmask_b32_e32 v8, v35, v9, vcc
	v_add_u32_e32 v35, 20, v31
	v_lshlrev_b64 v[44:45], v35, -1
	v_mov_b32_e32 v9, v29
	v_add_u32_e32 v35, 19, v31
	v_bfi_b32 v44, v44, 0, v8
	v_lshlrev_b64 v[58:59], v35, 1
	v_lshrrev_b64 v[8:9], v31, v[8:9]
	v_bfi_b32 v45, v45, 0, 0
	v_cmp_eq_u64_e64 s[26:27], v[44:45], v[58:59]
	v_mov_b32_e32 v45, v9
	v_mov_b32_e32 v44, v8
	s_and_saveexec_b64 s[36:37], s[26:27]
; %bb.766:                              ;   in Loop: Header=BB2_132 Depth=3
	v_bfe_u32 v9, v8, 20, 1
	v_add_co_u32_e64 v9, s[26:27], v8, v9
	v_add_co_u32_e64 v44, s[26:27], -1, v9
; %bb.767:                              ;   in Loop: Header=BB2_132 Depth=3
	s_or_b64 exec, exec, s[36:37]
	v_add_u32_e32 v9, 0xffffff81, v24
	v_cndmask_b32_e32 v9, v9, v37, vcc
	v_lshrrev_b32_e32 v24, 23, v8
	v_add3_u32 v35, v31, v9, v24
	v_add_u32_e32 v31, 6, v35
	v_and_b32_e32 v9, 0xfffff, v44
	v_add_u32_e32 v8, v9, v8
	v_mov_b32_e32 v9, v29
	v_cmp_ne_u32_e32 vcc, 0, v31
                                        ; implicit-def: $vgpr24
	s_and_saveexec_b64 s[26:27], vcc
	s_xor_b64 s[26:27], exec, s[26:27]
; %bb.768:                              ;   in Loop: Header=BB2_132 Depth=3
	v_cmp_lt_u64_e32 vcc, s[88:89], v[8:9]
	v_add_u32_e32 v24, 7, v35
	v_cndmask_b32_e32 v24, v31, v24, vcc
	v_cndmask_b32_e64 v31, 0, 1, vcc
	v_lshrrev_b64 v[8:9], v31, v[8:9]
; %bb.769:                              ;   in Loop: Header=BB2_132 Depth=3
	s_andn2_saveexec_b64 s[26:27], s[26:27]
; %bb.770:                              ;   in Loop: Header=BB2_132 Depth=3
	v_bfe_u32 v24, v8, 23, 1
; %bb.771:                              ;   in Loop: Header=BB2_132 Depth=3
	s_or_b64 exec, exec, s[26:27]
	v_lshrrev_b64 v[8:9], 20, v[8:9]
	v_cmp_gt_i32_e32 vcc, 16, v24
	v_cndmask_b32_e32 v9, 0, v9, vcc
	v_cndmask_b32_e32 v8, 7, v8, vcc
	v_cmp_eq_u64_e64 s[26:27], 0, v[8:9]
	v_min_i32_e32 v9, 15, v24
	v_lshlrev_b32_e32 v9, 3, v9
	v_cmp_eq_u32_e32 vcc, 0, v24
	v_and_b32_e32 v9, 0xf8, v9
	v_and_or_b32 v8, v8, 7, v9
	s_and_b64 s[26:27], vcc, s[26:27]
	v_cndmask_b32_e64 v8, v8, 0, s[26:27]
	v_or_b32_e32 v24, v8, v25
.LBB2_772:                              ;   in Loop: Header=BB2_132 Depth=3
	s_or_b64 exec, exec, s[34:35]
                                        ; implicit-def: $vgpr25
.LBB2_773:                              ;   in Loop: Header=BB2_132 Depth=3
	s_andn2_saveexec_b64 s[26:27], s[30:31]
; %bb.774:                              ;   in Loop: Header=BB2_132 Depth=3
	v_or_b32_e32 v24, 0x7e, v25
; %bb.775:                              ;   in Loop: Header=BB2_132 Depth=3
	s_or_b64 exec, exec, s[26:27]
                                        ; implicit-def: $vgpr8
.LBB2_776:                              ;   in Loop: Header=BB2_132 Depth=3
	s_andn2_saveexec_b64 s[26:27], s[94:95]
; %bb.777:                              ;   in Loop: Header=BB2_132 Depth=3
	v_or_b32_sdwa v24, v8, s85 dst_sel:DWORD dst_unused:UNUSED_PAD src0_sel:BYTE_3 src1_sel:DWORD
; %bb.778:                              ;   in Loop: Header=BB2_132 Depth=3
	s_or_b64 exec, exec, s[26:27]
	v_lshrrev_b16_e32 v8, 8, v28
	v_cmp_ne_u16_e32 vcc, 0, v8
	v_mov_b32_e32 v9, 0
	s_and_saveexec_b64 s[26:27], vcc
	s_cbranch_execz .LBB2_784
; %bb.779:                              ;   in Loop: Header=BB2_132 Depth=3
	v_cmp_ne_u16_e32 vcc, s87, v8
	v_bfrev_b32_e32 v9, 1
	s_and_saveexec_b64 s[94:95], vcc
	s_cbranch_execz .LBB2_783
; %bb.780:                              ;   in Loop: Header=BB2_132 Depth=3
	v_and_b32_e32 v25, 0x7f, v8
	v_cmp_ne_u32_e32 vcc, s85, v25
	v_mov_b32_e32 v9, 0x7f800001
	s_and_saveexec_b64 s[30:31], vcc
	s_cbranch_execz .LBB2_782
; %bb.781:                              ;   in Loop: Header=BB2_132 Depth=3
	v_and_b32_e32 v31, 7, v8
	v_ffbh_u32_e32 v9, v31
	v_lshrrev_b32_e32 v35, 3, v25
	v_cmp_gt_u32_e32 vcc, 8, v25
	v_min_u32_e32 v25, 32, v9
	v_subrev_u32_e32 v9, 28, v25
	v_lshlrev_b64 v[8:9], v9, v[8:9]
	v_sub_u32_e32 v9, 29, v25
	v_and_b32_e32 v8, 7, v8
	v_cndmask_b32_e32 v9, v35, v9, vcc
	v_cndmask_b32_e32 v8, v31, v8, vcc
	v_lshlrev_b32_e32 v25, 16, v28
	v_lshlrev_b32_e32 v8, 20, v8
	v_and_b32_e32 v25, 0x80000000, v25
	v_lshl_add_u32 v9, v9, 23, v17
	v_or3_b32 v9, v25, v9, v8
.LBB2_782:                              ;   in Loop: Header=BB2_132 Depth=3
	s_or_b64 exec, exec, s[30:31]
.LBB2_783:                              ;   in Loop: Header=BB2_132 Depth=3
	s_or_b64 exec, exec, s[94:95]
.LBB2_784:                              ;   in Loop: Header=BB2_132 Depth=3
	s_or_b64 exec, exec, s[26:27]
	v_mul_f32_e32 v8, v19, v9
	v_and_b32_e32 v28, 0x7f800000, v8
	v_cmp_ne_u64_e32 vcc, s[76:77], v[28:29]
                                        ; implicit-def: $vgpr25
	s_and_saveexec_b64 s[26:27], vcc
	s_xor_b64 s[94:95], exec, s[26:27]
	s_cbranch_execz .LBB2_798
; %bb.785:                              ;   in Loop: Header=BB2_132 Depth=3
	v_and_b32_e32 v28, 0x7fffffff, v8
	v_cmp_gt_u64_e32 vcc, s[78:79], v[28:29]
	v_and_b32_sdwa v31, v8, s87 dst_sel:DWORD dst_unused:UNUSED_PAD src0_sel:BYTE_3 src1_sel:DWORD
                                        ; implicit-def: $vgpr25
	s_and_saveexec_b64 s[26:27], vcc
	s_xor_b64 s[30:31], exec, s[26:27]
	s_cbranch_execz .LBB2_795
; %bb.786:                              ;   in Loop: Header=BB2_132 Depth=3
	v_mov_b32_e32 v25, 0
	v_cmp_ne_u32_e32 vcc, 0, v8
	s_and_saveexec_b64 s[34:35], vcc
	s_cbranch_execz .LBB2_794
; %bb.787:                              ;   in Loop: Header=BB2_132 Depth=3
	v_bfe_u32 v25, v8, 23, 8
	v_and_b32_e32 v9, 0x7fffff, v8
	v_cmp_gt_u32_e64 s[26:27], s96, v25
	v_sub_u32_e32 v8, 0x79, v25
	v_cmp_eq_u32_e32 vcc, 0, v25
	v_cndmask_b32_e64 v8, 0, v8, s[26:27]
	v_cndmask_b32_e32 v35, v8, v36, vcc
	v_or_b32_e32 v28, 0x800000, v9
	v_add_u32_e32 v8, 20, v35
	v_cndmask_b32_e32 v28, v28, v9, vcc
	v_lshlrev_b64 v[8:9], v8, -1
	v_add_u32_e32 v44, 19, v35
	v_lshlrev_b64 v[44:45], v44, 1
	v_bfi_b32 v9, v9, 0, 0
	v_bfi_b32 v8, v8, 0, v28
	v_cmp_eq_u64_e64 s[26:27], v[8:9], v[44:45]
	v_lshrrev_b64 v[8:9], v35, v[28:29]
	v_mov_b32_e32 v45, v9
	v_mov_b32_e32 v44, v8
	s_and_saveexec_b64 s[36:37], s[26:27]
; %bb.788:                              ;   in Loop: Header=BB2_132 Depth=3
	v_bfe_u32 v9, v8, 20, 1
	v_add_co_u32_e64 v9, s[26:27], v8, v9
	v_add_co_u32_e64 v44, s[26:27], -1, v9
; %bb.789:                              ;   in Loop: Header=BB2_132 Depth=3
	s_or_b64 exec, exec, s[36:37]
	v_add_u32_e32 v9, 0xffffff81, v25
	v_cndmask_b32_e32 v9, v9, v37, vcc
	v_lshrrev_b32_e32 v25, 23, v8
	v_add3_u32 v45, v35, v9, v25
	v_add_u32_e32 v35, 6, v45
	v_and_b32_e32 v9, 0xfffff, v44
	v_add_u32_e32 v28, v9, v8
	v_cmp_ne_u32_e32 vcc, 0, v35
                                        ; implicit-def: $vgpr8_vgpr9
                                        ; implicit-def: $vgpr25
	s_and_saveexec_b64 s[26:27], vcc
	s_xor_b64 s[26:27], exec, s[26:27]
; %bb.790:                              ;   in Loop: Header=BB2_132 Depth=3
	v_cmp_lt_u64_e32 vcc, s[88:89], v[28:29]
	v_add_u32_e32 v8, 7, v45
	v_cndmask_b32_e32 v25, v35, v8, vcc
	v_cndmask_b32_e64 v8, 0, 1, vcc
	v_lshrrev_b64 v[8:9], v8, v[28:29]
; %bb.791:                              ;   in Loop: Header=BB2_132 Depth=3
	s_andn2_saveexec_b64 s[26:27], s[26:27]
; %bb.792:                              ;   in Loop: Header=BB2_132 Depth=3
	v_mov_b32_e32 v8, v28
	v_bfe_u32 v25, v28, 23, 1
	v_mov_b32_e32 v9, v29
; %bb.793:                              ;   in Loop: Header=BB2_132 Depth=3
	s_or_b64 exec, exec, s[26:27]
	v_lshrrev_b64 v[8:9], 20, v[8:9]
	v_cmp_gt_i32_e32 vcc, 16, v25
	v_cndmask_b32_e32 v9, 0, v9, vcc
	v_cndmask_b32_e32 v8, 7, v8, vcc
	v_cmp_eq_u64_e64 s[26:27], 0, v[8:9]
	v_min_i32_e32 v9, 15, v25
	v_lshlrev_b32_e32 v9, 3, v9
	v_cmp_eq_u32_e32 vcc, 0, v25
	v_and_b32_e32 v9, 0xf8, v9
	v_and_or_b32 v8, v8, 7, v9
	s_and_b64 s[26:27], vcc, s[26:27]
	v_cndmask_b32_e64 v8, v8, 0, s[26:27]
	v_or_b32_e32 v25, v8, v31
.LBB2_794:                              ;   in Loop: Header=BB2_132 Depth=3
	s_or_b64 exec, exec, s[34:35]
                                        ; implicit-def: $vgpr31
.LBB2_795:                              ;   in Loop: Header=BB2_132 Depth=3
	s_andn2_saveexec_b64 s[26:27], s[30:31]
; %bb.796:                              ;   in Loop: Header=BB2_132 Depth=3
	v_or_b32_e32 v25, 0x7e, v31
; %bb.797:                              ;   in Loop: Header=BB2_132 Depth=3
	s_or_b64 exec, exec, s[26:27]
                                        ; implicit-def: $vgpr8
.LBB2_798:                              ;   in Loop: Header=BB2_132 Depth=3
	s_andn2_saveexec_b64 s[26:27], s[94:95]
; %bb.799:                              ;   in Loop: Header=BB2_132 Depth=3
	v_or_b32_sdwa v25, v8, s85 dst_sel:DWORD dst_unused:UNUSED_PAD src0_sel:BYTE_3 src1_sel:DWORD
; %bb.800:                              ;   in Loop: Header=BB2_132 Depth=3
	s_or_b64 exec, exec, s[26:27]
	v_lshrrev_b32_e32 v8, 16, v11
	v_cmp_ne_u16_sdwa s[94:95], v8, v29 src0_sel:BYTE_0 src1_sel:DWORD
	v_mov_b32_e32 v9, 0
	s_and_saveexec_b64 s[26:27], s[94:95]
	s_cbranch_execz .LBB2_806
; %bb.801:                              ;   in Loop: Header=BB2_132 Depth=3
	v_cmp_ne_u16_sdwa vcc, v8, s87 src0_sel:BYTE_0 src1_sel:DWORD
	v_bfrev_b32_e32 v9, 1
	s_and_saveexec_b64 s[94:95], vcc
	s_cbranch_execz .LBB2_805
; %bb.802:                              ;   in Loop: Header=BB2_132 Depth=3
	v_bfe_u32 v28, v11, 16, 7
	v_cmp_ne_u32_e32 vcc, s85, v28
	v_mov_b32_e32 v9, 0x7f800001
	s_and_saveexec_b64 s[30:31], vcc
	s_cbranch_execz .LBB2_804
; %bb.803:                              ;   in Loop: Header=BB2_132 Depth=3
	v_and_b32_e32 v9, 7, v8
	v_lshrrev_b32_e32 v31, 3, v28
	v_cmp_gt_u32_e32 vcc, 8, v28
	v_ffbh_u32_e32 v28, v9
	v_min_u32_e32 v28, 32, v28
	v_subrev_u32_e32 v35, 28, v28
	v_lshlrev_b64 v[44:45], v35, v[8:9]
	v_sub_u32_e32 v28, 29, v28
	v_and_b32_e32 v35, 7, v44
	v_cndmask_b32_e32 v28, v31, v28, vcc
	v_cndmask_b32_e32 v9, v9, v35, vcc
	v_lshlrev_b32_e32 v8, 24, v8
	v_lshlrev_b32_e32 v9, 20, v9
	v_and_b32_e32 v8, 0x80000000, v8
	v_lshl_add_u32 v28, v28, 23, v17
	v_or3_b32 v9, v8, v28, v9
.LBB2_804:                              ;   in Loop: Header=BB2_132 Depth=3
	s_or_b64 exec, exec, s[30:31]
.LBB2_805:                              ;   in Loop: Header=BB2_132 Depth=3
	s_or_b64 exec, exec, s[94:95]
.LBB2_806:                              ;   in Loop: Header=BB2_132 Depth=3
	s_or_b64 exec, exec, s[26:27]
	v_mul_f32_e32 v8, v19, v9
	v_and_b32_e32 v28, 0x7f800000, v8
	v_cmp_ne_u64_e32 vcc, s[76:77], v[28:29]
                                        ; implicit-def: $vgpr44
	s_and_saveexec_b64 s[26:27], vcc
	s_xor_b64 s[94:95], exec, s[26:27]
	s_cbranch_execz .LBB2_820
; %bb.807:                              ;   in Loop: Header=BB2_132 Depth=3
	v_and_b32_e32 v28, 0x7fffffff, v8
	v_cmp_gt_u64_e32 vcc, s[78:79], v[28:29]
	v_and_b32_sdwa v31, v8, s87 dst_sel:DWORD dst_unused:UNUSED_PAD src0_sel:BYTE_3 src1_sel:DWORD
                                        ; implicit-def: $vgpr44
	s_and_saveexec_b64 s[26:27], vcc
	s_xor_b64 s[30:31], exec, s[26:27]
	s_cbranch_execz .LBB2_817
; %bb.808:                              ;   in Loop: Header=BB2_132 Depth=3
	v_mov_b32_e32 v44, 0
	v_cmp_ne_u32_e32 vcc, 0, v8
	s_and_saveexec_b64 s[34:35], vcc
	s_cbranch_execz .LBB2_816
; %bb.809:                              ;   in Loop: Header=BB2_132 Depth=3
	v_bfe_u32 v35, v8, 23, 8
	v_and_b32_e32 v9, 0x7fffff, v8
	v_cmp_gt_u32_e64 s[26:27], s96, v35
	v_sub_u32_e32 v8, 0x79, v35
	v_cmp_eq_u32_e32 vcc, 0, v35
	v_cndmask_b32_e64 v8, 0, v8, s[26:27]
	v_cndmask_b32_e32 v58, v8, v36, vcc
	v_or_b32_e32 v28, 0x800000, v9
	v_add_u32_e32 v8, 20, v58
	v_cndmask_b32_e32 v28, v28, v9, vcc
	v_lshlrev_b64 v[8:9], v8, -1
	v_add_u32_e32 v44, 19, v58
	v_lshlrev_b64 v[44:45], v44, 1
	v_bfi_b32 v9, v9, 0, 0
	v_bfi_b32 v8, v8, 0, v28
	v_cmp_eq_u64_e64 s[26:27], v[8:9], v[44:45]
	v_lshrrev_b64 v[8:9], v58, v[28:29]
	v_mov_b32_e32 v45, v9
	v_mov_b32_e32 v44, v8
	s_and_saveexec_b64 s[36:37], s[26:27]
; %bb.810:                              ;   in Loop: Header=BB2_132 Depth=3
	v_bfe_u32 v9, v8, 20, 1
	v_add_co_u32_e64 v9, s[26:27], v8, v9
	v_add_co_u32_e64 v44, s[26:27], -1, v9
; %bb.811:                              ;   in Loop: Header=BB2_132 Depth=3
	s_or_b64 exec, exec, s[36:37]
	v_add_u32_e32 v9, 0xffffff81, v35
	v_cndmask_b32_e32 v9, v9, v37, vcc
	v_lshrrev_b32_e32 v28, 23, v8
	v_add3_u32 v58, v58, v9, v28
	v_add_u32_e32 v45, 6, v58
	v_and_b32_e32 v9, 0xfffff, v44
	v_add_u32_e32 v28, v9, v8
	v_cmp_ne_u32_e32 vcc, 0, v45
                                        ; implicit-def: $vgpr8_vgpr9
                                        ; implicit-def: $vgpr35
	s_and_saveexec_b64 s[26:27], vcc
	s_xor_b64 s[26:27], exec, s[26:27]
; %bb.812:                              ;   in Loop: Header=BB2_132 Depth=3
	v_cmp_lt_u64_e32 vcc, s[88:89], v[28:29]
	v_add_u32_e32 v8, 7, v58
	v_cndmask_b32_e32 v35, v45, v8, vcc
	v_cndmask_b32_e64 v8, 0, 1, vcc
	v_lshrrev_b64 v[8:9], v8, v[28:29]
; %bb.813:                              ;   in Loop: Header=BB2_132 Depth=3
	s_andn2_saveexec_b64 s[26:27], s[26:27]
; %bb.814:                              ;   in Loop: Header=BB2_132 Depth=3
	v_mov_b32_e32 v8, v28
	v_bfe_u32 v35, v28, 23, 1
	v_mov_b32_e32 v9, v29
; %bb.815:                              ;   in Loop: Header=BB2_132 Depth=3
	s_or_b64 exec, exec, s[26:27]
	v_lshrrev_b64 v[8:9], 20, v[8:9]
	v_cmp_gt_i32_e32 vcc, 16, v35
	v_cndmask_b32_e32 v9, 0, v9, vcc
	v_cndmask_b32_e32 v8, 7, v8, vcc
	v_cmp_eq_u64_e64 s[26:27], 0, v[8:9]
	v_min_i32_e32 v9, 15, v35
	v_lshlrev_b32_e32 v9, 3, v9
	v_cmp_eq_u32_e32 vcc, 0, v35
	v_and_b32_e32 v9, 0xf8, v9
	v_and_or_b32 v8, v8, 7, v9
	s_and_b64 s[26:27], vcc, s[26:27]
	v_cndmask_b32_e64 v8, v8, 0, s[26:27]
	v_or_b32_e32 v44, v8, v31
.LBB2_816:                              ;   in Loop: Header=BB2_132 Depth=3
	s_or_b64 exec, exec, s[34:35]
                                        ; implicit-def: $vgpr31
.LBB2_817:                              ;   in Loop: Header=BB2_132 Depth=3
	s_andn2_saveexec_b64 s[26:27], s[30:31]
; %bb.818:                              ;   in Loop: Header=BB2_132 Depth=3
	v_or_b32_e32 v44, 0x7e, v31
; %bb.819:                              ;   in Loop: Header=BB2_132 Depth=3
	s_or_b64 exec, exec, s[26:27]
                                        ; implicit-def: $vgpr8
.LBB2_820:                              ;   in Loop: Header=BB2_132 Depth=3
	s_andn2_saveexec_b64 s[26:27], s[94:95]
; %bb.821:                              ;   in Loop: Header=BB2_132 Depth=3
	v_or_b32_sdwa v44, v8, s85 dst_sel:DWORD dst_unused:UNUSED_PAD src0_sel:BYTE_3 src1_sel:DWORD
; %bb.822:                              ;   in Loop: Header=BB2_132 Depth=3
	s_or_b64 exec, exec, s[26:27]
	v_cmp_lt_u64_e32 vcc, s[56:57], v[10:11]
	v_mov_b32_e32 v9, 0
	s_and_saveexec_b64 s[26:27], vcc
	s_cbranch_execz .LBB2_828
; %bb.823:                              ;   in Loop: Header=BB2_132 Depth=3
	v_lshrrev_b32_e32 v8, 24, v11
	v_cmp_ne_u32_e32 vcc, s87, v8
	v_bfrev_b32_e32 v9, 1
	s_and_saveexec_b64 s[94:95], vcc
	s_cbranch_execz .LBB2_827
; %bb.824:                              ;   in Loop: Header=BB2_132 Depth=3
	v_bfe_u32 v10, v11, 24, 7
	v_cmp_ne_u32_e32 vcc, s85, v10
	v_mov_b32_e32 v9, 0x7f800001
	s_and_saveexec_b64 s[30:31], vcc
	s_cbranch_execz .LBB2_826
; %bb.825:                              ;   in Loop: Header=BB2_132 Depth=3
	v_and_b32_e32 v11, 7, v8
	v_ffbh_u32_e32 v9, v11
	v_min_u32_e32 v31, 32, v9
	v_subrev_u32_e32 v9, 28, v31
	v_lshrrev_b32_e32 v28, 3, v10
	v_cmp_gt_u32_e32 vcc, 8, v10
	v_lshlrev_b64 v[9:10], v9, v[8:9]
	v_sub_u32_e32 v10, 29, v31
	v_and_b32_e32 v9, 7, v9
	v_cndmask_b32_e32 v10, v28, v10, vcc
	v_cndmask_b32_e32 v9, v11, v9, vcc
	v_lshlrev_b32_e32 v8, 24, v8
	v_lshlrev_b32_e32 v9, 20, v9
	v_and_b32_e32 v8, 0x80000000, v8
	v_lshl_add_u32 v10, v10, 23, v17
	v_or3_b32 v9, v8, v10, v9
.LBB2_826:                              ;   in Loop: Header=BB2_132 Depth=3
	s_or_b64 exec, exec, s[30:31]
.LBB2_827:                              ;   in Loop: Header=BB2_132 Depth=3
	s_or_b64 exec, exec, s[94:95]
.LBB2_828:                              ;   in Loop: Header=BB2_132 Depth=3
	s_or_b64 exec, exec, s[26:27]
	v_mul_f32_e32 v9, v19, v9
	v_and_b32_e32 v28, 0x7f800000, v9
	v_cmp_ne_u64_e32 vcc, s[76:77], v[28:29]
                                        ; implicit-def: $vgpr8
	s_and_saveexec_b64 s[26:27], vcc
	s_xor_b64 s[94:95], exec, s[26:27]
	s_cbranch_execz .LBB2_842
; %bb.829:                              ;   in Loop: Header=BB2_132 Depth=3
	v_and_b32_e32 v28, 0x7fffffff, v9
	v_cmp_gt_u64_e32 vcc, s[78:79], v[28:29]
	v_and_b32_sdwa v11, v9, s87 dst_sel:DWORD dst_unused:UNUSED_PAD src0_sel:BYTE_3 src1_sel:DWORD
                                        ; implicit-def: $vgpr8
	s_and_saveexec_b64 s[26:27], vcc
	s_xor_b64 s[30:31], exec, s[26:27]
	s_cbranch_execz .LBB2_839
; %bb.830:                              ;   in Loop: Header=BB2_132 Depth=3
	v_mov_b32_e32 v8, 0
	v_cmp_ne_u32_e32 vcc, 0, v9
	s_and_saveexec_b64 s[34:35], vcc
	s_cbranch_execz .LBB2_838
; %bb.831:                              ;   in Loop: Header=BB2_132 Depth=3
	v_bfe_u32 v19, v9, 23, 8
	v_and_b32_e32 v8, 0x7fffff, v9
	v_cmp_gt_u32_e64 s[26:27], s96, v19
	v_sub_u32_e32 v9, 0x79, v19
	v_cmp_eq_u32_e32 vcc, 0, v19
	v_cndmask_b32_e64 v9, 0, v9, s[26:27]
	v_or_b32_e32 v10, 0x800000, v8
	v_cndmask_b32_e32 v31, v9, v36, vcc
	v_cndmask_b32_e32 v28, v10, v8, vcc
	v_add_u32_e32 v8, 20, v31
	v_lshlrev_b64 v[8:9], v8, -1
	v_add_u32_e32 v10, 19, v31
	v_lshlrev_b64 v[58:59], v10, 1
	v_bfi_b32 v9, v9, 0, 0
	v_bfi_b32 v8, v8, 0, v28
	v_cmp_eq_u64_e64 s[26:27], v[8:9], v[58:59]
	v_lshrrev_b64 v[8:9], v31, v[28:29]
	v_mov_b32_e32 v10, v9
	v_mov_b32_e32 v9, v8
	s_and_saveexec_b64 s[36:37], s[26:27]
; %bb.832:                              ;   in Loop: Header=BB2_132 Depth=3
	v_bfe_u32 v9, v8, 20, 1
	v_add_co_u32_e64 v9, s[26:27], v8, v9
	v_add_co_u32_e64 v9, s[26:27], -1, v9
; %bb.833:                              ;   in Loop: Header=BB2_132 Depth=3
	s_or_b64 exec, exec, s[36:37]
	v_add_u32_e32 v10, 0xffffff81, v19
	v_cndmask_b32_e32 v10, v10, v37, vcc
	v_lshrrev_b32_e32 v19, 23, v8
	v_add3_u32 v31, v31, v10, v19
	v_add_u32_e32 v19, 6, v31
	v_and_b32_e32 v9, 0xfffff, v9
	v_add_u32_e32 v28, v9, v8
	v_cmp_ne_u32_e32 vcc, 0, v19
                                        ; implicit-def: $vgpr8_vgpr9
                                        ; implicit-def: $vgpr10
	s_and_saveexec_b64 s[26:27], vcc
	s_xor_b64 s[26:27], exec, s[26:27]
; %bb.834:                              ;   in Loop: Header=BB2_132 Depth=3
	v_cmp_lt_u64_e32 vcc, s[88:89], v[28:29]
	v_add_u32_e32 v8, 7, v31
	v_cndmask_b32_e32 v10, v19, v8, vcc
	v_cndmask_b32_e64 v8, 0, 1, vcc
	v_lshrrev_b64 v[8:9], v8, v[28:29]
; %bb.835:                              ;   in Loop: Header=BB2_132 Depth=3
	s_andn2_saveexec_b64 s[26:27], s[26:27]
; %bb.836:                              ;   in Loop: Header=BB2_132 Depth=3
	v_mov_b32_e32 v8, v28
	v_bfe_u32 v10, v28, 23, 1
	v_mov_b32_e32 v9, v29
; %bb.837:                              ;   in Loop: Header=BB2_132 Depth=3
	s_or_b64 exec, exec, s[26:27]
	v_lshrrev_b64 v[8:9], 20, v[8:9]
	v_cmp_gt_i32_e32 vcc, 16, v10
	v_cndmask_b32_e32 v9, 0, v9, vcc
	v_cndmask_b32_e32 v8, 7, v8, vcc
	v_cmp_eq_u64_e64 s[26:27], 0, v[8:9]
	v_min_i32_e32 v9, 15, v10
	v_lshlrev_b32_e32 v9, 3, v9
	v_cmp_eq_u32_e32 vcc, 0, v10
	v_and_b32_e32 v9, 0xf8, v9
	v_and_or_b32 v8, v8, 7, v9
	s_and_b64 s[26:27], vcc, s[26:27]
	v_cndmask_b32_e64 v8, v8, 0, s[26:27]
	v_or_b32_e32 v8, v8, v11
.LBB2_838:                              ;   in Loop: Header=BB2_132 Depth=3
	s_or_b64 exec, exec, s[34:35]
                                        ; implicit-def: $vgpr11
.LBB2_839:                              ;   in Loop: Header=BB2_132 Depth=3
	s_andn2_saveexec_b64 s[26:27], s[30:31]
; %bb.840:                              ;   in Loop: Header=BB2_132 Depth=3
	v_or_b32_e32 v8, 0x7e, v11
; %bb.841:                              ;   in Loop: Header=BB2_132 Depth=3
	s_or_b64 exec, exec, s[26:27]
                                        ; implicit-def: $vgpr9
.LBB2_842:                              ;   in Loop: Header=BB2_132 Depth=3
	s_andn2_saveexec_b64 s[26:27], s[94:95]
	s_cbranch_execz .LBB2_131
; %bb.843:                              ;   in Loop: Header=BB2_132 Depth=3
	v_or_b32_sdwa v8, v9, s85 dst_sel:DWORD dst_unused:UNUSED_PAD src0_sel:BYTE_3 src1_sel:DWORD
	s_branch .LBB2_131
.LBB2_844:                              ;   in Loop: Header=BB2_57 Depth=2
	s_or_b64 exec, exec, s[92:93]
	buffer_load_dword v1, off, s[0:3], s33 offset:232 ; 4-byte Folded Reload
.LBB2_845:                              ;   in Loop: Header=BB2_57 Depth=2
	s_or_b64 exec, exec, s[28:29]
	buffer_load_dword v2, off, s[0:3], s33 offset:208 ; 4-byte Folded Reload
	s_waitcnt vmcnt(1)
	v_lshlrev_b32_e32 v1, 11, v1
	s_mov_b64 s[26:27], 0
                                        ; implicit-def: $vgpr3
                                        ; implicit-def: $vgpr5
	s_waitcnt vmcnt(0)
	v_cmp_ne_u32_e32 vcc, v2, v1
	v_mov_b32_e32 v2, 0
	s_and_saveexec_b64 s[92:93], vcc
	s_cbranch_execz .LBB2_1211
; %bb.846:                              ;   in Loop: Header=BB2_57 Depth=2
	buffer_load_dword v2, off, s[0:3], s33 offset:208 ; 4-byte Folded Reload
	v_lshlrev_b32_e32 v0, 6, v0
	s_waitcnt vmcnt(0)
	v_sub_u32_e32 v5, v2, v1
	buffer_load_dword v2, off, s[0:3], s33 offset:176 ; 4-byte Folded Reload
	s_waitcnt vmcnt(0)
	v_sub_u32_e32 v0, v2, v0
	v_ashrrev_i32_e32 v2, 31, v0
	v_lshrrev_b32_e32 v2, 26, v2
	v_add_u32_e32 v2, v0, v2
	v_ashrrev_i32_e32 v7, 6, v2
	v_and_b32_e32 v2, 0xffffffc0, v2
	v_sub_u32_e32 v0, v0, v2
	v_lshlrev_b32_e32 v2, 4, v0
	v_lshl_add_u32 v3, v7, 10, v2
	v_ashrrev_i32_e32 v2, 31, v5
	v_lshrrev_b32_e32 v2, 22, v2
	v_add_u32_e32 v2, v5, v2
	v_ashrrev_i32_e32 v8, 10, v2
	v_and_b32_e32 v2, 0xfffffc00, v2
	v_sub_u32_e32 v6, v5, v2
	v_cmp_lt_i32_e64 s[26:27], 15, v6
	v_sub_u32_e32 v16, v5, v3
	v_addc_co_u32_e64 v5, vcc, 0, v8, s[26:27]
	v_sub_u32_e32 v7, v5, v7
	v_cmp_lt_i32_e32 vcc, 15, v16
	s_and_saveexec_b64 s[94:95], vcc
	s_cbranch_execz .LBB2_1210
; %bb.847:                              ;   in Loop: Header=BB2_57 Depth=2
	s_trap 2
	ds_read_b64 v[8:9], v0
	v_add_u32_e32 v5, v3, v1
	v_ashrrev_i32_e32 v18, 31, v5
	s_mov_b64 s[30:31], 0
	s_waitcnt lgkmcnt(0)
	v_readfirstlane_b32 s28, v8
	s_and_b32 s29, s28, 7
	s_flbit_i32_b32 s29, s29
	s_min_u32 s29, s29, 32
	s_and_b32 s45, s28, 0x7f
	s_bfe_u32 s47, s28, 0x40003
	s_sub_i32 vcc_lo, s29, 28
	s_sub_i32 s29, 29, s29
	s_cmp_lt_u32 s45, 8
	s_cselect_b32 vcc_lo, vcc_lo, 0
	s_cselect_b32 s29, s29, s47
	v_lshlrev_b64 v[8:9], vcc_lo, v[8:9]
	s_lshl_b32 s47, s28, 24
	s_lshl_b32 s29, s29, 23
	s_and_b32 s47, s47, 0x80000000
	s_add_i32 s29, s29, 0x3c000000
	v_lshlrev_b32_e32 v3, 20, v8
	s_or_b32 s29, s47, s29
	v_and_b32_e32 v3, 0x700000, v3
	s_cmpk_lg_i32 s45, 0x7f
	v_or_b32_e32 v3, s29, v3
	s_cselect_b64 vcc, -1, 0
	v_cndmask_b32_e32 v3, v4, v3, vcc
	s_and_b32 s45, s28, 0xff
	s_branch .LBB2_849
.LBB2_848:                              ;   in Loop: Header=BB2_849 Depth=3
	s_or_b64 exec, exec, s[28:29]
	v_add_co_u32_e32 v9, vcc, v40, v5
	v_lshl_or_b32 v11, v30, 8, v31
	v_lshlrev_b32_e32 v19, 16, v33
	v_lshlrev_b32_e32 v28, 24, v34
	v_addc_co_u32_e32 v10, vcc, v41, v18, vcc
	v_or3_b32 v44, v11, v19, v28
	v_lshl_or_b32 v11, v23, 8, v22
	v_lshlrev_b32_e32 v19, 16, v24
	v_lshlrev_b32_e32 v22, 24, v25
	v_sub_u32_e32 v16, v16, v15
	v_or3_b32 v43, v11, v19, v22
	v_lshl_or_b32 v11, v51, 8, v35
	v_lshlrev_b32_e32 v19, 16, v48
	v_lshlrev_b32_e32 v22, 24, v50
	v_cmp_gt_i32_e32 vcc, 16, v16
	v_or3_b32 v45, v11, v19, v22
	v_lshlrev_b32_e32 v8, 24, v8
	v_lshlrev_b32_e32 v11, 16, v42
	v_lshl_or_b32 v19, v53, 8, v52
	s_or_b64 s[30:31], vcc, s[30:31]
	v_add_co_u32_e32 v5, vcc, v5, v15
	v_or3_b32 v46, v19, v11, v8
	v_sub_u32_e32 v7, v7, v14
	v_addc_co_u32_e32 v18, vcc, 0, v18, vcc
	global_store_dwordx4 v[9:10], v[43:46], off glc slc
	s_andn2_b64 exec, exec, s[30:31]
	s_cbranch_execz .LBB2_1209
.LBB2_849:                              ;   Parent Loop BB2_47 Depth=1
                                        ;     Parent Loop BB2_57 Depth=2
                                        ; =>    This Inner Loop Header: Depth=3
	s_cmpk_lt_i32 s45, 0x80
	s_cbranch_scc1 .LBB2_853
; %bb.850:                              ;   in Loop: Header=BB2_849 Depth=3
	s_and_b32 s47, 0xffff, s45
	s_mov_b64 s[28:29], -1
	s_cmpk_eq_i32 s47, 0x80
	s_cbranch_scc0 .LBB2_852
; %bb.851:                              ;   in Loop: Header=BB2_849 Depth=3
	s_mov_b64 s[28:29], 0
.LBB2_852:                              ;   in Loop: Header=BB2_849 Depth=3
	s_brev_b32 s47, 1
	s_branch .LBB2_855
.LBB2_853:                              ;   in Loop: Header=BB2_849 Depth=3
	s_mov_b64 s[28:29], 0
	s_brev_b32 s47, 1
	s_cbranch_execz .LBB2_855
; %bb.854:                              ;   in Loop: Header=BB2_849 Depth=3
	s_and_b32 s28, 0xffff, s45
	s_cmp_lg_u32 s28, 0
	s_mov_b32 s47, 0
	s_cselect_b64 s[28:29], -1, 0
.LBB2_855:                              ;   in Loop: Header=BB2_849 Depth=3
	s_andn2_b64 vcc, exec, s[28:29]
	v_mov_b32_e32 v19, s47
	s_cbranch_vccnz .LBB2_857
; %bb.856:                              ;   in Loop: Header=BB2_849 Depth=3
	v_mov_b32_e32 v19, v3
.LBB2_857:                              ;   in Loop: Header=BB2_849 Depth=3
	v_add_co_u32_e32 v8, vcc, v54, v5
	v_addc_co_u32_e32 v9, vcc, v55, v18, vcc
	global_load_dwordx4 v[8:11], v[8:9], off glc slc
	v_mov_b32_e32 v22, 0
	s_waitcnt vmcnt(0)
	v_cmp_ne_u16_sdwa vcc, v8, v29 src0_sel:BYTE_0 src1_sel:DWORD
	s_and_saveexec_b64 s[28:29], vcc
	s_cbranch_execz .LBB2_863
; %bb.858:                              ;   in Loop: Header=BB2_849 Depth=3
	v_cmp_ne_u16_sdwa vcc, v8, s87 src0_sel:BYTE_0 src1_sel:DWORD
	v_bfrev_b32_e32 v22, 1
	s_and_saveexec_b64 s[34:35], vcc
	s_cbranch_execz .LBB2_862
; %bb.859:                              ;   in Loop: Header=BB2_849 Depth=3
	v_and_b32_e32 v23, 0x7f, v8
	v_cmp_ne_u32_e32 vcc, s85, v23
	v_mov_b32_e32 v22, 0x7f800001
	s_and_saveexec_b64 s[36:37], vcc
	s_cbranch_execz .LBB2_861
; %bb.860:                              ;   in Loop: Header=BB2_849 Depth=3
	v_and_b32_e32 v22, 7, v8
	v_ffbh_u32_e32 v22, v22
	v_min_u32_e32 v22, 32, v22
	v_lshrrev_b32_e32 v24, 3, v23
	v_cmp_gt_u32_e32 vcc, 8, v23
	v_subrev_u32_e32 v23, 28, v22
	v_sub_u32_e32 v22, 29, v22
	v_cndmask_b32_e32 v24, v24, v22, vcc
	v_cndmask_b32_e32 v22, 0, v23, vcc
	v_lshlrev_b64 v[22:23], v22, v[8:9]
	v_lshlrev_b32_e32 v23, 24, v8
	v_lshlrev_b32_e32 v22, 20, v22
	v_and_b32_e32 v22, 0x700000, v22
	v_and_b32_e32 v23, 0x80000000, v23
	v_lshl_add_u32 v24, v24, 23, v17
	v_or3_b32 v22, v23, v24, v22
.LBB2_861:                              ;   in Loop: Header=BB2_849 Depth=3
	s_or_b64 exec, exec, s[36:37]
.LBB2_862:                              ;   in Loop: Header=BB2_849 Depth=3
	s_or_b64 exec, exec, s[34:35]
.LBB2_863:                              ;   in Loop: Header=BB2_849 Depth=3
	s_or_b64 exec, exec, s[28:29]
	v_mul_f32_e32 v24, v19, v22
	v_and_b32_e32 v28, 0x7f800000, v24
	v_cmp_ne_u64_e32 vcc, s[76:77], v[28:29]
                                        ; implicit-def: $vgpr22
	s_and_saveexec_b64 s[28:29], vcc
	s_xor_b64 s[34:35], exec, s[28:29]
	s_cbranch_execz .LBB2_877
; %bb.864:                              ;   in Loop: Header=BB2_849 Depth=3
	v_and_b32_e32 v28, 0x7fffffff, v24
	v_cmp_gt_u64_e32 vcc, s[78:79], v[28:29]
	v_and_b32_sdwa v23, v24, s87 dst_sel:DWORD dst_unused:UNUSED_PAD src0_sel:BYTE_3 src1_sel:DWORD
                                        ; implicit-def: $vgpr22
	s_and_saveexec_b64 s[28:29], vcc
	s_xor_b64 s[36:37], exec, s[28:29]
	s_cbranch_execz .LBB2_874
; %bb.865:                              ;   in Loop: Header=BB2_849 Depth=3
	v_mov_b32_e32 v22, 0
	v_cmp_ne_u32_e32 vcc, 0, v24
	s_and_saveexec_b64 s[38:39], vcc
	s_cbranch_execz .LBB2_873
; %bb.866:                              ;   in Loop: Header=BB2_849 Depth=3
	v_bfe_u32 v22, v24, 23, 8
	v_and_b32_e32 v25, 0x7fffff, v24
	v_cmp_gt_u32_e64 s[28:29], s96, v22
	v_sub_u32_e32 v24, 0x79, v22
	v_cmp_eq_u32_e32 vcc, 0, v22
	v_cndmask_b32_e64 v24, 0, v24, s[28:29]
	v_or_b32_e32 v28, 0x800000, v25
	v_cndmask_b32_e32 v24, v24, v36, vcc
	v_cndmask_b32_e32 v28, v28, v25, vcc
	v_add_u32_e32 v25, 20, v24
	v_lshlrev_b64 v[30:31], v25, -1
	v_add_u32_e32 v25, 19, v24
	v_lshlrev_b64 v[33:34], v25, 1
	v_lshrrev_b64 v[42:43], v24, v[28:29]
	v_bfi_b32 v31, v31, 0, 0
	v_bfi_b32 v30, v30, 0, v28
	v_cmp_eq_u64_e64 s[28:29], v[30:31], v[33:34]
	v_mov_b32_e32 v44, v43
	v_mov_b32_e32 v43, v42
	s_and_saveexec_b64 s[48:49], s[28:29]
; %bb.867:                              ;   in Loop: Header=BB2_849 Depth=3
	v_bfe_u32 v25, v42, 20, 1
	v_add_co_u32_e64 v25, s[28:29], v42, v25
	v_add_co_u32_e64 v43, s[28:29], -1, v25
; %bb.868:                              ;   in Loop: Header=BB2_849 Depth=3
	s_or_b64 exec, exec, s[48:49]
	v_add_u32_e32 v22, 0xffffff81, v22
	v_cndmask_b32_e32 v22, v22, v37, vcc
	v_lshrrev_b32_e32 v25, 23, v42
	v_add3_u32 v25, v24, v22, v25
	v_add_u32_e32 v24, 6, v25
	v_and_b32_e32 v22, 0xfffff, v43
	v_add_u32_e32 v28, v22, v42
	v_cmp_ne_u32_e32 vcc, 0, v24
                                        ; implicit-def: $vgpr42_vgpr43
                                        ; implicit-def: $vgpr22
	s_and_saveexec_b64 s[28:29], vcc
	s_xor_b64 s[28:29], exec, s[28:29]
; %bb.869:                              ;   in Loop: Header=BB2_849 Depth=3
	v_cmp_lt_u64_e32 vcc, s[88:89], v[28:29]
	v_add_u32_e32 v22, 7, v25
	v_cndmask_b32_e32 v22, v24, v22, vcc
	v_cndmask_b32_e64 v24, 0, 1, vcc
	v_lshrrev_b64 v[42:43], v24, v[28:29]
; %bb.870:                              ;   in Loop: Header=BB2_849 Depth=3
	s_andn2_saveexec_b64 s[28:29], s[28:29]
; %bb.871:                              ;   in Loop: Header=BB2_849 Depth=3
	v_mov_b32_e32 v43, v29
	v_bfe_u32 v22, v28, 23, 1
	v_mov_b32_e32 v42, v28
; %bb.872:                              ;   in Loop: Header=BB2_849 Depth=3
	s_or_b64 exec, exec, s[28:29]
	v_lshrrev_b64 v[24:25], 20, v[42:43]
	v_cmp_gt_i32_e32 vcc, 16, v22
	v_cndmask_b32_e32 v25, 0, v25, vcc
	v_cndmask_b32_e32 v24, 7, v24, vcc
	v_cmp_eq_u32_e32 vcc, 0, v22
	v_min_i32_e32 v22, 15, v22
	v_cmp_eq_u64_e64 s[28:29], 0, v[24:25]
	v_lshlrev_b32_e32 v22, 3, v22
	v_and_b32_e32 v22, 0xf8, v22
	v_and_or_b32 v22, v24, 7, v22
	s_and_b64 s[28:29], vcc, s[28:29]
	v_cndmask_b32_e64 v22, v22, 0, s[28:29]
	v_or_b32_e32 v22, v22, v23
.LBB2_873:                              ;   in Loop: Header=BB2_849 Depth=3
	s_or_b64 exec, exec, s[38:39]
                                        ; implicit-def: $vgpr23
.LBB2_874:                              ;   in Loop: Header=BB2_849 Depth=3
	s_andn2_saveexec_b64 s[28:29], s[36:37]
; %bb.875:                              ;   in Loop: Header=BB2_849 Depth=3
	v_or_b32_e32 v22, 0x7e, v23
; %bb.876:                              ;   in Loop: Header=BB2_849 Depth=3
	s_or_b64 exec, exec, s[28:29]
                                        ; implicit-def: $vgpr24
.LBB2_877:                              ;   in Loop: Header=BB2_849 Depth=3
	s_andn2_saveexec_b64 s[28:29], s[34:35]
; %bb.878:                              ;   in Loop: Header=BB2_849 Depth=3
	v_or_b32_sdwa v22, v24, s85 dst_sel:DWORD dst_unused:UNUSED_PAD src0_sel:BYTE_3 src1_sel:DWORD
; %bb.879:                              ;   in Loop: Header=BB2_849 Depth=3
	s_or_b64 exec, exec, s[28:29]
	v_lshrrev_b16_e32 v28, 8, v8
	v_cmp_ne_u16_e32 vcc, 0, v28
	v_mov_b32_e32 v23, 0
	s_and_saveexec_b64 s[28:29], vcc
	s_cbranch_execz .LBB2_885
; %bb.880:                              ;   in Loop: Header=BB2_849 Depth=3
	v_cmp_ne_u16_e32 vcc, s87, v28
	v_bfrev_b32_e32 v23, 1
	s_and_saveexec_b64 s[34:35], vcc
	s_cbranch_execz .LBB2_884
; %bb.881:                              ;   in Loop: Header=BB2_849 Depth=3
	v_and_b32_e32 v24, 0x7f, v28
	v_cmp_ne_u32_e32 vcc, s85, v24
	v_mov_b32_e32 v23, 0x7f800001
	s_and_saveexec_b64 s[36:37], vcc
	s_cbranch_execz .LBB2_883
; %bb.882:                              ;   in Loop: Header=BB2_849 Depth=3
	v_and_b32_e32 v25, 7, v28
	v_ffbh_u32_e32 v23, v25
	v_min_u32_e32 v31, 32, v23
	v_subrev_u32_e32 v23, 28, v31
	v_lshrrev_b32_e32 v30, 3, v24
	v_cmp_gt_u32_e32 vcc, 8, v24
	v_lshlrev_b64 v[23:24], v23, v[28:29]
	v_sub_u32_e32 v24, 29, v31
	v_and_b32_e32 v23, 7, v23
	v_cndmask_b32_e32 v24, v30, v24, vcc
	v_cndmask_b32_e32 v23, v25, v23, vcc
	v_lshlrev_b32_e32 v25, 16, v8
	v_lshlrev_b32_e32 v23, 20, v23
	v_and_b32_e32 v25, 0x80000000, v25
	v_lshl_add_u32 v24, v24, 23, v17
	v_or3_b32 v23, v25, v24, v23
.LBB2_883:                              ;   in Loop: Header=BB2_849 Depth=3
	s_or_b64 exec, exec, s[36:37]
.LBB2_884:                              ;   in Loop: Header=BB2_849 Depth=3
	s_or_b64 exec, exec, s[34:35]
.LBB2_885:                              ;   in Loop: Header=BB2_849 Depth=3
	s_or_b64 exec, exec, s[28:29]
	v_mul_f32_e32 v25, v19, v23
	v_and_b32_e32 v28, 0x7f800000, v25
	v_cmp_ne_u64_e32 vcc, s[76:77], v[28:29]
                                        ; implicit-def: $vgpr23
	s_and_saveexec_b64 s[28:29], vcc
	s_xor_b64 s[34:35], exec, s[28:29]
	s_cbranch_execz .LBB2_899
; %bb.886:                              ;   in Loop: Header=BB2_849 Depth=3
	v_and_b32_e32 v28, 0x7fffffff, v25
	v_cmp_gt_u64_e32 vcc, s[78:79], v[28:29]
	v_and_b32_sdwa v24, v25, s87 dst_sel:DWORD dst_unused:UNUSED_PAD src0_sel:BYTE_3 src1_sel:DWORD
                                        ; implicit-def: $vgpr23
	s_and_saveexec_b64 s[28:29], vcc
	s_xor_b64 s[36:37], exec, s[28:29]
	s_cbranch_execz .LBB2_896
; %bb.887:                              ;   in Loop: Header=BB2_849 Depth=3
	v_mov_b32_e32 v23, 0
	v_cmp_ne_u32_e32 vcc, 0, v25
	s_and_saveexec_b64 s[38:39], vcc
	s_cbranch_execz .LBB2_895
; %bb.888:                              ;   in Loop: Header=BB2_849 Depth=3
	v_bfe_u32 v23, v25, 23, 8
	v_and_b32_e32 v28, 0x7fffff, v25
	v_cmp_gt_u32_e64 s[28:29], s96, v23
	v_sub_u32_e32 v25, 0x79, v23
	v_cmp_eq_u32_e32 vcc, 0, v23
	v_cndmask_b32_e64 v25, 0, v25, s[28:29]
	v_or_b32_e32 v30, 0x800000, v28
	v_cndmask_b32_e32 v25, v25, v36, vcc
	v_cndmask_b32_e32 v28, v30, v28, vcc
	v_add_u32_e32 v30, 20, v25
	v_lshlrev_b64 v[30:31], v30, -1
	v_add_u32_e32 v33, 19, v25
	v_lshlrev_b64 v[33:34], v33, 1
	v_lshrrev_b64 v[42:43], v25, v[28:29]
	v_bfi_b32 v31, v31, 0, 0
	v_bfi_b32 v30, v30, 0, v28
	v_cmp_eq_u64_e64 s[28:29], v[30:31], v[33:34]
	v_mov_b32_e32 v44, v43
	v_mov_b32_e32 v43, v42
	s_and_saveexec_b64 s[48:49], s[28:29]
; %bb.889:                              ;   in Loop: Header=BB2_849 Depth=3
	v_bfe_u32 v28, v42, 20, 1
	v_add_co_u32_e64 v28, s[28:29], v42, v28
	v_add_co_u32_e64 v43, s[28:29], -1, v28
; %bb.890:                              ;   in Loop: Header=BB2_849 Depth=3
	s_or_b64 exec, exec, s[48:49]
	v_add_u32_e32 v23, 0xffffff81, v23
	v_cndmask_b32_e32 v23, v23, v37, vcc
	v_lshrrev_b32_e32 v28, 23, v42
	v_add3_u32 v30, v25, v23, v28
	v_add_u32_e32 v25, 6, v30
	v_and_b32_e32 v23, 0xfffff, v43
	v_add_u32_e32 v28, v23, v42
	v_cmp_ne_u32_e32 vcc, 0, v25
                                        ; implicit-def: $vgpr42_vgpr43
                                        ; implicit-def: $vgpr23
	s_and_saveexec_b64 s[28:29], vcc
	s_xor_b64 s[28:29], exec, s[28:29]
; %bb.891:                              ;   in Loop: Header=BB2_849 Depth=3
	v_cmp_lt_u64_e32 vcc, s[88:89], v[28:29]
	v_add_u32_e32 v23, 7, v30
	v_cndmask_b32_e32 v23, v25, v23, vcc
	v_cndmask_b32_e64 v25, 0, 1, vcc
	v_lshrrev_b64 v[42:43], v25, v[28:29]
; %bb.892:                              ;   in Loop: Header=BB2_849 Depth=3
	s_andn2_saveexec_b64 s[28:29], s[28:29]
; %bb.893:                              ;   in Loop: Header=BB2_849 Depth=3
	v_mov_b32_e32 v43, v29
	v_bfe_u32 v23, v28, 23, 1
	v_mov_b32_e32 v42, v28
; %bb.894:                              ;   in Loop: Header=BB2_849 Depth=3
	s_or_b64 exec, exec, s[28:29]
	v_lshrrev_b64 v[30:31], 20, v[42:43]
	v_cmp_gt_i32_e32 vcc, 16, v23
	v_cndmask_b32_e32 v31, 0, v31, vcc
	v_cndmask_b32_e32 v30, 7, v30, vcc
	v_cmp_eq_u32_e32 vcc, 0, v23
	v_min_i32_e32 v23, 15, v23
	v_cmp_eq_u64_e64 s[28:29], 0, v[30:31]
	v_lshlrev_b32_e32 v23, 3, v23
	v_and_b32_e32 v23, 0xf8, v23
	v_and_or_b32 v23, v30, 7, v23
	s_and_b64 s[28:29], vcc, s[28:29]
	v_cndmask_b32_e64 v23, v23, 0, s[28:29]
	v_or_b32_e32 v23, v23, v24
.LBB2_895:                              ;   in Loop: Header=BB2_849 Depth=3
	s_or_b64 exec, exec, s[38:39]
                                        ; implicit-def: $vgpr24
.LBB2_896:                              ;   in Loop: Header=BB2_849 Depth=3
	s_andn2_saveexec_b64 s[28:29], s[36:37]
; %bb.897:                              ;   in Loop: Header=BB2_849 Depth=3
	v_or_b32_e32 v23, 0x7e, v24
; %bb.898:                              ;   in Loop: Header=BB2_849 Depth=3
	s_or_b64 exec, exec, s[28:29]
                                        ; implicit-def: $vgpr25
.LBB2_899:                              ;   in Loop: Header=BB2_849 Depth=3
	s_andn2_saveexec_b64 s[28:29], s[34:35]
; %bb.900:                              ;   in Loop: Header=BB2_849 Depth=3
	v_or_b32_sdwa v23, v25, s85 dst_sel:DWORD dst_unused:UNUSED_PAD src0_sel:BYTE_3 src1_sel:DWORD
; %bb.901:                              ;   in Loop: Header=BB2_849 Depth=3
	s_or_b64 exec, exec, s[28:29]
	v_lshrrev_b32_e32 v28, 16, v8
	v_cmp_ne_u16_sdwa vcc, v28, v29 src0_sel:BYTE_0 src1_sel:DWORD
	v_mov_b32_e32 v24, 0
	s_and_saveexec_b64 s[28:29], vcc
	s_cbranch_execz .LBB2_907
; %bb.902:                              ;   in Loop: Header=BB2_849 Depth=3
	v_cmp_ne_u16_sdwa vcc, v28, s87 src0_sel:BYTE_0 src1_sel:DWORD
	v_bfrev_b32_e32 v24, 1
	s_and_saveexec_b64 s[34:35], vcc
	s_cbranch_execz .LBB2_906
; %bb.903:                              ;   in Loop: Header=BB2_849 Depth=3
	v_bfe_u32 v25, v8, 16, 7
	v_cmp_ne_u32_e32 vcc, s85, v25
	v_mov_b32_e32 v24, 0x7f800001
	s_and_saveexec_b64 s[36:37], vcc
	s_cbranch_execz .LBB2_905
; %bb.904:                              ;   in Loop: Header=BB2_849 Depth=3
	v_and_b32_e32 v30, 7, v28
	v_ffbh_u32_e32 v24, v30
	v_min_u32_e32 v33, 32, v24
	v_subrev_u32_e32 v24, 28, v33
	v_lshrrev_b32_e32 v31, 3, v25
	v_cmp_gt_u32_e32 vcc, 8, v25
	v_lshlrev_b64 v[24:25], v24, v[28:29]
	v_sub_u32_e32 v25, 29, v33
	v_and_b32_e32 v24, 7, v24
	v_cndmask_b32_e32 v25, v31, v25, vcc
	v_cndmask_b32_e32 v24, v30, v24, vcc
	v_lshlrev_b32_e32 v28, 24, v28
	v_lshlrev_b32_e32 v24, 20, v24
	v_and_b32_e32 v28, 0x80000000, v28
	v_lshl_add_u32 v25, v25, 23, v17
	v_or3_b32 v24, v28, v25, v24
.LBB2_905:                              ;   in Loop: Header=BB2_849 Depth=3
	s_or_b64 exec, exec, s[36:37]
.LBB2_906:                              ;   in Loop: Header=BB2_849 Depth=3
	s_or_b64 exec, exec, s[34:35]
.LBB2_907:                              ;   in Loop: Header=BB2_849 Depth=3
	s_or_b64 exec, exec, s[28:29]
	v_mul_f32_e32 v30, v19, v24
	v_and_b32_e32 v28, 0x7f800000, v30
	v_cmp_ne_u64_e32 vcc, s[76:77], v[28:29]
                                        ; implicit-def: $vgpr24
	s_and_saveexec_b64 s[28:29], vcc
	s_xor_b64 s[34:35], exec, s[28:29]
	s_cbranch_execz .LBB2_921
; %bb.908:                              ;   in Loop: Header=BB2_849 Depth=3
	v_and_b32_e32 v28, 0x7fffffff, v30
	v_cmp_gt_u64_e32 vcc, s[78:79], v[28:29]
	v_and_b32_sdwa v25, v30, s87 dst_sel:DWORD dst_unused:UNUSED_PAD src0_sel:BYTE_3 src1_sel:DWORD
                                        ; implicit-def: $vgpr24
	s_and_saveexec_b64 s[28:29], vcc
	s_xor_b64 s[36:37], exec, s[28:29]
	s_cbranch_execz .LBB2_918
; %bb.909:                              ;   in Loop: Header=BB2_849 Depth=3
	v_mov_b32_e32 v24, 0
	v_cmp_ne_u32_e32 vcc, 0, v30
	s_and_saveexec_b64 s[38:39], vcc
	s_cbranch_execz .LBB2_917
; %bb.910:                              ;   in Loop: Header=BB2_849 Depth=3
	v_bfe_u32 v24, v30, 23, 8
	v_and_b32_e32 v28, 0x7fffff, v30
	v_cmp_gt_u32_e64 s[28:29], s96, v24
	v_sub_u32_e32 v30, 0x79, v24
	v_cmp_eq_u32_e32 vcc, 0, v24
	v_cndmask_b32_e64 v30, 0, v30, s[28:29]
	v_or_b32_e32 v31, 0x800000, v28
	v_cndmask_b32_e32 v30, v30, v36, vcc
	v_cndmask_b32_e32 v28, v31, v28, vcc
	v_add_u32_e32 v31, 20, v30
	v_lshlrev_b64 v[33:34], v31, -1
	v_add_u32_e32 v31, 19, v30
	v_lshlrev_b64 v[50:51], v31, 1
	v_lshrrev_b64 v[42:43], v30, v[28:29]
	v_bfi_b32 v34, v34, 0, 0
	v_bfi_b32 v33, v33, 0, v28
	v_cmp_eq_u64_e64 s[28:29], v[33:34], v[50:51]
	v_mov_b32_e32 v44, v43
	v_mov_b32_e32 v43, v42
	s_and_saveexec_b64 s[48:49], s[28:29]
; %bb.911:                              ;   in Loop: Header=BB2_849 Depth=3
	v_bfe_u32 v28, v42, 20, 1
	v_add_co_u32_e64 v28, s[28:29], v42, v28
	v_add_co_u32_e64 v43, s[28:29], -1, v28
; %bb.912:                              ;   in Loop: Header=BB2_849 Depth=3
	s_or_b64 exec, exec, s[48:49]
	v_add_u32_e32 v24, 0xffffff81, v24
	v_cndmask_b32_e32 v24, v24, v37, vcc
	v_lshrrev_b32_e32 v28, 23, v42
	v_add3_u32 v31, v30, v24, v28
	v_add_u32_e32 v30, 6, v31
	v_and_b32_e32 v24, 0xfffff, v43
	v_add_u32_e32 v28, v24, v42
	v_cmp_ne_u32_e32 vcc, 0, v30
                                        ; implicit-def: $vgpr42_vgpr43
                                        ; implicit-def: $vgpr24
	s_and_saveexec_b64 s[28:29], vcc
	s_xor_b64 s[28:29], exec, s[28:29]
; %bb.913:                              ;   in Loop: Header=BB2_849 Depth=3
	v_cmp_lt_u64_e32 vcc, s[88:89], v[28:29]
	v_add_u32_e32 v24, 7, v31
	v_cndmask_b32_e32 v24, v30, v24, vcc
	v_cndmask_b32_e64 v30, 0, 1, vcc
	v_lshrrev_b64 v[42:43], v30, v[28:29]
; %bb.914:                              ;   in Loop: Header=BB2_849 Depth=3
	s_andn2_saveexec_b64 s[28:29], s[28:29]
; %bb.915:                              ;   in Loop: Header=BB2_849 Depth=3
	v_mov_b32_e32 v43, v29
	v_bfe_u32 v24, v28, 23, 1
	v_mov_b32_e32 v42, v28
; %bb.916:                              ;   in Loop: Header=BB2_849 Depth=3
	s_or_b64 exec, exec, s[28:29]
	v_lshrrev_b64 v[30:31], 20, v[42:43]
	v_cmp_gt_i32_e32 vcc, 16, v24
	v_cndmask_b32_e32 v31, 0, v31, vcc
	v_cndmask_b32_e32 v30, 7, v30, vcc
	v_cmp_eq_u32_e32 vcc, 0, v24
	v_min_i32_e32 v24, 15, v24
	v_cmp_eq_u64_e64 s[28:29], 0, v[30:31]
	v_lshlrev_b32_e32 v24, 3, v24
	v_and_b32_e32 v24, 0xf8, v24
	v_and_or_b32 v24, v30, 7, v24
	s_and_b64 s[28:29], vcc, s[28:29]
	v_cndmask_b32_e64 v24, v24, 0, s[28:29]
	v_or_b32_e32 v24, v24, v25
.LBB2_917:                              ;   in Loop: Header=BB2_849 Depth=3
	s_or_b64 exec, exec, s[38:39]
                                        ; implicit-def: $vgpr25
.LBB2_918:                              ;   in Loop: Header=BB2_849 Depth=3
	s_andn2_saveexec_b64 s[28:29], s[36:37]
; %bb.919:                              ;   in Loop: Header=BB2_849 Depth=3
	v_or_b32_e32 v24, 0x7e, v25
; %bb.920:                              ;   in Loop: Header=BB2_849 Depth=3
	s_or_b64 exec, exec, s[28:29]
                                        ; implicit-def: $vgpr30
.LBB2_921:                              ;   in Loop: Header=BB2_849 Depth=3
	s_andn2_saveexec_b64 s[28:29], s[34:35]
; %bb.922:                              ;   in Loop: Header=BB2_849 Depth=3
	v_or_b32_sdwa v24, v30, s85 dst_sel:DWORD dst_unused:UNUSED_PAD src0_sel:BYTE_3 src1_sel:DWORD
; %bb.923:                              ;   in Loop: Header=BB2_849 Depth=3
	s_or_b64 exec, exec, s[28:29]
	v_cmp_lt_u32_e32 vcc, s57, v8
	v_mov_b32_e32 v25, 0
	s_and_saveexec_b64 s[28:29], vcc
	s_cbranch_execz .LBB2_929
; %bb.924:                              ;   in Loop: Header=BB2_849 Depth=3
	v_lshrrev_b32_e32 v28, 24, v8
	v_cmp_ne_u32_e32 vcc, s87, v28
	v_bfrev_b32_e32 v25, 1
	s_and_saveexec_b64 s[34:35], vcc
	s_cbranch_execz .LBB2_928
; %bb.925:                              ;   in Loop: Header=BB2_849 Depth=3
	v_bfe_u32 v30, v8, 24, 7
	v_cmp_ne_u32_e32 vcc, s85, v30
	v_mov_b32_e32 v25, 0x7f800001
	s_and_saveexec_b64 s[36:37], vcc
	s_cbranch_execz .LBB2_927
; %bb.926:                              ;   in Loop: Header=BB2_849 Depth=3
	v_and_b32_e32 v25, 7, v28
	v_lshrrev_b32_e32 v33, 3, v30
	v_cmp_gt_u32_e32 vcc, 8, v30
	v_ffbh_u32_e32 v30, v25
	v_min_u32_e32 v34, 32, v30
	v_subrev_u32_e32 v30, 28, v34
	v_lshlrev_b64 v[30:31], v30, v[28:29]
	v_sub_u32_e32 v31, 29, v34
	v_and_b32_e32 v30, 7, v30
	v_cndmask_b32_e32 v31, v33, v31, vcc
	v_cndmask_b32_e32 v25, v25, v30, vcc
	v_lshlrev_b32_e32 v28, 24, v28
	v_lshlrev_b32_e32 v25, 20, v25
	v_and_b32_e32 v28, 0x80000000, v28
	v_lshl_add_u32 v30, v31, 23, v17
	v_or3_b32 v25, v28, v30, v25
.LBB2_927:                              ;   in Loop: Header=BB2_849 Depth=3
	s_or_b64 exec, exec, s[36:37]
.LBB2_928:                              ;   in Loop: Header=BB2_849 Depth=3
	s_or_b64 exec, exec, s[34:35]
.LBB2_929:                              ;   in Loop: Header=BB2_849 Depth=3
	s_or_b64 exec, exec, s[28:29]
	v_mul_f32_e32 v31, v19, v25
	v_and_b32_e32 v28, 0x7f800000, v31
	v_cmp_ne_u64_e32 vcc, s[76:77], v[28:29]
                                        ; implicit-def: $vgpr25
	s_and_saveexec_b64 s[28:29], vcc
	s_xor_b64 s[34:35], exec, s[28:29]
	s_cbranch_execz .LBB2_943
; %bb.930:                              ;   in Loop: Header=BB2_849 Depth=3
	v_and_b32_e32 v28, 0x7fffffff, v31
	v_cmp_gt_u64_e32 vcc, s[78:79], v[28:29]
	v_and_b32_sdwa v30, v31, s87 dst_sel:DWORD dst_unused:UNUSED_PAD src0_sel:BYTE_3 src1_sel:DWORD
                                        ; implicit-def: $vgpr25
	s_and_saveexec_b64 s[28:29], vcc
	s_xor_b64 s[36:37], exec, s[28:29]
	s_cbranch_execz .LBB2_940
; %bb.931:                              ;   in Loop: Header=BB2_849 Depth=3
	v_mov_b32_e32 v25, 0
	v_cmp_ne_u32_e32 vcc, 0, v31
	s_and_saveexec_b64 s[38:39], vcc
	s_cbranch_execz .LBB2_939
; %bb.932:                              ;   in Loop: Header=BB2_849 Depth=3
	v_bfe_u32 v25, v31, 23, 8
	v_and_b32_e32 v28, 0x7fffff, v31
	v_cmp_gt_u32_e64 s[28:29], s96, v25
	v_sub_u32_e32 v31, 0x79, v25
	v_cmp_eq_u32_e32 vcc, 0, v25
	v_cndmask_b32_e64 v31, 0, v31, s[28:29]
	v_or_b32_e32 v33, 0x800000, v28
	v_cndmask_b32_e32 v31, v31, v36, vcc
	v_cndmask_b32_e32 v28, v33, v28, vcc
	v_add_u32_e32 v33, 20, v31
	v_lshlrev_b64 v[33:34], v33, -1
	v_add_u32_e32 v35, 19, v31
	v_lshlrev_b64 v[50:51], v35, 1
	v_lshrrev_b64 v[42:43], v31, v[28:29]
	v_bfi_b32 v34, v34, 0, 0
	v_bfi_b32 v33, v33, 0, v28
	v_cmp_eq_u64_e64 s[28:29], v[33:34], v[50:51]
	v_mov_b32_e32 v44, v43
	v_mov_b32_e32 v43, v42
	s_and_saveexec_b64 s[48:49], s[28:29]
; %bb.933:                              ;   in Loop: Header=BB2_849 Depth=3
	v_bfe_u32 v28, v42, 20, 1
	v_add_co_u32_e64 v28, s[28:29], v42, v28
	v_add_co_u32_e64 v43, s[28:29], -1, v28
; %bb.934:                              ;   in Loop: Header=BB2_849 Depth=3
	s_or_b64 exec, exec, s[48:49]
	v_add_u32_e32 v25, 0xffffff81, v25
	v_cndmask_b32_e32 v25, v25, v37, vcc
	v_lshrrev_b32_e32 v28, 23, v42
	v_add3_u32 v33, v31, v25, v28
	v_add_u32_e32 v31, 6, v33
	v_and_b32_e32 v25, 0xfffff, v43
	v_add_u32_e32 v28, v25, v42
	v_cmp_ne_u32_e32 vcc, 0, v31
                                        ; implicit-def: $vgpr42_vgpr43
                                        ; implicit-def: $vgpr25
	s_and_saveexec_b64 s[28:29], vcc
	s_xor_b64 s[28:29], exec, s[28:29]
; %bb.935:                              ;   in Loop: Header=BB2_849 Depth=3
	v_cmp_lt_u64_e32 vcc, s[88:89], v[28:29]
	v_add_u32_e32 v25, 7, v33
	v_cndmask_b32_e32 v25, v31, v25, vcc
	v_cndmask_b32_e64 v31, 0, 1, vcc
	v_lshrrev_b64 v[42:43], v31, v[28:29]
; %bb.936:                              ;   in Loop: Header=BB2_849 Depth=3
	s_andn2_saveexec_b64 s[28:29], s[28:29]
; %bb.937:                              ;   in Loop: Header=BB2_849 Depth=3
	v_mov_b32_e32 v43, v29
	v_bfe_u32 v25, v28, 23, 1
	v_mov_b32_e32 v42, v28
; %bb.938:                              ;   in Loop: Header=BB2_849 Depth=3
	s_or_b64 exec, exec, s[28:29]
	v_lshrrev_b64 v[33:34], 20, v[42:43]
	v_cmp_gt_i32_e32 vcc, 16, v25
	v_cndmask_b32_e32 v34, 0, v34, vcc
	v_cndmask_b32_e32 v33, 7, v33, vcc
	v_cmp_eq_u32_e32 vcc, 0, v25
	v_min_i32_e32 v25, 15, v25
	v_cmp_eq_u64_e64 s[28:29], 0, v[33:34]
	v_lshlrev_b32_e32 v25, 3, v25
	v_and_b32_e32 v25, 0xf8, v25
	v_and_or_b32 v25, v33, 7, v25
	s_and_b64 s[28:29], vcc, s[28:29]
	v_cndmask_b32_e64 v25, v25, 0, s[28:29]
	v_or_b32_e32 v25, v25, v30
.LBB2_939:                              ;   in Loop: Header=BB2_849 Depth=3
	s_or_b64 exec, exec, s[38:39]
                                        ; implicit-def: $vgpr30
.LBB2_940:                              ;   in Loop: Header=BB2_849 Depth=3
	s_andn2_saveexec_b64 s[28:29], s[36:37]
; %bb.941:                              ;   in Loop: Header=BB2_849 Depth=3
	v_or_b32_e32 v25, 0x7e, v30
; %bb.942:                              ;   in Loop: Header=BB2_849 Depth=3
	s_or_b64 exec, exec, s[28:29]
                                        ; implicit-def: $vgpr31
.LBB2_943:                              ;   in Loop: Header=BB2_849 Depth=3
	s_andn2_saveexec_b64 s[28:29], s[34:35]
; %bb.944:                              ;   in Loop: Header=BB2_849 Depth=3
	v_or_b32_sdwa v25, v31, s85 dst_sel:DWORD dst_unused:UNUSED_PAD src0_sel:BYTE_3 src1_sel:DWORD
; %bb.945:                              ;   in Loop: Header=BB2_849 Depth=3
	s_or_b64 exec, exec, s[28:29]
	v_mov_b32_e32 v28, v9
	v_cmp_ne_u16_sdwa vcc, v9, v29 src0_sel:BYTE_0 src1_sel:DWORD
	v_mov_b32_e32 v30, 0
	s_and_saveexec_b64 s[28:29], vcc
	s_cbranch_execz .LBB2_951
; %bb.946:                              ;   in Loop: Header=BB2_849 Depth=3
	v_cmp_ne_u16_sdwa vcc, v9, s87 src0_sel:BYTE_0 src1_sel:DWORD
	v_bfrev_b32_e32 v30, 1
	s_and_saveexec_b64 s[34:35], vcc
	s_cbranch_execz .LBB2_950
; %bb.947:                              ;   in Loop: Header=BB2_849 Depth=3
	v_and_b32_e32 v31, 0x7f, v9
	v_cmp_ne_u32_e32 vcc, s85, v31
	v_mov_b32_e32 v30, 0x7f800001
	s_and_saveexec_b64 s[36:37], vcc
	s_cbranch_execz .LBB2_949
; %bb.948:                              ;   in Loop: Header=BB2_849 Depth=3
	v_and_b32_e32 v30, 7, v9
	v_ffbh_u32_e32 v30, v30
	v_min_u32_e32 v30, 32, v30
	v_lshrrev_b32_e32 v33, 3, v31
	v_cmp_gt_u32_e32 vcc, 8, v31
	v_subrev_u32_e32 v31, 28, v30
	v_sub_u32_e32 v30, 29, v30
	v_cndmask_b32_e32 v33, v33, v30, vcc
	v_cndmask_b32_e32 v30, 0, v31, vcc
	v_lshlrev_b64 v[30:31], v30, v[28:29]
	v_lshlrev_b32_e32 v31, 24, v28
	v_lshlrev_b32_e32 v30, 20, v30
	v_and_b32_e32 v30, 0x700000, v30
	v_and_b32_e32 v31, 0x80000000, v31
	v_lshl_add_u32 v33, v33, 23, v17
	v_or3_b32 v30, v31, v33, v30
.LBB2_949:                              ;   in Loop: Header=BB2_849 Depth=3
	s_or_b64 exec, exec, s[36:37]
.LBB2_950:                              ;   in Loop: Header=BB2_849 Depth=3
	s_or_b64 exec, exec, s[34:35]
.LBB2_951:                              ;   in Loop: Header=BB2_849 Depth=3
	s_or_b64 exec, exec, s[28:29]
	v_mul_f32_e32 v33, v19, v30
	v_and_b32_e32 v30, 0x7f800000, v33
	v_mov_b32_e32 v31, v29
	v_cmp_ne_u64_e32 vcc, s[76:77], v[30:31]
                                        ; implicit-def: $vgpr31
	s_and_saveexec_b64 s[28:29], vcc
	s_xor_b64 s[34:35], exec, s[28:29]
	s_cbranch_execz .LBB2_965
; %bb.952:                              ;   in Loop: Header=BB2_849 Depth=3
	v_and_b32_e32 v30, 0x7fffffff, v33
	v_mov_b32_e32 v31, v29
	v_cmp_gt_u64_e32 vcc, s[78:79], v[30:31]
	v_and_b32_sdwa v30, v33, s87 dst_sel:DWORD dst_unused:UNUSED_PAD src0_sel:BYTE_3 src1_sel:DWORD
                                        ; implicit-def: $vgpr31
	s_and_saveexec_b64 s[28:29], vcc
	s_xor_b64 s[36:37], exec, s[28:29]
	s_cbranch_execz .LBB2_962
; %bb.953:                              ;   in Loop: Header=BB2_849 Depth=3
	v_mov_b32_e32 v31, 0
	v_cmp_ne_u32_e32 vcc, 0, v33
	s_and_saveexec_b64 s[38:39], vcc
	s_cbranch_execz .LBB2_961
; %bb.954:                              ;   in Loop: Header=BB2_849 Depth=3
	v_bfe_u32 v31, v33, 23, 8
	v_and_b32_e32 v34, 0x7fffff, v33
	v_cmp_gt_u32_e64 s[28:29], s96, v31
	v_sub_u32_e32 v33, 0x79, v31
	v_cmp_eq_u32_e32 vcc, 0, v31
	v_cndmask_b32_e64 v33, 0, v33, s[28:29]
	v_cndmask_b32_e32 v33, v33, v36, vcc
	v_or_b32_e32 v35, 0x800000, v34
	v_add_u32_e32 v48, 20, v33
	v_cndmask_b32_e32 v34, v35, v34, vcc
	v_mov_b32_e32 v35, v29
	v_lshlrev_b64 v[50:51], v48, -1
	v_add_u32_e32 v48, 19, v33
	v_lshlrev_b64 v[52:53], v48, 1
	v_lshrrev_b64 v[42:43], v33, v[34:35]
	v_bfi_b32 v51, v51, 0, 0
	v_bfi_b32 v50, v50, 0, v34
	v_cmp_eq_u64_e64 s[28:29], v[50:51], v[52:53]
	v_mov_b32_e32 v44, v43
	v_mov_b32_e32 v43, v42
	s_and_saveexec_b64 s[48:49], s[28:29]
; %bb.955:                              ;   in Loop: Header=BB2_849 Depth=3
	v_bfe_u32 v34, v42, 20, 1
	v_add_co_u32_e64 v34, s[28:29], v42, v34
	v_add_co_u32_e64 v43, s[28:29], -1, v34
; %bb.956:                              ;   in Loop: Header=BB2_849 Depth=3
	s_or_b64 exec, exec, s[48:49]
	v_add_u32_e32 v31, 0xffffff81, v31
	v_cndmask_b32_e32 v31, v31, v37, vcc
	v_lshrrev_b32_e32 v34, 23, v42
	v_add3_u32 v34, v33, v31, v34
	v_add_u32_e32 v33, 6, v34
	v_and_b32_e32 v31, 0xfffff, v43
	v_add_u32_e32 v42, v31, v42
	v_mov_b32_e32 v43, v29
	v_cmp_ne_u32_e32 vcc, 0, v33
                                        ; implicit-def: $vgpr31
	s_and_saveexec_b64 s[28:29], vcc
	s_xor_b64 s[28:29], exec, s[28:29]
; %bb.957:                              ;   in Loop: Header=BB2_849 Depth=3
	v_cmp_lt_u64_e32 vcc, s[88:89], v[42:43]
	v_add_u32_e32 v31, 7, v34
	v_cndmask_b32_e32 v31, v33, v31, vcc
	v_cndmask_b32_e64 v33, 0, 1, vcc
	v_lshrrev_b64 v[42:43], v33, v[42:43]
; %bb.958:                              ;   in Loop: Header=BB2_849 Depth=3
	s_andn2_saveexec_b64 s[28:29], s[28:29]
; %bb.959:                              ;   in Loop: Header=BB2_849 Depth=3
	v_bfe_u32 v31, v42, 23, 1
; %bb.960:                              ;   in Loop: Header=BB2_849 Depth=3
	s_or_b64 exec, exec, s[28:29]
	v_lshrrev_b64 v[33:34], 20, v[42:43]
	v_cmp_gt_i32_e32 vcc, 16, v31
	v_cndmask_b32_e32 v34, 0, v34, vcc
	v_cndmask_b32_e32 v33, 7, v33, vcc
	v_cmp_eq_u32_e32 vcc, 0, v31
	v_min_i32_e32 v31, 15, v31
	v_cmp_eq_u64_e64 s[28:29], 0, v[33:34]
	v_lshlrev_b32_e32 v31, 3, v31
	v_and_b32_e32 v31, 0xf8, v31
	v_and_or_b32 v31, v33, 7, v31
	s_and_b64 s[28:29], vcc, s[28:29]
	v_cndmask_b32_e64 v31, v31, 0, s[28:29]
	v_or_b32_e32 v31, v31, v30
.LBB2_961:                              ;   in Loop: Header=BB2_849 Depth=3
	s_or_b64 exec, exec, s[38:39]
                                        ; implicit-def: $vgpr30
.LBB2_962:                              ;   in Loop: Header=BB2_849 Depth=3
	s_andn2_saveexec_b64 s[28:29], s[36:37]
; %bb.963:                              ;   in Loop: Header=BB2_849 Depth=3
	v_or_b32_e32 v31, 0x7e, v30
; %bb.964:                              ;   in Loop: Header=BB2_849 Depth=3
	s_or_b64 exec, exec, s[28:29]
                                        ; implicit-def: $vgpr33
.LBB2_965:                              ;   in Loop: Header=BB2_849 Depth=3
	s_andn2_saveexec_b64 s[28:29], s[34:35]
; %bb.966:                              ;   in Loop: Header=BB2_849 Depth=3
	v_or_b32_sdwa v31, v33, s85 dst_sel:DWORD dst_unused:UNUSED_PAD src0_sel:BYTE_3 src1_sel:DWORD
; %bb.967:                              ;   in Loop: Header=BB2_849 Depth=3
	s_or_b64 exec, exec, s[28:29]
	v_lshrrev_b16_e32 v30, 8, v28
	v_cmp_ne_u16_e32 vcc, 0, v30
	v_mov_b32_e32 v33, 0
	s_and_saveexec_b64 s[28:29], vcc
	s_cbranch_execz .LBB2_973
; %bb.968:                              ;   in Loop: Header=BB2_849 Depth=3
	v_cmp_ne_u16_e32 vcc, s87, v30
	v_bfrev_b32_e32 v33, 1
	s_and_saveexec_b64 s[34:35], vcc
	s_cbranch_execz .LBB2_972
; %bb.969:                              ;   in Loop: Header=BB2_849 Depth=3
	v_and_b32_e32 v34, 0x7f, v30
	v_cmp_ne_u32_e32 vcc, s85, v34
	v_mov_b32_e32 v33, 0x7f800001
	s_and_saveexec_b64 s[36:37], vcc
	s_cbranch_execz .LBB2_971
; %bb.970:                              ;   in Loop: Header=BB2_849 Depth=3
	v_and_b32_e32 v35, 7, v30
	v_ffbh_u32_e32 v33, v35
	v_min_u32_e32 v50, 32, v33
	v_subrev_u32_e32 v33, 28, v50
	v_lshrrev_b32_e32 v48, 3, v34
	v_cmp_gt_u32_e32 vcc, 8, v34
	v_lshlrev_b64 v[33:34], v33, v[30:31]
	v_sub_u32_e32 v30, 29, v50
	v_and_b32_e32 v33, 7, v33
	v_cndmask_b32_e32 v30, v48, v30, vcc
	v_cndmask_b32_e32 v33, v35, v33, vcc
	v_lshlrev_b32_e32 v28, 16, v28
	v_lshlrev_b32_e32 v33, 20, v33
	v_and_b32_e32 v28, 0x80000000, v28
	v_lshl_add_u32 v30, v30, 23, v17
	v_or3_b32 v33, v28, v30, v33
.LBB2_971:                              ;   in Loop: Header=BB2_849 Depth=3
	s_or_b64 exec, exec, s[36:37]
.LBB2_972:                              ;   in Loop: Header=BB2_849 Depth=3
	s_or_b64 exec, exec, s[34:35]
.LBB2_973:                              ;   in Loop: Header=BB2_849 Depth=3
	s_or_b64 exec, exec, s[28:29]
	v_mul_f32_e32 v34, v19, v33
	v_and_b32_e32 v28, 0x7f800000, v34
	v_cmp_ne_u64_e32 vcc, s[76:77], v[28:29]
                                        ; implicit-def: $vgpr30
	s_and_saveexec_b64 s[28:29], vcc
	s_xor_b64 s[34:35], exec, s[28:29]
	s_cbranch_execz .LBB2_987
; %bb.974:                              ;   in Loop: Header=BB2_849 Depth=3
	v_and_b32_e32 v28, 0x7fffffff, v34
	v_cmp_gt_u64_e32 vcc, s[78:79], v[28:29]
	v_and_b32_sdwa v33, v34, s87 dst_sel:DWORD dst_unused:UNUSED_PAD src0_sel:BYTE_3 src1_sel:DWORD
                                        ; implicit-def: $vgpr30
	s_and_saveexec_b64 s[28:29], vcc
	s_xor_b64 s[36:37], exec, s[28:29]
	s_cbranch_execz .LBB2_984
; %bb.975:                              ;   in Loop: Header=BB2_849 Depth=3
	v_mov_b32_e32 v30, 0
	v_cmp_ne_u32_e32 vcc, 0, v34
	s_and_saveexec_b64 s[38:39], vcc
	s_cbranch_execz .LBB2_983
; %bb.976:                              ;   in Loop: Header=BB2_849 Depth=3
	v_bfe_u32 v30, v34, 23, 8
	v_and_b32_e32 v28, 0x7fffff, v34
	v_cmp_gt_u32_e64 s[28:29], s96, v30
	v_sub_u32_e32 v34, 0x79, v30
	v_cmp_eq_u32_e32 vcc, 0, v30
	v_cndmask_b32_e64 v34, 0, v34, s[28:29]
	v_or_b32_e32 v35, 0x800000, v28
	v_cndmask_b32_e32 v34, v34, v36, vcc
	v_cndmask_b32_e32 v28, v35, v28, vcc
	v_add_u32_e32 v35, 20, v34
	v_lshlrev_b64 v[50:51], v35, -1
	v_add_u32_e32 v35, 19, v34
	v_lshlrev_b64 v[52:53], v35, 1
	v_lshrrev_b64 v[42:43], v34, v[28:29]
	v_bfi_b32 v51, v51, 0, 0
	v_bfi_b32 v50, v50, 0, v28
	v_cmp_eq_u64_e64 s[28:29], v[50:51], v[52:53]
	v_mov_b32_e32 v44, v43
	v_mov_b32_e32 v43, v42
	s_and_saveexec_b64 s[48:49], s[28:29]
; %bb.977:                              ;   in Loop: Header=BB2_849 Depth=3
	v_bfe_u32 v28, v42, 20, 1
	v_add_co_u32_e64 v28, s[28:29], v42, v28
	v_add_co_u32_e64 v43, s[28:29], -1, v28
; %bb.978:                              ;   in Loop: Header=BB2_849 Depth=3
	s_or_b64 exec, exec, s[48:49]
	v_add_u32_e32 v28, 0xffffff81, v30
	v_cndmask_b32_e32 v28, v28, v37, vcc
	v_lshrrev_b32_e32 v30, 23, v42
	v_add3_u32 v35, v34, v28, v30
	v_add_u32_e32 v34, 6, v35
	v_and_b32_e32 v28, 0xfffff, v43
	v_add_u32_e32 v28, v28, v42
	v_cmp_ne_u32_e32 vcc, 0, v34
                                        ; implicit-def: $vgpr42_vgpr43
                                        ; implicit-def: $vgpr30
	s_and_saveexec_b64 s[28:29], vcc
	s_xor_b64 s[28:29], exec, s[28:29]
; %bb.979:                              ;   in Loop: Header=BB2_849 Depth=3
	v_cmp_lt_u64_e32 vcc, s[88:89], v[28:29]
	v_add_u32_e32 v30, 7, v35
	v_cndmask_b32_e32 v30, v34, v30, vcc
	v_cndmask_b32_e64 v34, 0, 1, vcc
	v_lshrrev_b64 v[42:43], v34, v[28:29]
; %bb.980:                              ;   in Loop: Header=BB2_849 Depth=3
	s_andn2_saveexec_b64 s[28:29], s[28:29]
; %bb.981:                              ;   in Loop: Header=BB2_849 Depth=3
	v_mov_b32_e32 v43, v29
	v_bfe_u32 v30, v28, 23, 1
	v_mov_b32_e32 v42, v28
; %bb.982:                              ;   in Loop: Header=BB2_849 Depth=3
	s_or_b64 exec, exec, s[28:29]
	v_lshrrev_b64 v[34:35], 20, v[42:43]
	v_cmp_gt_i32_e32 vcc, 16, v30
	v_cndmask_b32_e32 v35, 0, v35, vcc
	v_cndmask_b32_e32 v34, 7, v34, vcc
	v_min_i32_e32 v28, 15, v30
	v_cmp_eq_u64_e64 s[28:29], 0, v[34:35]
	v_lshlrev_b32_e32 v28, 3, v28
	v_cmp_eq_u32_e32 vcc, 0, v30
	v_and_b32_e32 v28, 0xf8, v28
	v_and_or_b32 v28, v34, 7, v28
	s_and_b64 s[28:29], vcc, s[28:29]
	v_cndmask_b32_e64 v28, v28, 0, s[28:29]
	v_or_b32_e32 v30, v28, v33
.LBB2_983:                              ;   in Loop: Header=BB2_849 Depth=3
	s_or_b64 exec, exec, s[38:39]
                                        ; implicit-def: $vgpr33
.LBB2_984:                              ;   in Loop: Header=BB2_849 Depth=3
	s_andn2_saveexec_b64 s[28:29], s[36:37]
; %bb.985:                              ;   in Loop: Header=BB2_849 Depth=3
	v_or_b32_e32 v30, 0x7e, v33
; %bb.986:                              ;   in Loop: Header=BB2_849 Depth=3
	s_or_b64 exec, exec, s[28:29]
                                        ; implicit-def: $vgpr34
.LBB2_987:                              ;   in Loop: Header=BB2_849 Depth=3
	s_andn2_saveexec_b64 s[28:29], s[34:35]
; %bb.988:                              ;   in Loop: Header=BB2_849 Depth=3
	v_or_b32_sdwa v30, v34, s85 dst_sel:DWORD dst_unused:UNUSED_PAD src0_sel:BYTE_3 src1_sel:DWORD
; %bb.989:                              ;   in Loop: Header=BB2_849 Depth=3
	s_or_b64 exec, exec, s[28:29]
	v_lshrrev_b32_e32 v28, 16, v9
	v_cmp_ne_u16_sdwa vcc, v28, v29 src0_sel:BYTE_0 src1_sel:DWORD
	v_mov_b32_e32 v33, 0
	s_and_saveexec_b64 s[28:29], vcc
	s_cbranch_execz .LBB2_995
; %bb.990:                              ;   in Loop: Header=BB2_849 Depth=3
	v_cmp_ne_u16_sdwa vcc, v28, s87 src0_sel:BYTE_0 src1_sel:DWORD
	v_bfrev_b32_e32 v33, 1
	s_and_saveexec_b64 s[34:35], vcc
	s_cbranch_execz .LBB2_994
; %bb.991:                              ;   in Loop: Header=BB2_849 Depth=3
	v_bfe_u32 v34, v9, 16, 7
	v_cmp_ne_u32_e32 vcc, s85, v34
	v_mov_b32_e32 v33, 0x7f800001
	s_and_saveexec_b64 s[36:37], vcc
	s_cbranch_execz .LBB2_993
; %bb.992:                              ;   in Loop: Header=BB2_849 Depth=3
	v_and_b32_e32 v35, 7, v28
	v_ffbh_u32_e32 v33, v35
	v_min_u32_e32 v50, 32, v33
	v_subrev_u32_e32 v33, 28, v50
	v_lshrrev_b32_e32 v48, 3, v34
	v_cmp_gt_u32_e32 vcc, 8, v34
	v_lshlrev_b64 v[33:34], v33, v[28:29]
	v_sub_u32_e32 v34, 29, v50
	v_and_b32_e32 v33, 7, v33
	v_cndmask_b32_e32 v34, v48, v34, vcc
	v_cndmask_b32_e32 v33, v35, v33, vcc
	v_lshlrev_b32_e32 v28, 24, v28
	v_lshlrev_b32_e32 v33, 20, v33
	v_and_b32_e32 v28, 0x80000000, v28
	v_lshl_add_u32 v34, v34, 23, v17
	v_or3_b32 v33, v28, v34, v33
.LBB2_993:                              ;   in Loop: Header=BB2_849 Depth=3
	s_or_b64 exec, exec, s[36:37]
.LBB2_994:                              ;   in Loop: Header=BB2_849 Depth=3
	s_or_b64 exec, exec, s[34:35]
.LBB2_995:                              ;   in Loop: Header=BB2_849 Depth=3
	s_or_b64 exec, exec, s[28:29]
	v_mul_f32_e32 v35, v19, v33
	v_and_b32_e32 v28, 0x7f800000, v35
	v_cmp_ne_u64_e32 vcc, s[76:77], v[28:29]
                                        ; implicit-def: $vgpr33
	s_and_saveexec_b64 s[28:29], vcc
	s_xor_b64 s[34:35], exec, s[28:29]
	s_cbranch_execz .LBB2_1009
; %bb.996:                              ;   in Loop: Header=BB2_849 Depth=3
	v_and_b32_e32 v28, 0x7fffffff, v35
	v_cmp_gt_u64_e32 vcc, s[78:79], v[28:29]
	v_and_b32_sdwa v34, v35, s87 dst_sel:DWORD dst_unused:UNUSED_PAD src0_sel:BYTE_3 src1_sel:DWORD
                                        ; implicit-def: $vgpr33
	s_and_saveexec_b64 s[28:29], vcc
	s_xor_b64 s[36:37], exec, s[28:29]
	s_cbranch_execz .LBB2_1006
; %bb.997:                              ;   in Loop: Header=BB2_849 Depth=3
	v_mov_b32_e32 v33, 0
	v_cmp_ne_u32_e32 vcc, 0, v35
	s_and_saveexec_b64 s[38:39], vcc
	s_cbranch_execz .LBB2_1005
; %bb.998:                              ;   in Loop: Header=BB2_849 Depth=3
	v_bfe_u32 v33, v35, 23, 8
	v_and_b32_e32 v28, 0x7fffff, v35
	v_cmp_gt_u32_e64 s[28:29], s96, v33
	v_sub_u32_e32 v35, 0x79, v33
	v_cmp_eq_u32_e32 vcc, 0, v33
	v_cndmask_b32_e64 v35, 0, v35, s[28:29]
	v_or_b32_e32 v48, 0x800000, v28
	v_cndmask_b32_e32 v35, v35, v36, vcc
	v_cndmask_b32_e32 v28, v48, v28, vcc
	v_add_u32_e32 v48, 20, v35
	v_lshlrev_b64 v[50:51], v48, -1
	v_add_u32_e32 v48, 19, v35
	v_lshlrev_b64 v[52:53], v48, 1
	v_lshrrev_b64 v[42:43], v35, v[28:29]
	v_bfi_b32 v51, v51, 0, 0
	v_bfi_b32 v50, v50, 0, v28
	v_cmp_eq_u64_e64 s[28:29], v[50:51], v[52:53]
	v_mov_b32_e32 v44, v43
	v_mov_b32_e32 v43, v42
	s_and_saveexec_b64 s[48:49], s[28:29]
; %bb.999:                              ;   in Loop: Header=BB2_849 Depth=3
	v_bfe_u32 v28, v42, 20, 1
	v_add_co_u32_e64 v28, s[28:29], v42, v28
	v_add_co_u32_e64 v43, s[28:29], -1, v28
; %bb.1000:                             ;   in Loop: Header=BB2_849 Depth=3
	s_or_b64 exec, exec, s[48:49]
	v_add_u32_e32 v28, 0xffffff81, v33
	v_cndmask_b32_e32 v28, v28, v37, vcc
	v_lshrrev_b32_e32 v33, 23, v42
	v_add3_u32 v48, v35, v28, v33
	v_add_u32_e32 v35, 6, v48
	v_and_b32_e32 v28, 0xfffff, v43
	v_add_u32_e32 v28, v28, v42
	v_cmp_ne_u32_e32 vcc, 0, v35
                                        ; implicit-def: $vgpr42_vgpr43
                                        ; implicit-def: $vgpr33
	s_and_saveexec_b64 s[28:29], vcc
	s_xor_b64 s[28:29], exec, s[28:29]
; %bb.1001:                             ;   in Loop: Header=BB2_849 Depth=3
	v_cmp_lt_u64_e32 vcc, s[88:89], v[28:29]
	v_add_u32_e32 v33, 7, v48
	v_cndmask_b32_e32 v33, v35, v33, vcc
	v_cndmask_b32_e64 v35, 0, 1, vcc
	v_lshrrev_b64 v[42:43], v35, v[28:29]
; %bb.1002:                             ;   in Loop: Header=BB2_849 Depth=3
	s_andn2_saveexec_b64 s[28:29], s[28:29]
; %bb.1003:                             ;   in Loop: Header=BB2_849 Depth=3
	v_mov_b32_e32 v43, v29
	v_bfe_u32 v33, v28, 23, 1
	v_mov_b32_e32 v42, v28
; %bb.1004:                             ;   in Loop: Header=BB2_849 Depth=3
	s_or_b64 exec, exec, s[28:29]
	v_lshrrev_b64 v[50:51], 20, v[42:43]
	v_cmp_gt_i32_e32 vcc, 16, v33
	v_cndmask_b32_e32 v51, 0, v51, vcc
	v_cndmask_b32_e32 v50, 7, v50, vcc
	v_min_i32_e32 v28, 15, v33
	v_cmp_eq_u64_e64 s[28:29], 0, v[50:51]
	v_lshlrev_b32_e32 v28, 3, v28
	v_cmp_eq_u32_e32 vcc, 0, v33
	v_and_b32_e32 v28, 0xf8, v28
	v_and_or_b32 v28, v50, 7, v28
	s_and_b64 s[28:29], vcc, s[28:29]
	v_cndmask_b32_e64 v28, v28, 0, s[28:29]
	v_or_b32_e32 v33, v28, v34
.LBB2_1005:                             ;   in Loop: Header=BB2_849 Depth=3
	s_or_b64 exec, exec, s[38:39]
                                        ; implicit-def: $vgpr34
.LBB2_1006:                             ;   in Loop: Header=BB2_849 Depth=3
	s_andn2_saveexec_b64 s[28:29], s[36:37]
; %bb.1007:                             ;   in Loop: Header=BB2_849 Depth=3
	v_or_b32_e32 v33, 0x7e, v34
; %bb.1008:                             ;   in Loop: Header=BB2_849 Depth=3
	s_or_b64 exec, exec, s[28:29]
                                        ; implicit-def: $vgpr35
.LBB2_1009:                             ;   in Loop: Header=BB2_849 Depth=3
	s_andn2_saveexec_b64 s[28:29], s[34:35]
; %bb.1010:                             ;   in Loop: Header=BB2_849 Depth=3
	v_or_b32_sdwa v33, v35, s85 dst_sel:DWORD dst_unused:UNUSED_PAD src0_sel:BYTE_3 src1_sel:DWORD
; %bb.1011:                             ;   in Loop: Header=BB2_849 Depth=3
	s_or_b64 exec, exec, s[28:29]
	v_cmp_lt_u64_e32 vcc, s[56:57], v[8:9]
	v_mov_b32_e32 v28, 0
	s_and_saveexec_b64 s[28:29], vcc
	s_cbranch_execz .LBB2_1017
; %bb.1012:                             ;   in Loop: Header=BB2_849 Depth=3
	v_lshrrev_b32_e32 v8, 24, v9
	v_cmp_ne_u32_e32 vcc, s87, v8
	v_bfrev_b32_e32 v28, 1
	s_and_saveexec_b64 s[34:35], vcc
	s_cbranch_execz .LBB2_1016
; %bb.1013:                             ;   in Loop: Header=BB2_849 Depth=3
	v_bfe_u32 v9, v9, 24, 7
	v_cmp_ne_u32_e32 vcc, s85, v9
	v_mov_b32_e32 v28, 0x7f800001
	s_and_saveexec_b64 s[36:37], vcc
	s_cbranch_execz .LBB2_1015
; %bb.1014:                             ;   in Loop: Header=BB2_849 Depth=3
	v_and_b32_e32 v28, 7, v8
	v_lshrrev_b32_e32 v48, 3, v9
	v_cmp_gt_u32_e32 vcc, 8, v9
	v_ffbh_u32_e32 v9, v28
	v_min_u32_e32 v9, 32, v9
	v_subrev_u32_e32 v34, 28, v9
	v_lshlrev_b64 v[34:35], v34, v[8:9]
	v_sub_u32_e32 v9, 29, v9
	v_and_b32_e32 v34, 7, v34
	v_cndmask_b32_e32 v9, v48, v9, vcc
	v_cndmask_b32_e32 v28, v28, v34, vcc
	v_lshlrev_b32_e32 v8, 24, v8
	v_lshlrev_b32_e32 v28, 20, v28
	v_and_b32_e32 v8, 0x80000000, v8
	v_lshl_add_u32 v9, v9, 23, v17
	v_or3_b32 v28, v8, v9, v28
.LBB2_1015:                             ;   in Loop: Header=BB2_849 Depth=3
	s_or_b64 exec, exec, s[36:37]
.LBB2_1016:                             ;   in Loop: Header=BB2_849 Depth=3
	s_or_b64 exec, exec, s[34:35]
.LBB2_1017:                             ;   in Loop: Header=BB2_849 Depth=3
	s_or_b64 exec, exec, s[28:29]
	v_mul_f32_e32 v8, v19, v28
	v_and_b32_e32 v28, 0x7f800000, v8
	v_cmp_ne_u64_e32 vcc, s[76:77], v[28:29]
                                        ; implicit-def: $vgpr34
	s_and_saveexec_b64 s[28:29], vcc
	s_xor_b64 s[34:35], exec, s[28:29]
	s_cbranch_execz .LBB2_1031
; %bb.1018:                             ;   in Loop: Header=BB2_849 Depth=3
	v_and_b32_e32 v28, 0x7fffffff, v8
	v_cmp_gt_u64_e32 vcc, s[78:79], v[28:29]
	v_and_b32_sdwa v35, v8, s87 dst_sel:DWORD dst_unused:UNUSED_PAD src0_sel:BYTE_3 src1_sel:DWORD
                                        ; implicit-def: $vgpr34
	s_and_saveexec_b64 s[28:29], vcc
	s_xor_b64 s[36:37], exec, s[28:29]
	s_cbranch_execz .LBB2_1028
; %bb.1019:                             ;   in Loop: Header=BB2_849 Depth=3
	v_mov_b32_e32 v34, 0
	v_cmp_ne_u32_e32 vcc, 0, v8
	s_and_saveexec_b64 s[38:39], vcc
	s_cbranch_execz .LBB2_1027
; %bb.1020:                             ;   in Loop: Header=BB2_849 Depth=3
	v_bfe_u32 v34, v8, 23, 8
	v_and_b32_e32 v9, 0x7fffff, v8
	v_cmp_gt_u32_e64 s[28:29], s96, v34
	v_sub_u32_e32 v8, 0x79, v34
	v_cmp_eq_u32_e32 vcc, 0, v34
	v_cndmask_b32_e64 v8, 0, v8, s[28:29]
	v_cndmask_b32_e32 v48, v8, v36, vcc
	v_or_b32_e32 v28, 0x800000, v9
	v_add_u32_e32 v8, 20, v48
	v_cndmask_b32_e32 v28, v28, v9, vcc
	v_lshlrev_b64 v[8:9], v8, -1
	v_add_u32_e32 v50, 19, v48
	v_lshlrev_b64 v[50:51], v50, 1
	v_bfi_b32 v9, v9, 0, 0
	v_bfi_b32 v8, v8, 0, v28
	v_cmp_eq_u64_e64 s[28:29], v[8:9], v[50:51]
	v_lshrrev_b64 v[8:9], v48, v[28:29]
	v_mov_b32_e32 v43, v9
	v_mov_b32_e32 v42, v8
	s_and_saveexec_b64 s[48:49], s[28:29]
; %bb.1021:                             ;   in Loop: Header=BB2_849 Depth=3
	v_bfe_u32 v9, v8, 20, 1
	v_add_co_u32_e64 v9, s[28:29], v8, v9
	v_add_co_u32_e64 v42, s[28:29], -1, v9
; %bb.1022:                             ;   in Loop: Header=BB2_849 Depth=3
	s_or_b64 exec, exec, s[48:49]
	v_add_u32_e32 v9, 0xffffff81, v34
	v_cndmask_b32_e32 v9, v9, v37, vcc
	v_lshrrev_b32_e32 v28, 23, v8
	v_add3_u32 v50, v48, v9, v28
	v_add_u32_e32 v48, 6, v50
	v_and_b32_e32 v9, 0xfffff, v42
	v_add_u32_e32 v28, v9, v8
	v_cmp_ne_u32_e32 vcc, 0, v48
                                        ; implicit-def: $vgpr8_vgpr9
                                        ; implicit-def: $vgpr34
	s_and_saveexec_b64 s[28:29], vcc
	s_xor_b64 s[28:29], exec, s[28:29]
; %bb.1023:                             ;   in Loop: Header=BB2_849 Depth=3
	v_cmp_lt_u64_e32 vcc, s[88:89], v[28:29]
	v_add_u32_e32 v8, 7, v50
	v_cndmask_b32_e32 v34, v48, v8, vcc
	v_cndmask_b32_e64 v8, 0, 1, vcc
	v_lshrrev_b64 v[8:9], v8, v[28:29]
; %bb.1024:                             ;   in Loop: Header=BB2_849 Depth=3
	s_andn2_saveexec_b64 s[28:29], s[28:29]
; %bb.1025:                             ;   in Loop: Header=BB2_849 Depth=3
	v_mov_b32_e32 v8, v28
	v_bfe_u32 v34, v28, 23, 1
	v_mov_b32_e32 v9, v29
; %bb.1026:                             ;   in Loop: Header=BB2_849 Depth=3
	s_or_b64 exec, exec, s[28:29]
	v_lshrrev_b64 v[8:9], 20, v[8:9]
	v_cmp_gt_i32_e32 vcc, 16, v34
	v_cndmask_b32_e32 v9, 0, v9, vcc
	v_cndmask_b32_e32 v8, 7, v8, vcc
	v_cmp_eq_u64_e64 s[28:29], 0, v[8:9]
	v_min_i32_e32 v9, 15, v34
	v_lshlrev_b32_e32 v9, 3, v9
	v_cmp_eq_u32_e32 vcc, 0, v34
	v_and_b32_e32 v9, 0xf8, v9
	v_and_or_b32 v8, v8, 7, v9
	s_and_b64 s[28:29], vcc, s[28:29]
	v_cndmask_b32_e64 v8, v8, 0, s[28:29]
	v_or_b32_e32 v34, v8, v35
.LBB2_1027:                             ;   in Loop: Header=BB2_849 Depth=3
	s_or_b64 exec, exec, s[38:39]
                                        ; implicit-def: $vgpr35
.LBB2_1028:                             ;   in Loop: Header=BB2_849 Depth=3
	s_andn2_saveexec_b64 s[28:29], s[36:37]
; %bb.1029:                             ;   in Loop: Header=BB2_849 Depth=3
	v_or_b32_e32 v34, 0x7e, v35
; %bb.1030:                             ;   in Loop: Header=BB2_849 Depth=3
	s_or_b64 exec, exec, s[28:29]
                                        ; implicit-def: $vgpr8
.LBB2_1031:                             ;   in Loop: Header=BB2_849 Depth=3
	s_andn2_saveexec_b64 s[28:29], s[34:35]
; %bb.1032:                             ;   in Loop: Header=BB2_849 Depth=3
	v_or_b32_sdwa v34, v8, s85 dst_sel:DWORD dst_unused:UNUSED_PAD src0_sel:BYTE_3 src1_sel:DWORD
; %bb.1033:                             ;   in Loop: Header=BB2_849 Depth=3
	s_or_b64 exec, exec, s[28:29]
	v_cmp_ne_u16_sdwa vcc, v10, v29 src0_sel:BYTE_0 src1_sel:DWORD
	v_mov_b32_e32 v8, 0
	s_and_saveexec_b64 s[28:29], vcc
	s_cbranch_execz .LBB2_1039
; %bb.1034:                             ;   in Loop: Header=BB2_849 Depth=3
	v_cmp_ne_u16_sdwa vcc, v10, s87 src0_sel:BYTE_0 src1_sel:DWORD
	v_bfrev_b32_e32 v8, 1
	s_and_saveexec_b64 s[34:35], vcc
	s_cbranch_execz .LBB2_1038
; %bb.1035:                             ;   in Loop: Header=BB2_849 Depth=3
	v_and_b32_e32 v9, 0x7f, v10
	v_cmp_ne_u32_e32 vcc, s85, v9
	v_mov_b32_e32 v8, 0x7f800001
	s_and_saveexec_b64 s[36:37], vcc
	s_cbranch_execz .LBB2_1037
; %bb.1036:                             ;   in Loop: Header=BB2_849 Depth=3
	v_and_b32_e32 v8, 7, v10
	v_ffbh_u32_e32 v8, v8
	v_min_u32_e32 v8, 32, v8
	v_lshrrev_b32_e32 v28, 3, v9
	v_cmp_gt_u32_e32 vcc, 8, v9
	v_subrev_u32_e32 v9, 28, v8
	v_sub_u32_e32 v8, 29, v8
	v_cndmask_b32_e32 v28, v28, v8, vcc
	v_cndmask_b32_e32 v8, 0, v9, vcc
	v_lshlrev_b64 v[8:9], v8, v[10:11]
	v_lshlrev_b32_e32 v9, 24, v10
	v_lshlrev_b32_e32 v8, 20, v8
	v_and_b32_e32 v8, 0x700000, v8
	v_and_b32_e32 v9, 0x80000000, v9
	v_lshl_add_u32 v28, v28, 23, v17
	v_or3_b32 v8, v9, v28, v8
.LBB2_1037:                             ;   in Loop: Header=BB2_849 Depth=3
	s_or_b64 exec, exec, s[36:37]
.LBB2_1038:                             ;   in Loop: Header=BB2_849 Depth=3
	s_or_b64 exec, exec, s[34:35]
.LBB2_1039:                             ;   in Loop: Header=BB2_849 Depth=3
	s_or_b64 exec, exec, s[28:29]
	v_mul_f32_e32 v8, v19, v8
	v_and_b32_e32 v28, 0x7f800000, v8
	v_cmp_ne_u64_e32 vcc, s[76:77], v[28:29]
                                        ; implicit-def: $vgpr35
	s_and_saveexec_b64 s[28:29], vcc
	s_xor_b64 s[34:35], exec, s[28:29]
	s_cbranch_execz .LBB2_1053
; %bb.1040:                             ;   in Loop: Header=BB2_849 Depth=3
	v_and_b32_e32 v28, 0x7fffffff, v8
	v_cmp_gt_u64_e32 vcc, s[78:79], v[28:29]
	v_and_b32_sdwa v48, v8, s87 dst_sel:DWORD dst_unused:UNUSED_PAD src0_sel:BYTE_3 src1_sel:DWORD
                                        ; implicit-def: $vgpr35
	s_and_saveexec_b64 s[28:29], vcc
	s_xor_b64 s[36:37], exec, s[28:29]
	s_cbranch_execz .LBB2_1050
; %bb.1041:                             ;   in Loop: Header=BB2_849 Depth=3
	v_mov_b32_e32 v35, 0
	v_cmp_ne_u32_e32 vcc, 0, v8
	s_and_saveexec_b64 s[38:39], vcc
	s_cbranch_execz .LBB2_1049
; %bb.1042:                             ;   in Loop: Header=BB2_849 Depth=3
	v_bfe_u32 v35, v8, 23, 8
	v_and_b32_e32 v9, 0x7fffff, v8
	v_cmp_gt_u32_e64 s[28:29], s96, v35
	v_sub_u32_e32 v8, 0x79, v35
	v_cmp_eq_u32_e32 vcc, 0, v35
	v_cndmask_b32_e64 v8, 0, v8, s[28:29]
	v_cndmask_b32_e32 v50, v8, v36, vcc
	v_or_b32_e32 v28, 0x800000, v9
	v_add_u32_e32 v8, 20, v50
	v_cndmask_b32_e32 v28, v28, v9, vcc
	v_lshlrev_b64 v[8:9], v8, -1
	v_add_u32_e32 v51, 19, v50
	v_lshlrev_b64 v[51:52], v51, 1
	v_bfi_b32 v9, v9, 0, 0
	v_bfi_b32 v8, v8, 0, v28
	v_cmp_eq_u64_e64 s[28:29], v[8:9], v[51:52]
	v_lshrrev_b64 v[8:9], v50, v[28:29]
	v_mov_b32_e32 v43, v9
	v_mov_b32_e32 v42, v8
	s_and_saveexec_b64 s[48:49], s[28:29]
; %bb.1043:                             ;   in Loop: Header=BB2_849 Depth=3
	v_bfe_u32 v9, v8, 20, 1
	v_add_co_u32_e64 v9, s[28:29], v8, v9
	v_add_co_u32_e64 v42, s[28:29], -1, v9
; %bb.1044:                             ;   in Loop: Header=BB2_849 Depth=3
	s_or_b64 exec, exec, s[48:49]
	v_add_u32_e32 v9, 0xffffff81, v35
	v_cndmask_b32_e32 v9, v9, v37, vcc
	v_lshrrev_b32_e32 v28, 23, v8
	v_add3_u32 v51, v50, v9, v28
	v_add_u32_e32 v50, 6, v51
	v_and_b32_e32 v9, 0xfffff, v42
	v_add_u32_e32 v28, v9, v8
	v_cmp_ne_u32_e32 vcc, 0, v50
                                        ; implicit-def: $vgpr8_vgpr9
                                        ; implicit-def: $vgpr35
	s_and_saveexec_b64 s[28:29], vcc
	s_xor_b64 s[28:29], exec, s[28:29]
; %bb.1045:                             ;   in Loop: Header=BB2_849 Depth=3
	v_cmp_lt_u64_e32 vcc, s[88:89], v[28:29]
	v_add_u32_e32 v8, 7, v51
	v_cndmask_b32_e32 v35, v50, v8, vcc
	v_cndmask_b32_e64 v8, 0, 1, vcc
	v_lshrrev_b64 v[8:9], v8, v[28:29]
; %bb.1046:                             ;   in Loop: Header=BB2_849 Depth=3
	s_andn2_saveexec_b64 s[28:29], s[28:29]
; %bb.1047:                             ;   in Loop: Header=BB2_849 Depth=3
	v_mov_b32_e32 v8, v28
	v_bfe_u32 v35, v28, 23, 1
	v_mov_b32_e32 v9, v29
; %bb.1048:                             ;   in Loop: Header=BB2_849 Depth=3
	s_or_b64 exec, exec, s[28:29]
	v_lshrrev_b64 v[8:9], 20, v[8:9]
	v_cmp_gt_i32_e32 vcc, 16, v35
	v_cndmask_b32_e32 v9, 0, v9, vcc
	v_cndmask_b32_e32 v8, 7, v8, vcc
	v_cmp_eq_u64_e64 s[28:29], 0, v[8:9]
	v_min_i32_e32 v9, 15, v35
	v_lshlrev_b32_e32 v9, 3, v9
	v_cmp_eq_u32_e32 vcc, 0, v35
	v_and_b32_e32 v9, 0xf8, v9
	v_and_or_b32 v8, v8, 7, v9
	s_and_b64 s[28:29], vcc, s[28:29]
	v_cndmask_b32_e64 v8, v8, 0, s[28:29]
	v_or_b32_e32 v35, v8, v48
.LBB2_1049:                             ;   in Loop: Header=BB2_849 Depth=3
	s_or_b64 exec, exec, s[38:39]
                                        ; implicit-def: $vgpr48
.LBB2_1050:                             ;   in Loop: Header=BB2_849 Depth=3
	s_andn2_saveexec_b64 s[28:29], s[36:37]
; %bb.1051:                             ;   in Loop: Header=BB2_849 Depth=3
	v_or_b32_e32 v35, 0x7e, v48
; %bb.1052:                             ;   in Loop: Header=BB2_849 Depth=3
	s_or_b64 exec, exec, s[28:29]
                                        ; implicit-def: $vgpr8
.LBB2_1053:                             ;   in Loop: Header=BB2_849 Depth=3
	s_andn2_saveexec_b64 s[28:29], s[34:35]
; %bb.1054:                             ;   in Loop: Header=BB2_849 Depth=3
	v_or_b32_sdwa v35, v8, s85 dst_sel:DWORD dst_unused:UNUSED_PAD src0_sel:BYTE_3 src1_sel:DWORD
; %bb.1055:                             ;   in Loop: Header=BB2_849 Depth=3
	s_or_b64 exec, exec, s[28:29]
	v_lshrrev_b16_e32 v8, 8, v10
	v_cmp_ne_u16_e32 vcc, 0, v8
	v_mov_b32_e32 v9, 0
	s_and_saveexec_b64 s[28:29], vcc
	s_cbranch_execz .LBB2_1061
; %bb.1056:                             ;   in Loop: Header=BB2_849 Depth=3
	v_cmp_ne_u16_e32 vcc, s87, v8
	v_bfrev_b32_e32 v9, 1
	s_and_saveexec_b64 s[34:35], vcc
	s_cbranch_execz .LBB2_1060
; %bb.1057:                             ;   in Loop: Header=BB2_849 Depth=3
	v_and_b32_e32 v28, 0x7f, v8
	v_cmp_ne_u32_e32 vcc, s85, v28
	v_mov_b32_e32 v9, 0x7f800001
	s_and_saveexec_b64 s[36:37], vcc
	s_cbranch_execz .LBB2_1059
; %bb.1058:                             ;   in Loop: Header=BB2_849 Depth=3
	v_and_b32_e32 v48, 7, v8
	v_ffbh_u32_e32 v9, v48
	v_lshrrev_b32_e32 v50, 3, v28
	v_cmp_gt_u32_e32 vcc, 8, v28
	v_min_u32_e32 v28, 32, v9
	v_subrev_u32_e32 v9, 28, v28
	v_lshlrev_b64 v[8:9], v9, v[8:9]
	v_sub_u32_e32 v9, 29, v28
	v_and_b32_e32 v8, 7, v8
	v_cndmask_b32_e32 v9, v50, v9, vcc
	v_cndmask_b32_e32 v8, v48, v8, vcc
	v_lshlrev_b32_e32 v28, 16, v10
	v_lshlrev_b32_e32 v8, 20, v8
	v_and_b32_e32 v28, 0x80000000, v28
	v_lshl_add_u32 v9, v9, 23, v17
	v_or3_b32 v9, v28, v9, v8
.LBB2_1059:                             ;   in Loop: Header=BB2_849 Depth=3
	s_or_b64 exec, exec, s[36:37]
.LBB2_1060:                             ;   in Loop: Header=BB2_849 Depth=3
	s_or_b64 exec, exec, s[34:35]
.LBB2_1061:                             ;   in Loop: Header=BB2_849 Depth=3
	s_or_b64 exec, exec, s[28:29]
	v_mul_f32_e32 v8, v19, v9
	v_and_b32_e32 v28, 0x7f800000, v8
	v_cmp_ne_u64_e32 vcc, s[76:77], v[28:29]
                                        ; implicit-def: $vgpr51
	s_and_saveexec_b64 s[28:29], vcc
	s_xor_b64 s[34:35], exec, s[28:29]
	s_cbranch_execz .LBB2_1075
; %bb.1062:                             ;   in Loop: Header=BB2_849 Depth=3
	v_and_b32_e32 v28, 0x7fffffff, v8
	v_cmp_gt_u64_e32 vcc, s[78:79], v[28:29]
	v_and_b32_sdwa v48, v8, s87 dst_sel:DWORD dst_unused:UNUSED_PAD src0_sel:BYTE_3 src1_sel:DWORD
                                        ; implicit-def: $vgpr51
	s_and_saveexec_b64 s[28:29], vcc
	s_xor_b64 s[36:37], exec, s[28:29]
	s_cbranch_execz .LBB2_1072
; %bb.1063:                             ;   in Loop: Header=BB2_849 Depth=3
	v_mov_b32_e32 v51, 0
	v_cmp_ne_u32_e32 vcc, 0, v8
	s_and_saveexec_b64 s[38:39], vcc
	s_cbranch_execz .LBB2_1071
; %bb.1064:                             ;   in Loop: Header=BB2_849 Depth=3
	v_bfe_u32 v50, v8, 23, 8
	v_and_b32_e32 v9, 0x7fffff, v8
	v_cmp_gt_u32_e64 s[28:29], s96, v50
	v_sub_u32_e32 v8, 0x79, v50
	v_cmp_eq_u32_e32 vcc, 0, v50
	v_cndmask_b32_e64 v8, 0, v8, s[28:29]
	v_cndmask_b32_e32 v51, v8, v36, vcc
	v_or_b32_e32 v28, 0x800000, v9
	v_add_u32_e32 v8, 20, v51
	v_cndmask_b32_e32 v28, v28, v9, vcc
	v_lshlrev_b64 v[8:9], v8, -1
	v_add_u32_e32 v52, 19, v51
	v_lshlrev_b64 v[52:53], v52, 1
	v_bfi_b32 v9, v9, 0, 0
	v_bfi_b32 v8, v8, 0, v28
	v_cmp_eq_u64_e64 s[28:29], v[8:9], v[52:53]
	v_lshrrev_b64 v[8:9], v51, v[28:29]
	v_mov_b32_e32 v43, v9
	v_mov_b32_e32 v42, v8
	s_and_saveexec_b64 s[48:49], s[28:29]
; %bb.1065:                             ;   in Loop: Header=BB2_849 Depth=3
	v_bfe_u32 v9, v8, 20, 1
	v_add_co_u32_e64 v9, s[28:29], v8, v9
	v_add_co_u32_e64 v42, s[28:29], -1, v9
; %bb.1066:                             ;   in Loop: Header=BB2_849 Depth=3
	s_or_b64 exec, exec, s[48:49]
	v_add_u32_e32 v9, 0xffffff81, v50
	v_cndmask_b32_e32 v9, v9, v37, vcc
	v_lshrrev_b32_e32 v28, 23, v8
	v_add3_u32 v52, v51, v9, v28
	v_add_u32_e32 v51, 6, v52
	v_and_b32_e32 v9, 0xfffff, v42
	v_add_u32_e32 v28, v9, v8
	v_cmp_ne_u32_e32 vcc, 0, v51
                                        ; implicit-def: $vgpr8_vgpr9
                                        ; implicit-def: $vgpr50
	s_and_saveexec_b64 s[28:29], vcc
	s_xor_b64 s[28:29], exec, s[28:29]
; %bb.1067:                             ;   in Loop: Header=BB2_849 Depth=3
	v_cmp_lt_u64_e32 vcc, s[88:89], v[28:29]
	v_add_u32_e32 v8, 7, v52
	v_cndmask_b32_e32 v50, v51, v8, vcc
	v_cndmask_b32_e64 v8, 0, 1, vcc
	v_lshrrev_b64 v[8:9], v8, v[28:29]
; %bb.1068:                             ;   in Loop: Header=BB2_849 Depth=3
	s_andn2_saveexec_b64 s[28:29], s[28:29]
; %bb.1069:                             ;   in Loop: Header=BB2_849 Depth=3
	v_mov_b32_e32 v8, v28
	v_bfe_u32 v50, v28, 23, 1
	v_mov_b32_e32 v9, v29
; %bb.1070:                             ;   in Loop: Header=BB2_849 Depth=3
	s_or_b64 exec, exec, s[28:29]
	v_lshrrev_b64 v[8:9], 20, v[8:9]
	v_cmp_gt_i32_e32 vcc, 16, v50
	v_cndmask_b32_e32 v9, 0, v9, vcc
	v_cndmask_b32_e32 v8, 7, v8, vcc
	v_cmp_eq_u64_e64 s[28:29], 0, v[8:9]
	v_min_i32_e32 v9, 15, v50
	v_lshlrev_b32_e32 v9, 3, v9
	v_cmp_eq_u32_e32 vcc, 0, v50
	v_and_b32_e32 v9, 0xf8, v9
	v_and_or_b32 v8, v8, 7, v9
	s_and_b64 s[28:29], vcc, s[28:29]
	v_cndmask_b32_e64 v8, v8, 0, s[28:29]
	v_or_b32_e32 v51, v8, v48
.LBB2_1071:                             ;   in Loop: Header=BB2_849 Depth=3
	s_or_b64 exec, exec, s[38:39]
                                        ; implicit-def: $vgpr48
.LBB2_1072:                             ;   in Loop: Header=BB2_849 Depth=3
	s_andn2_saveexec_b64 s[28:29], s[36:37]
; %bb.1073:                             ;   in Loop: Header=BB2_849 Depth=3
	v_or_b32_e32 v51, 0x7e, v48
; %bb.1074:                             ;   in Loop: Header=BB2_849 Depth=3
	s_or_b64 exec, exec, s[28:29]
                                        ; implicit-def: $vgpr8
.LBB2_1075:                             ;   in Loop: Header=BB2_849 Depth=3
	s_andn2_saveexec_b64 s[28:29], s[34:35]
; %bb.1076:                             ;   in Loop: Header=BB2_849 Depth=3
	v_or_b32_sdwa v51, v8, s85 dst_sel:DWORD dst_unused:UNUSED_PAD src0_sel:BYTE_3 src1_sel:DWORD
; %bb.1077:                             ;   in Loop: Header=BB2_849 Depth=3
	s_or_b64 exec, exec, s[28:29]
	v_lshrrev_b32_e32 v8, 16, v10
	v_cmp_ne_u16_sdwa vcc, v8, v29 src0_sel:BYTE_0 src1_sel:DWORD
	v_mov_b32_e32 v9, 0
	s_and_saveexec_b64 s[28:29], vcc
	s_cbranch_execz .LBB2_1083
; %bb.1078:                             ;   in Loop: Header=BB2_849 Depth=3
	v_cmp_ne_u16_sdwa vcc, v8, s87 src0_sel:BYTE_0 src1_sel:DWORD
	v_bfrev_b32_e32 v9, 1
	s_and_saveexec_b64 s[34:35], vcc
	s_cbranch_execz .LBB2_1082
; %bb.1079:                             ;   in Loop: Header=BB2_849 Depth=3
	v_bfe_u32 v28, v10, 16, 7
	v_cmp_ne_u32_e32 vcc, s85, v28
	v_mov_b32_e32 v9, 0x7f800001
	s_and_saveexec_b64 s[36:37], vcc
	s_cbranch_execz .LBB2_1081
; %bb.1080:                             ;   in Loop: Header=BB2_849 Depth=3
	v_and_b32_e32 v9, 7, v8
	v_lshrrev_b32_e32 v48, 3, v28
	v_cmp_gt_u32_e32 vcc, 8, v28
	v_ffbh_u32_e32 v28, v9
	v_min_u32_e32 v28, 32, v28
	v_subrev_u32_e32 v50, 28, v28
	v_lshlrev_b64 v[52:53], v50, v[8:9]
	v_sub_u32_e32 v28, 29, v28
	v_and_b32_e32 v50, 7, v52
	v_cndmask_b32_e32 v28, v48, v28, vcc
	v_cndmask_b32_e32 v9, v9, v50, vcc
	v_lshlrev_b32_e32 v8, 24, v8
	v_lshlrev_b32_e32 v9, 20, v9
	v_and_b32_e32 v8, 0x80000000, v8
	v_lshl_add_u32 v28, v28, 23, v17
	v_or3_b32 v9, v8, v28, v9
.LBB2_1081:                             ;   in Loop: Header=BB2_849 Depth=3
	s_or_b64 exec, exec, s[36:37]
.LBB2_1082:                             ;   in Loop: Header=BB2_849 Depth=3
	s_or_b64 exec, exec, s[34:35]
.LBB2_1083:                             ;   in Loop: Header=BB2_849 Depth=3
	s_or_b64 exec, exec, s[28:29]
	v_mul_f32_e32 v8, v19, v9
	v_and_b32_e32 v28, 0x7f800000, v8
	v_cmp_ne_u64_e32 vcc, s[76:77], v[28:29]
                                        ; implicit-def: $vgpr48
	s_and_saveexec_b64 s[28:29], vcc
	s_xor_b64 s[34:35], exec, s[28:29]
	s_cbranch_execz .LBB2_1097
; %bb.1084:                             ;   in Loop: Header=BB2_849 Depth=3
	v_and_b32_e32 v28, 0x7fffffff, v8
	v_cmp_gt_u64_e32 vcc, s[78:79], v[28:29]
	v_and_b32_sdwa v50, v8, s87 dst_sel:DWORD dst_unused:UNUSED_PAD src0_sel:BYTE_3 src1_sel:DWORD
                                        ; implicit-def: $vgpr48
	s_and_saveexec_b64 s[28:29], vcc
	s_xor_b64 s[36:37], exec, s[28:29]
	s_cbranch_execz .LBB2_1094
; %bb.1085:                             ;   in Loop: Header=BB2_849 Depth=3
	v_mov_b32_e32 v48, 0
	v_cmp_ne_u32_e32 vcc, 0, v8
	s_and_saveexec_b64 s[38:39], vcc
	s_cbranch_execz .LBB2_1093
; %bb.1086:                             ;   in Loop: Header=BB2_849 Depth=3
	v_bfe_u32 v48, v8, 23, 8
	v_and_b32_e32 v9, 0x7fffff, v8
	v_cmp_gt_u32_e64 s[28:29], s96, v48
	v_sub_u32_e32 v8, 0x79, v48
	v_cmp_eq_u32_e32 vcc, 0, v48
	v_cndmask_b32_e64 v8, 0, v8, s[28:29]
	v_cndmask_b32_e32 v52, v8, v36, vcc
	v_or_b32_e32 v28, 0x800000, v9
	v_add_u32_e32 v8, 20, v52
	v_cndmask_b32_e32 v28, v28, v9, vcc
	v_lshlrev_b64 v[8:9], v8, -1
	v_add_u32_e32 v53, 19, v52
	v_lshlrev_b64 v[42:43], v53, 1
	v_bfi_b32 v9, v9, 0, 0
	v_bfi_b32 v8, v8, 0, v28
	v_cmp_eq_u64_e64 s[28:29], v[8:9], v[42:43]
	v_lshrrev_b64 v[8:9], v52, v[28:29]
	v_mov_b32_e32 v43, v9
	v_mov_b32_e32 v42, v8
	s_and_saveexec_b64 s[48:49], s[28:29]
; %bb.1087:                             ;   in Loop: Header=BB2_849 Depth=3
	v_bfe_u32 v9, v8, 20, 1
	v_add_co_u32_e64 v9, s[28:29], v8, v9
	v_add_co_u32_e64 v42, s[28:29], -1, v9
; %bb.1088:                             ;   in Loop: Header=BB2_849 Depth=3
	s_or_b64 exec, exec, s[48:49]
	v_add_u32_e32 v9, 0xffffff81, v48
	v_cndmask_b32_e32 v9, v9, v37, vcc
	v_lshrrev_b32_e32 v28, 23, v8
	v_add3_u32 v53, v52, v9, v28
	v_add_u32_e32 v52, 6, v53
	v_and_b32_e32 v9, 0xfffff, v42
	v_add_u32_e32 v28, v9, v8
	v_cmp_ne_u32_e32 vcc, 0, v52
                                        ; implicit-def: $vgpr8_vgpr9
                                        ; implicit-def: $vgpr48
	s_and_saveexec_b64 s[28:29], vcc
	s_xor_b64 s[28:29], exec, s[28:29]
; %bb.1089:                             ;   in Loop: Header=BB2_849 Depth=3
	v_cmp_lt_u64_e32 vcc, s[88:89], v[28:29]
	v_add_u32_e32 v8, 7, v53
	v_cndmask_b32_e32 v48, v52, v8, vcc
	v_cndmask_b32_e64 v8, 0, 1, vcc
	v_lshrrev_b64 v[8:9], v8, v[28:29]
; %bb.1090:                             ;   in Loop: Header=BB2_849 Depth=3
	s_andn2_saveexec_b64 s[28:29], s[28:29]
; %bb.1091:                             ;   in Loop: Header=BB2_849 Depth=3
	v_mov_b32_e32 v8, v28
	v_bfe_u32 v48, v28, 23, 1
	v_mov_b32_e32 v9, v29
; %bb.1092:                             ;   in Loop: Header=BB2_849 Depth=3
	s_or_b64 exec, exec, s[28:29]
	v_lshrrev_b64 v[8:9], 20, v[8:9]
	v_cmp_gt_i32_e32 vcc, 16, v48
	v_cndmask_b32_e32 v9, 0, v9, vcc
	v_cndmask_b32_e32 v8, 7, v8, vcc
	v_cmp_eq_u64_e64 s[28:29], 0, v[8:9]
	v_min_i32_e32 v9, 15, v48
	v_lshlrev_b32_e32 v9, 3, v9
	v_cmp_eq_u32_e32 vcc, 0, v48
	v_and_b32_e32 v9, 0xf8, v9
	v_and_or_b32 v8, v8, 7, v9
	s_and_b64 s[28:29], vcc, s[28:29]
	v_cndmask_b32_e64 v8, v8, 0, s[28:29]
	v_or_b32_e32 v48, v8, v50
.LBB2_1093:                             ;   in Loop: Header=BB2_849 Depth=3
	s_or_b64 exec, exec, s[38:39]
                                        ; implicit-def: $vgpr50
.LBB2_1094:                             ;   in Loop: Header=BB2_849 Depth=3
	s_andn2_saveexec_b64 s[28:29], s[36:37]
; %bb.1095:                             ;   in Loop: Header=BB2_849 Depth=3
	v_or_b32_e32 v48, 0x7e, v50
; %bb.1096:                             ;   in Loop: Header=BB2_849 Depth=3
	s_or_b64 exec, exec, s[28:29]
                                        ; implicit-def: $vgpr8
.LBB2_1097:                             ;   in Loop: Header=BB2_849 Depth=3
	s_andn2_saveexec_b64 s[28:29], s[34:35]
; %bb.1098:                             ;   in Loop: Header=BB2_849 Depth=3
	v_or_b32_sdwa v48, v8, s85 dst_sel:DWORD dst_unused:UNUSED_PAD src0_sel:BYTE_3 src1_sel:DWORD
; %bb.1099:                             ;   in Loop: Header=BB2_849 Depth=3
	s_or_b64 exec, exec, s[28:29]
	v_cmp_lt_u32_e32 vcc, s57, v10
	v_mov_b32_e32 v9, 0
	s_and_saveexec_b64 s[28:29], vcc
	s_cbranch_execz .LBB2_1105
; %bb.1100:                             ;   in Loop: Header=BB2_849 Depth=3
	v_lshrrev_b32_e32 v8, 24, v10
	v_cmp_ne_u32_e32 vcc, s87, v8
	v_bfrev_b32_e32 v9, 1
	s_and_saveexec_b64 s[34:35], vcc
	s_cbranch_execz .LBB2_1104
; %bb.1101:                             ;   in Loop: Header=BB2_849 Depth=3
	v_bfe_u32 v28, v10, 24, 7
	v_cmp_ne_u32_e32 vcc, s85, v28
	v_mov_b32_e32 v9, 0x7f800001
	s_and_saveexec_b64 s[36:37], vcc
	s_cbranch_execz .LBB2_1103
; %bb.1102:                             ;   in Loop: Header=BB2_849 Depth=3
	v_and_b32_e32 v9, 7, v8
	v_lshrrev_b32_e32 v50, 3, v28
	v_cmp_gt_u32_e32 vcc, 8, v28
	v_ffbh_u32_e32 v28, v9
	v_min_u32_e32 v28, 32, v28
	v_subrev_u32_e32 v52, 28, v28
	v_lshlrev_b64 v[52:53], v52, v[8:9]
	v_sub_u32_e32 v28, 29, v28
	v_and_b32_e32 v52, 7, v52
	v_cndmask_b32_e32 v28, v50, v28, vcc
	v_cndmask_b32_e32 v9, v9, v52, vcc
	v_lshlrev_b32_e32 v8, 24, v8
	v_lshlrev_b32_e32 v9, 20, v9
	v_and_b32_e32 v8, 0x80000000, v8
	v_lshl_add_u32 v28, v28, 23, v17
	v_or3_b32 v9, v8, v28, v9
.LBB2_1103:                             ;   in Loop: Header=BB2_849 Depth=3
	s_or_b64 exec, exec, s[36:37]
.LBB2_1104:                             ;   in Loop: Header=BB2_849 Depth=3
	s_or_b64 exec, exec, s[34:35]
.LBB2_1105:                             ;   in Loop: Header=BB2_849 Depth=3
	s_or_b64 exec, exec, s[28:29]
	v_mul_f32_e32 v8, v19, v9
	v_and_b32_e32 v28, 0x7f800000, v8
	v_cmp_ne_u64_e32 vcc, s[76:77], v[28:29]
                                        ; implicit-def: $vgpr50
	s_and_saveexec_b64 s[28:29], vcc
	s_xor_b64 s[34:35], exec, s[28:29]
	s_cbranch_execz .LBB2_1119
; %bb.1106:                             ;   in Loop: Header=BB2_849 Depth=3
	v_and_b32_e32 v28, 0x7fffffff, v8
	v_cmp_gt_u64_e32 vcc, s[78:79], v[28:29]
	v_and_b32_sdwa v52, v8, s87 dst_sel:DWORD dst_unused:UNUSED_PAD src0_sel:BYTE_3 src1_sel:DWORD
                                        ; implicit-def: $vgpr50
	s_and_saveexec_b64 s[28:29], vcc
	s_xor_b64 s[36:37], exec, s[28:29]
	s_cbranch_execz .LBB2_1116
; %bb.1107:                             ;   in Loop: Header=BB2_849 Depth=3
	v_mov_b32_e32 v50, 0
	v_cmp_ne_u32_e32 vcc, 0, v8
	s_and_saveexec_b64 s[38:39], vcc
	s_cbranch_execz .LBB2_1115
; %bb.1108:                             ;   in Loop: Header=BB2_849 Depth=3
	v_bfe_u32 v50, v8, 23, 8
	v_and_b32_e32 v9, 0x7fffff, v8
	v_cmp_gt_u32_e64 s[28:29], s96, v50
	v_sub_u32_e32 v8, 0x79, v50
	v_cmp_eq_u32_e32 vcc, 0, v50
	v_cndmask_b32_e64 v8, 0, v8, s[28:29]
	v_cndmask_b32_e32 v53, v8, v36, vcc
	v_or_b32_e32 v28, 0x800000, v9
	v_add_u32_e32 v8, 20, v53
	v_cndmask_b32_e32 v28, v28, v9, vcc
	v_lshlrev_b64 v[8:9], v8, -1
	v_add_u32_e32 v42, 19, v53
	v_lshlrev_b64 v[42:43], v42, 1
	v_bfi_b32 v9, v9, 0, 0
	v_bfi_b32 v8, v8, 0, v28
	v_cmp_eq_u64_e64 s[28:29], v[8:9], v[42:43]
	v_lshrrev_b64 v[8:9], v53, v[28:29]
	v_mov_b32_e32 v43, v9
	v_mov_b32_e32 v42, v8
	s_and_saveexec_b64 s[48:49], s[28:29]
; %bb.1109:                             ;   in Loop: Header=BB2_849 Depth=3
	v_bfe_u32 v9, v8, 20, 1
	v_add_co_u32_e64 v9, s[28:29], v8, v9
	v_add_co_u32_e64 v42, s[28:29], -1, v9
; %bb.1110:                             ;   in Loop: Header=BB2_849 Depth=3
	s_or_b64 exec, exec, s[48:49]
	v_add_u32_e32 v9, 0xffffff81, v50
	v_cndmask_b32_e32 v9, v9, v37, vcc
	v_lshrrev_b32_e32 v28, 23, v8
	v_add3_u32 v43, v53, v9, v28
	v_add_u32_e32 v53, 6, v43
	v_and_b32_e32 v9, 0xfffff, v42
	v_add_u32_e32 v28, v9, v8
	v_cmp_ne_u32_e32 vcc, 0, v53
                                        ; implicit-def: $vgpr8_vgpr9
                                        ; implicit-def: $vgpr50
	s_and_saveexec_b64 s[28:29], vcc
	s_xor_b64 s[28:29], exec, s[28:29]
; %bb.1111:                             ;   in Loop: Header=BB2_849 Depth=3
	v_cmp_lt_u64_e32 vcc, s[88:89], v[28:29]
	v_add_u32_e32 v8, 7, v43
	v_cndmask_b32_e32 v50, v53, v8, vcc
	v_cndmask_b32_e64 v8, 0, 1, vcc
	v_lshrrev_b64 v[8:9], v8, v[28:29]
; %bb.1112:                             ;   in Loop: Header=BB2_849 Depth=3
	s_andn2_saveexec_b64 s[28:29], s[28:29]
; %bb.1113:                             ;   in Loop: Header=BB2_849 Depth=3
	v_mov_b32_e32 v8, v28
	v_bfe_u32 v50, v28, 23, 1
	v_mov_b32_e32 v9, v29
; %bb.1114:                             ;   in Loop: Header=BB2_849 Depth=3
	s_or_b64 exec, exec, s[28:29]
	v_lshrrev_b64 v[8:9], 20, v[8:9]
	v_cmp_gt_i32_e32 vcc, 16, v50
	v_cndmask_b32_e32 v9, 0, v9, vcc
	v_cndmask_b32_e32 v8, 7, v8, vcc
	v_cmp_eq_u64_e64 s[28:29], 0, v[8:9]
	v_min_i32_e32 v9, 15, v50
	v_lshlrev_b32_e32 v9, 3, v9
	v_cmp_eq_u32_e32 vcc, 0, v50
	v_and_b32_e32 v9, 0xf8, v9
	v_and_or_b32 v8, v8, 7, v9
	s_and_b64 s[28:29], vcc, s[28:29]
	v_cndmask_b32_e64 v8, v8, 0, s[28:29]
	v_or_b32_e32 v50, v8, v52
.LBB2_1115:                             ;   in Loop: Header=BB2_849 Depth=3
	s_or_b64 exec, exec, s[38:39]
                                        ; implicit-def: $vgpr52
.LBB2_1116:                             ;   in Loop: Header=BB2_849 Depth=3
	s_andn2_saveexec_b64 s[28:29], s[36:37]
; %bb.1117:                             ;   in Loop: Header=BB2_849 Depth=3
	v_or_b32_e32 v50, 0x7e, v52
; %bb.1118:                             ;   in Loop: Header=BB2_849 Depth=3
	s_or_b64 exec, exec, s[28:29]
                                        ; implicit-def: $vgpr8
.LBB2_1119:                             ;   in Loop: Header=BB2_849 Depth=3
	s_andn2_saveexec_b64 s[28:29], s[34:35]
; %bb.1120:                             ;   in Loop: Header=BB2_849 Depth=3
	v_or_b32_sdwa v50, v8, s85 dst_sel:DWORD dst_unused:UNUSED_PAD src0_sel:BYTE_3 src1_sel:DWORD
; %bb.1121:                             ;   in Loop: Header=BB2_849 Depth=3
	s_or_b64 exec, exec, s[28:29]
	v_mov_b32_e32 v28, v11
	v_cmp_ne_u16_sdwa vcc, v11, v29 src0_sel:BYTE_0 src1_sel:DWORD
	v_mov_b32_e32 v8, 0
	s_and_saveexec_b64 s[28:29], vcc
	s_cbranch_execz .LBB2_1127
; %bb.1122:                             ;   in Loop: Header=BB2_849 Depth=3
	v_cmp_ne_u16_sdwa vcc, v11, s87 src0_sel:BYTE_0 src1_sel:DWORD
	v_bfrev_b32_e32 v8, 1
	s_and_saveexec_b64 s[34:35], vcc
	s_cbranch_execz .LBB2_1126
; %bb.1123:                             ;   in Loop: Header=BB2_849 Depth=3
	v_and_b32_e32 v9, 0x7f, v11
	v_cmp_ne_u32_e32 vcc, s85, v9
	v_mov_b32_e32 v8, 0x7f800001
	s_and_saveexec_b64 s[36:37], vcc
	s_cbranch_execz .LBB2_1125
; %bb.1124:                             ;   in Loop: Header=BB2_849 Depth=3
	v_and_b32_e32 v8, 7, v11
	v_ffbh_u32_e32 v8, v8
	v_min_u32_e32 v8, 32, v8
	v_lshrrev_b32_e32 v52, 3, v9
	v_cmp_gt_u32_e32 vcc, 8, v9
	v_subrev_u32_e32 v9, 28, v8
	v_sub_u32_e32 v8, 29, v8
	v_cndmask_b32_e32 v52, v52, v8, vcc
	v_cndmask_b32_e32 v8, 0, v9, vcc
	v_lshlrev_b64 v[8:9], v8, v[28:29]
	v_lshlrev_b32_e32 v9, 24, v28
	v_lshlrev_b32_e32 v8, 20, v8
	v_and_b32_e32 v8, 0x700000, v8
	v_and_b32_e32 v9, 0x80000000, v9
	v_lshl_add_u32 v52, v52, 23, v17
	v_or3_b32 v8, v9, v52, v8
.LBB2_1125:                             ;   in Loop: Header=BB2_849 Depth=3
	s_or_b64 exec, exec, s[36:37]
.LBB2_1126:                             ;   in Loop: Header=BB2_849 Depth=3
	s_or_b64 exec, exec, s[34:35]
.LBB2_1127:                             ;   in Loop: Header=BB2_849 Depth=3
	s_or_b64 exec, exec, s[28:29]
	v_mul_f32_e32 v8, v19, v8
	v_and_b32_e32 v52, 0x7f800000, v8
	v_mov_b32_e32 v53, v29
	v_cmp_ne_u64_e32 vcc, s[76:77], v[52:53]
                                        ; implicit-def: $vgpr52
	s_and_saveexec_b64 s[28:29], vcc
	s_xor_b64 s[34:35], exec, s[28:29]
	s_cbranch_execz .LBB2_1141
; %bb.1128:                             ;   in Loop: Header=BB2_849 Depth=3
	v_and_b32_e32 v52, 0x7fffffff, v8
	v_mov_b32_e32 v53, v29
	v_cmp_gt_u64_e32 vcc, s[78:79], v[52:53]
	v_and_b32_sdwa v53, v8, s87 dst_sel:DWORD dst_unused:UNUSED_PAD src0_sel:BYTE_3 src1_sel:DWORD
                                        ; implicit-def: $vgpr52
	s_and_saveexec_b64 s[28:29], vcc
	s_xor_b64 s[36:37], exec, s[28:29]
	s_cbranch_execz .LBB2_1138
; %bb.1129:                             ;   in Loop: Header=BB2_849 Depth=3
	v_mov_b32_e32 v52, 0
	v_cmp_ne_u32_e32 vcc, 0, v8
	s_and_saveexec_b64 s[38:39], vcc
	s_cbranch_execz .LBB2_1137
; %bb.1130:                             ;   in Loop: Header=BB2_849 Depth=3
	v_bfe_u32 v52, v8, 23, 8
	v_and_b32_e32 v9, 0x7fffff, v8
	v_cmp_gt_u32_e64 s[28:29], s96, v52
	v_sub_u32_e32 v8, 0x79, v52
	v_cmp_eq_u32_e32 vcc, 0, v52
	v_cndmask_b32_e64 v8, 0, v8, s[28:29]
	v_or_b32_e32 v42, 0x800000, v9
	v_cndmask_b32_e32 v44, v8, v36, vcc
	v_cndmask_b32_e32 v8, v42, v9, vcc
	v_add_u32_e32 v42, 20, v44
	v_lshlrev_b64 v[42:43], v42, -1
	v_mov_b32_e32 v9, v29
	v_add_u32_e32 v45, 19, v44
	v_bfi_b32 v42, v42, 0, v8
	v_lshlrev_b64 v[45:46], v45, 1
	v_lshrrev_b64 v[8:9], v44, v[8:9]
	v_bfi_b32 v43, v43, 0, 0
	v_cmp_eq_u64_e64 s[28:29], v[42:43], v[45:46]
	v_mov_b32_e32 v43, v9
	v_mov_b32_e32 v42, v8
	s_and_saveexec_b64 s[48:49], s[28:29]
; %bb.1131:                             ;   in Loop: Header=BB2_849 Depth=3
	v_bfe_u32 v9, v8, 20, 1
	v_add_co_u32_e64 v9, s[28:29], v8, v9
	v_add_co_u32_e64 v42, s[28:29], -1, v9
; %bb.1132:                             ;   in Loop: Header=BB2_849 Depth=3
	s_or_b64 exec, exec, s[48:49]
	v_add_u32_e32 v9, 0xffffff81, v52
	v_cndmask_b32_e32 v9, v9, v37, vcc
	v_lshrrev_b32_e32 v52, 23, v8
	v_add3_u32 v44, v44, v9, v52
	v_add_u32_e32 v43, 6, v44
	v_and_b32_e32 v9, 0xfffff, v42
	v_add_u32_e32 v8, v9, v8
	v_mov_b32_e32 v9, v29
	v_cmp_ne_u32_e32 vcc, 0, v43
                                        ; implicit-def: $vgpr52
	s_and_saveexec_b64 s[28:29], vcc
	s_xor_b64 s[28:29], exec, s[28:29]
; %bb.1133:                             ;   in Loop: Header=BB2_849 Depth=3
	v_cmp_lt_u64_e32 vcc, s[88:89], v[8:9]
	v_add_u32_e32 v52, 7, v44
	v_cndmask_b32_e64 v42, 0, 1, vcc
	v_cndmask_b32_e32 v52, v43, v52, vcc
	v_lshrrev_b64 v[8:9], v42, v[8:9]
; %bb.1134:                             ;   in Loop: Header=BB2_849 Depth=3
	s_andn2_saveexec_b64 s[28:29], s[28:29]
; %bb.1135:                             ;   in Loop: Header=BB2_849 Depth=3
	v_bfe_u32 v52, v8, 23, 1
; %bb.1136:                             ;   in Loop: Header=BB2_849 Depth=3
	s_or_b64 exec, exec, s[28:29]
	v_lshrrev_b64 v[8:9], 20, v[8:9]
	v_cmp_gt_i32_e32 vcc, 16, v52
	v_cndmask_b32_e32 v9, 0, v9, vcc
	v_cndmask_b32_e32 v8, 7, v8, vcc
	v_cmp_eq_u64_e64 s[28:29], 0, v[8:9]
	v_min_i32_e32 v9, 15, v52
	v_lshlrev_b32_e32 v9, 3, v9
	v_cmp_eq_u32_e32 vcc, 0, v52
	v_and_b32_e32 v9, 0xf8, v9
	v_and_or_b32 v8, v8, 7, v9
	s_and_b64 s[28:29], vcc, s[28:29]
	v_cndmask_b32_e64 v8, v8, 0, s[28:29]
	v_or_b32_e32 v52, v8, v53
.LBB2_1137:                             ;   in Loop: Header=BB2_849 Depth=3
	s_or_b64 exec, exec, s[38:39]
                                        ; implicit-def: $vgpr53
.LBB2_1138:                             ;   in Loop: Header=BB2_849 Depth=3
	s_andn2_saveexec_b64 s[28:29], s[36:37]
; %bb.1139:                             ;   in Loop: Header=BB2_849 Depth=3
	v_or_b32_e32 v52, 0x7e, v53
; %bb.1140:                             ;   in Loop: Header=BB2_849 Depth=3
	s_or_b64 exec, exec, s[28:29]
                                        ; implicit-def: $vgpr8
.LBB2_1141:                             ;   in Loop: Header=BB2_849 Depth=3
	s_andn2_saveexec_b64 s[28:29], s[34:35]
; %bb.1142:                             ;   in Loop: Header=BB2_849 Depth=3
	v_or_b32_sdwa v52, v8, s85 dst_sel:DWORD dst_unused:UNUSED_PAD src0_sel:BYTE_3 src1_sel:DWORD
; %bb.1143:                             ;   in Loop: Header=BB2_849 Depth=3
	s_or_b64 exec, exec, s[28:29]
	v_lshrrev_b16_e32 v8, 8, v28
	v_cmp_ne_u16_e32 vcc, 0, v8
	v_mov_b32_e32 v9, 0
	s_and_saveexec_b64 s[28:29], vcc
	s_cbranch_execz .LBB2_1149
; %bb.1144:                             ;   in Loop: Header=BB2_849 Depth=3
	v_cmp_ne_u16_e32 vcc, s87, v8
	v_bfrev_b32_e32 v9, 1
	s_and_saveexec_b64 s[34:35], vcc
	s_cbranch_execz .LBB2_1148
; %bb.1145:                             ;   in Loop: Header=BB2_849 Depth=3
	v_and_b32_e32 v53, 0x7f, v8
	v_cmp_ne_u32_e32 vcc, s85, v53
	v_mov_b32_e32 v9, 0x7f800001
	s_and_saveexec_b64 s[36:37], vcc
	s_cbranch_execz .LBB2_1147
; %bb.1146:                             ;   in Loop: Header=BB2_849 Depth=3
	v_and_b32_e32 v42, 7, v8
	v_ffbh_u32_e32 v9, v42
	v_lshrrev_b32_e32 v43, 3, v53
	v_cmp_gt_u32_e32 vcc, 8, v53
	v_min_u32_e32 v53, 32, v9
	v_subrev_u32_e32 v9, 28, v53
	v_lshlrev_b64 v[8:9], v9, v[8:9]
	v_sub_u32_e32 v9, 29, v53
	v_and_b32_e32 v8, 7, v8
	v_cndmask_b32_e32 v9, v43, v9, vcc
	v_cndmask_b32_e32 v8, v42, v8, vcc
	v_lshlrev_b32_e32 v28, 16, v28
	v_lshlrev_b32_e32 v8, 20, v8
	v_and_b32_e32 v28, 0x80000000, v28
	v_lshl_add_u32 v9, v9, 23, v17
	v_or3_b32 v9, v28, v9, v8
.LBB2_1147:                             ;   in Loop: Header=BB2_849 Depth=3
	s_or_b64 exec, exec, s[36:37]
.LBB2_1148:                             ;   in Loop: Header=BB2_849 Depth=3
	s_or_b64 exec, exec, s[34:35]
.LBB2_1149:                             ;   in Loop: Header=BB2_849 Depth=3
	s_or_b64 exec, exec, s[28:29]
	v_mul_f32_e32 v8, v19, v9
	v_and_b32_e32 v28, 0x7f800000, v8
	v_cmp_ne_u64_e32 vcc, s[76:77], v[28:29]
                                        ; implicit-def: $vgpr53
	s_and_saveexec_b64 s[28:29], vcc
	s_xor_b64 s[34:35], exec, s[28:29]
	s_cbranch_execz .LBB2_1163
; %bb.1150:                             ;   in Loop: Header=BB2_849 Depth=3
	v_and_b32_e32 v28, 0x7fffffff, v8
	v_cmp_gt_u64_e32 vcc, s[78:79], v[28:29]
	v_and_b32_sdwa v44, v8, s87 dst_sel:DWORD dst_unused:UNUSED_PAD src0_sel:BYTE_3 src1_sel:DWORD
                                        ; implicit-def: $vgpr53
	s_and_saveexec_b64 s[28:29], vcc
	s_xor_b64 s[36:37], exec, s[28:29]
	s_cbranch_execz .LBB2_1160
; %bb.1151:                             ;   in Loop: Header=BB2_849 Depth=3
	v_mov_b32_e32 v53, 0
	v_cmp_ne_u32_e32 vcc, 0, v8
	s_and_saveexec_b64 s[38:39], vcc
	s_cbranch_execz .LBB2_1159
; %bb.1152:                             ;   in Loop: Header=BB2_849 Depth=3
	v_bfe_u32 v53, v8, 23, 8
	v_and_b32_e32 v9, 0x7fffff, v8
	v_cmp_gt_u32_e64 s[28:29], s96, v53
	v_sub_u32_e32 v8, 0x79, v53
	v_cmp_eq_u32_e32 vcc, 0, v53
	v_cndmask_b32_e64 v8, 0, v8, s[28:29]
	v_cndmask_b32_e32 v45, v8, v36, vcc
	v_or_b32_e32 v28, 0x800000, v9
	v_add_u32_e32 v8, 20, v45
	v_cndmask_b32_e32 v28, v28, v9, vcc
	v_lshlrev_b64 v[8:9], v8, -1
	v_add_u32_e32 v42, 19, v45
	v_lshlrev_b64 v[42:43], v42, 1
	v_bfi_b32 v9, v9, 0, 0
	v_bfi_b32 v8, v8, 0, v28
	v_cmp_eq_u64_e64 s[28:29], v[8:9], v[42:43]
	v_lshrrev_b64 v[8:9], v45, v[28:29]
	v_mov_b32_e32 v43, v9
	v_mov_b32_e32 v42, v8
	s_and_saveexec_b64 s[48:49], s[28:29]
; %bb.1153:                             ;   in Loop: Header=BB2_849 Depth=3
	v_bfe_u32 v9, v8, 20, 1
	v_add_co_u32_e64 v9, s[28:29], v8, v9
	v_add_co_u32_e64 v42, s[28:29], -1, v9
; %bb.1154:                             ;   in Loop: Header=BB2_849 Depth=3
	s_or_b64 exec, exec, s[48:49]
	v_add_u32_e32 v9, 0xffffff81, v53
	v_cndmask_b32_e32 v9, v9, v37, vcc
	v_lshrrev_b32_e32 v28, 23, v8
	v_add3_u32 v45, v45, v9, v28
	v_add_u32_e32 v43, 6, v45
	v_and_b32_e32 v9, 0xfffff, v42
	v_add_u32_e32 v28, v9, v8
	v_cmp_ne_u32_e32 vcc, 0, v43
                                        ; implicit-def: $vgpr8_vgpr9
                                        ; implicit-def: $vgpr53
	s_and_saveexec_b64 s[28:29], vcc
	s_xor_b64 s[28:29], exec, s[28:29]
; %bb.1155:                             ;   in Loop: Header=BB2_849 Depth=3
	v_cmp_lt_u64_e32 vcc, s[88:89], v[28:29]
	v_add_u32_e32 v8, 7, v45
	v_cndmask_b32_e32 v53, v43, v8, vcc
	v_cndmask_b32_e64 v8, 0, 1, vcc
	v_lshrrev_b64 v[8:9], v8, v[28:29]
; %bb.1156:                             ;   in Loop: Header=BB2_849 Depth=3
	s_andn2_saveexec_b64 s[28:29], s[28:29]
; %bb.1157:                             ;   in Loop: Header=BB2_849 Depth=3
	v_mov_b32_e32 v8, v28
	v_bfe_u32 v53, v28, 23, 1
	v_mov_b32_e32 v9, v29
; %bb.1158:                             ;   in Loop: Header=BB2_849 Depth=3
	s_or_b64 exec, exec, s[28:29]
	v_lshrrev_b64 v[8:9], 20, v[8:9]
	v_cmp_gt_i32_e32 vcc, 16, v53
	v_cndmask_b32_e32 v9, 0, v9, vcc
	v_cndmask_b32_e32 v8, 7, v8, vcc
	v_cmp_eq_u64_e64 s[28:29], 0, v[8:9]
	v_min_i32_e32 v9, 15, v53
	v_lshlrev_b32_e32 v9, 3, v9
	v_cmp_eq_u32_e32 vcc, 0, v53
	v_and_b32_e32 v9, 0xf8, v9
	v_and_or_b32 v8, v8, 7, v9
	s_and_b64 s[28:29], vcc, s[28:29]
	v_cndmask_b32_e64 v8, v8, 0, s[28:29]
	v_or_b32_e32 v53, v8, v44
.LBB2_1159:                             ;   in Loop: Header=BB2_849 Depth=3
	s_or_b64 exec, exec, s[38:39]
                                        ; implicit-def: $vgpr44
.LBB2_1160:                             ;   in Loop: Header=BB2_849 Depth=3
	s_andn2_saveexec_b64 s[28:29], s[36:37]
; %bb.1161:                             ;   in Loop: Header=BB2_849 Depth=3
	v_or_b32_e32 v53, 0x7e, v44
; %bb.1162:                             ;   in Loop: Header=BB2_849 Depth=3
	s_or_b64 exec, exec, s[28:29]
                                        ; implicit-def: $vgpr8
.LBB2_1163:                             ;   in Loop: Header=BB2_849 Depth=3
	s_andn2_saveexec_b64 s[28:29], s[34:35]
; %bb.1164:                             ;   in Loop: Header=BB2_849 Depth=3
	v_or_b32_sdwa v53, v8, s85 dst_sel:DWORD dst_unused:UNUSED_PAD src0_sel:BYTE_3 src1_sel:DWORD
; %bb.1165:                             ;   in Loop: Header=BB2_849 Depth=3
	s_or_b64 exec, exec, s[28:29]
	v_lshrrev_b32_e32 v8, 16, v11
	v_cmp_ne_u16_sdwa vcc, v8, v29 src0_sel:BYTE_0 src1_sel:DWORD
	v_mov_b32_e32 v9, 0
	s_and_saveexec_b64 s[28:29], vcc
	s_cbranch_execz .LBB2_1171
; %bb.1166:                             ;   in Loop: Header=BB2_849 Depth=3
	v_cmp_ne_u16_sdwa vcc, v8, s87 src0_sel:BYTE_0 src1_sel:DWORD
	v_bfrev_b32_e32 v9, 1
	s_and_saveexec_b64 s[34:35], vcc
	s_cbranch_execz .LBB2_1170
; %bb.1167:                             ;   in Loop: Header=BB2_849 Depth=3
	v_bfe_u32 v28, v11, 16, 7
	v_cmp_ne_u32_e32 vcc, s85, v28
	v_mov_b32_e32 v9, 0x7f800001
	s_and_saveexec_b64 s[36:37], vcc
	s_cbranch_execz .LBB2_1169
; %bb.1168:                             ;   in Loop: Header=BB2_849 Depth=3
	v_and_b32_e32 v9, 7, v8
	v_lshrrev_b32_e32 v44, 3, v28
	v_cmp_gt_u32_e32 vcc, 8, v28
	v_ffbh_u32_e32 v28, v9
	v_min_u32_e32 v28, 32, v28
	v_subrev_u32_e32 v42, 28, v28
	v_lshlrev_b64 v[42:43], v42, v[8:9]
	v_sub_u32_e32 v28, 29, v28
	v_and_b32_e32 v42, 7, v42
	v_cndmask_b32_e32 v28, v44, v28, vcc
	v_cndmask_b32_e32 v9, v9, v42, vcc
	v_lshlrev_b32_e32 v8, 24, v8
	v_lshlrev_b32_e32 v9, 20, v9
	v_and_b32_e32 v8, 0x80000000, v8
	v_lshl_add_u32 v28, v28, 23, v17
	v_or3_b32 v9, v8, v28, v9
.LBB2_1169:                             ;   in Loop: Header=BB2_849 Depth=3
	s_or_b64 exec, exec, s[36:37]
.LBB2_1170:                             ;   in Loop: Header=BB2_849 Depth=3
	s_or_b64 exec, exec, s[34:35]
.LBB2_1171:                             ;   in Loop: Header=BB2_849 Depth=3
	s_or_b64 exec, exec, s[28:29]
	v_mul_f32_e32 v8, v19, v9
	v_and_b32_e32 v28, 0x7f800000, v8
	v_cmp_ne_u64_e32 vcc, s[76:77], v[28:29]
                                        ; implicit-def: $vgpr42
	s_and_saveexec_b64 s[28:29], vcc
	s_xor_b64 s[34:35], exec, s[28:29]
	s_cbranch_execz .LBB2_1185
; %bb.1172:                             ;   in Loop: Header=BB2_849 Depth=3
	v_and_b32_e32 v28, 0x7fffffff, v8
	v_cmp_gt_u64_e32 vcc, s[78:79], v[28:29]
	v_and_b32_sdwa v44, v8, s87 dst_sel:DWORD dst_unused:UNUSED_PAD src0_sel:BYTE_3 src1_sel:DWORD
                                        ; implicit-def: $vgpr42
	s_and_saveexec_b64 s[28:29], vcc
	s_xor_b64 s[36:37], exec, s[28:29]
	s_cbranch_execz .LBB2_1182
; %bb.1173:                             ;   in Loop: Header=BB2_849 Depth=3
	v_mov_b32_e32 v42, 0
	v_cmp_ne_u32_e32 vcc, 0, v8
	s_and_saveexec_b64 s[38:39], vcc
	s_cbranch_execz .LBB2_1181
; %bb.1174:                             ;   in Loop: Header=BB2_849 Depth=3
	v_bfe_u32 v45, v8, 23, 8
	v_and_b32_e32 v9, 0x7fffff, v8
	v_cmp_gt_u32_e64 s[28:29], s96, v45
	v_sub_u32_e32 v8, 0x79, v45
	v_cmp_eq_u32_e32 vcc, 0, v45
	v_cndmask_b32_e64 v8, 0, v8, s[28:29]
	v_cndmask_b32_e32 v46, v8, v36, vcc
	v_or_b32_e32 v28, 0x800000, v9
	v_add_u32_e32 v8, 20, v46
	v_cndmask_b32_e32 v28, v28, v9, vcc
	v_lshlrev_b64 v[8:9], v8, -1
	v_add_u32_e32 v42, 19, v46
	v_lshlrev_b64 v[42:43], v42, 1
	v_bfi_b32 v9, v9, 0, 0
	v_bfi_b32 v8, v8, 0, v28
	v_cmp_eq_u64_e64 s[28:29], v[8:9], v[42:43]
	v_lshrrev_b64 v[8:9], v46, v[28:29]
	v_mov_b32_e32 v43, v9
	v_mov_b32_e32 v42, v8
	s_and_saveexec_b64 s[48:49], s[28:29]
; %bb.1175:                             ;   in Loop: Header=BB2_849 Depth=3
	v_bfe_u32 v9, v8, 20, 1
	v_add_co_u32_e64 v9, s[28:29], v8, v9
	v_add_co_u32_e64 v42, s[28:29], -1, v9
; %bb.1176:                             ;   in Loop: Header=BB2_849 Depth=3
	s_or_b64 exec, exec, s[48:49]
	v_add_u32_e32 v9, 0xffffff81, v45
	v_cndmask_b32_e32 v9, v9, v37, vcc
	v_lshrrev_b32_e32 v28, 23, v8
	v_add3_u32 v45, v46, v9, v28
	v_add_u32_e32 v43, 6, v45
	v_and_b32_e32 v9, 0xfffff, v42
	v_add_u32_e32 v28, v9, v8
	v_cmp_ne_u32_e32 vcc, 0, v43
                                        ; implicit-def: $vgpr8_vgpr9
                                        ; implicit-def: $vgpr42
	s_and_saveexec_b64 s[28:29], vcc
	s_xor_b64 s[28:29], exec, s[28:29]
; %bb.1177:                             ;   in Loop: Header=BB2_849 Depth=3
	v_cmp_lt_u64_e32 vcc, s[88:89], v[28:29]
	v_add_u32_e32 v8, 7, v45
	v_cndmask_b32_e32 v42, v43, v8, vcc
	v_cndmask_b32_e64 v8, 0, 1, vcc
	v_lshrrev_b64 v[8:9], v8, v[28:29]
; %bb.1178:                             ;   in Loop: Header=BB2_849 Depth=3
	s_andn2_saveexec_b64 s[28:29], s[28:29]
; %bb.1179:                             ;   in Loop: Header=BB2_849 Depth=3
	v_mov_b32_e32 v8, v28
	v_bfe_u32 v42, v28, 23, 1
	v_mov_b32_e32 v9, v29
; %bb.1180:                             ;   in Loop: Header=BB2_849 Depth=3
	s_or_b64 exec, exec, s[28:29]
	v_lshrrev_b64 v[8:9], 20, v[8:9]
	v_cmp_gt_i32_e32 vcc, 16, v42
	v_cndmask_b32_e32 v9, 0, v9, vcc
	v_cndmask_b32_e32 v8, 7, v8, vcc
	v_cmp_eq_u64_e64 s[28:29], 0, v[8:9]
	v_min_i32_e32 v9, 15, v42
	v_lshlrev_b32_e32 v9, 3, v9
	v_cmp_eq_u32_e32 vcc, 0, v42
	v_and_b32_e32 v9, 0xf8, v9
	v_and_or_b32 v8, v8, 7, v9
	s_and_b64 s[28:29], vcc, s[28:29]
	v_cndmask_b32_e64 v8, v8, 0, s[28:29]
	v_or_b32_e32 v42, v8, v44
.LBB2_1181:                             ;   in Loop: Header=BB2_849 Depth=3
	s_or_b64 exec, exec, s[38:39]
                                        ; implicit-def: $vgpr44
.LBB2_1182:                             ;   in Loop: Header=BB2_849 Depth=3
	s_andn2_saveexec_b64 s[28:29], s[36:37]
; %bb.1183:                             ;   in Loop: Header=BB2_849 Depth=3
	v_or_b32_e32 v42, 0x7e, v44
; %bb.1184:                             ;   in Loop: Header=BB2_849 Depth=3
	s_or_b64 exec, exec, s[28:29]
                                        ; implicit-def: $vgpr8
.LBB2_1185:                             ;   in Loop: Header=BB2_849 Depth=3
	s_andn2_saveexec_b64 s[28:29], s[34:35]
; %bb.1186:                             ;   in Loop: Header=BB2_849 Depth=3
	v_or_b32_sdwa v42, v8, s85 dst_sel:DWORD dst_unused:UNUSED_PAD src0_sel:BYTE_3 src1_sel:DWORD
; %bb.1187:                             ;   in Loop: Header=BB2_849 Depth=3
	s_or_b64 exec, exec, s[28:29]
	v_cmp_lt_u64_e32 vcc, s[56:57], v[10:11]
	v_mov_b32_e32 v9, 0
	s_and_saveexec_b64 s[28:29], vcc
	s_cbranch_execz .LBB2_1193
; %bb.1188:                             ;   in Loop: Header=BB2_849 Depth=3
	v_lshrrev_b32_e32 v8, 24, v11
	v_cmp_ne_u32_e32 vcc, s87, v8
	v_bfrev_b32_e32 v9, 1
	s_and_saveexec_b64 s[34:35], vcc
	s_cbranch_execz .LBB2_1192
; %bb.1189:                             ;   in Loop: Header=BB2_849 Depth=3
	v_bfe_u32 v10, v11, 24, 7
	v_cmp_ne_u32_e32 vcc, s85, v10
	v_mov_b32_e32 v9, 0x7f800001
	s_and_saveexec_b64 s[36:37], vcc
	s_cbranch_execz .LBB2_1191
; %bb.1190:                             ;   in Loop: Header=BB2_849 Depth=3
	v_and_b32_e32 v11, 7, v8
	v_ffbh_u32_e32 v9, v11
	v_min_u32_e32 v43, 32, v9
	v_subrev_u32_e32 v9, 28, v43
	v_lshrrev_b32_e32 v28, 3, v10
	v_cmp_gt_u32_e32 vcc, 8, v10
	v_lshlrev_b64 v[9:10], v9, v[8:9]
	v_sub_u32_e32 v10, 29, v43
	v_and_b32_e32 v9, 7, v9
	v_cndmask_b32_e32 v10, v28, v10, vcc
	v_cndmask_b32_e32 v9, v11, v9, vcc
	v_lshlrev_b32_e32 v8, 24, v8
	v_lshlrev_b32_e32 v9, 20, v9
	v_and_b32_e32 v8, 0x80000000, v8
	v_lshl_add_u32 v10, v10, 23, v17
	v_or3_b32 v9, v8, v10, v9
.LBB2_1191:                             ;   in Loop: Header=BB2_849 Depth=3
	s_or_b64 exec, exec, s[36:37]
.LBB2_1192:                             ;   in Loop: Header=BB2_849 Depth=3
	s_or_b64 exec, exec, s[34:35]
.LBB2_1193:                             ;   in Loop: Header=BB2_849 Depth=3
	s_or_b64 exec, exec, s[28:29]
	v_mul_f32_e32 v9, v19, v9
	v_and_b32_e32 v28, 0x7f800000, v9
	v_cmp_ne_u64_e32 vcc, s[76:77], v[28:29]
                                        ; implicit-def: $vgpr8
	s_and_saveexec_b64 s[28:29], vcc
	s_xor_b64 s[34:35], exec, s[28:29]
	s_cbranch_execz .LBB2_1207
; %bb.1194:                             ;   in Loop: Header=BB2_849 Depth=3
	v_and_b32_e32 v28, 0x7fffffff, v9
	v_cmp_gt_u64_e32 vcc, s[78:79], v[28:29]
	v_and_b32_sdwa v11, v9, s87 dst_sel:DWORD dst_unused:UNUSED_PAD src0_sel:BYTE_3 src1_sel:DWORD
                                        ; implicit-def: $vgpr8
	s_and_saveexec_b64 s[28:29], vcc
	s_xor_b64 s[36:37], exec, s[28:29]
	s_cbranch_execz .LBB2_1204
; %bb.1195:                             ;   in Loop: Header=BB2_849 Depth=3
	v_mov_b32_e32 v8, 0
	v_cmp_ne_u32_e32 vcc, 0, v9
	s_and_saveexec_b64 s[38:39], vcc
	s_cbranch_execz .LBB2_1203
; %bb.1196:                             ;   in Loop: Header=BB2_849 Depth=3
	v_bfe_u32 v19, v9, 23, 8
	v_and_b32_e32 v8, 0x7fffff, v9
	v_cmp_gt_u32_e64 s[28:29], s96, v19
	v_sub_u32_e32 v9, 0x79, v19
	v_cmp_eq_u32_e32 vcc, 0, v19
	v_cndmask_b32_e64 v9, 0, v9, s[28:29]
	v_or_b32_e32 v10, 0x800000, v8
	v_cndmask_b32_e32 v43, v9, v36, vcc
	v_cndmask_b32_e32 v28, v10, v8, vcc
	v_add_u32_e32 v8, 20, v43
	v_lshlrev_b64 v[8:9], v8, -1
	v_add_u32_e32 v10, 19, v43
	v_lshlrev_b64 v[44:45], v10, 1
	v_bfi_b32 v9, v9, 0, 0
	v_bfi_b32 v8, v8, 0, v28
	v_cmp_eq_u64_e64 s[28:29], v[8:9], v[44:45]
	v_lshrrev_b64 v[8:9], v43, v[28:29]
	v_mov_b32_e32 v10, v9
	v_mov_b32_e32 v9, v8
	s_and_saveexec_b64 s[48:49], s[28:29]
; %bb.1197:                             ;   in Loop: Header=BB2_849 Depth=3
	v_bfe_u32 v9, v8, 20, 1
	v_add_co_u32_e64 v9, s[28:29], v8, v9
	v_add_co_u32_e64 v9, s[28:29], -1, v9
; %bb.1198:                             ;   in Loop: Header=BB2_849 Depth=3
	s_or_b64 exec, exec, s[48:49]
	v_add_u32_e32 v10, 0xffffff81, v19
	v_cndmask_b32_e32 v10, v10, v37, vcc
	v_lshrrev_b32_e32 v19, 23, v8
	v_add3_u32 v43, v43, v10, v19
	v_add_u32_e32 v19, 6, v43
	v_and_b32_e32 v9, 0xfffff, v9
	v_add_u32_e32 v28, v9, v8
	v_cmp_ne_u32_e32 vcc, 0, v19
                                        ; implicit-def: $vgpr8_vgpr9
                                        ; implicit-def: $vgpr10
	s_and_saveexec_b64 s[28:29], vcc
	s_xor_b64 s[28:29], exec, s[28:29]
; %bb.1199:                             ;   in Loop: Header=BB2_849 Depth=3
	v_cmp_lt_u64_e32 vcc, s[88:89], v[28:29]
	v_add_u32_e32 v8, 7, v43
	v_cndmask_b32_e32 v10, v19, v8, vcc
	v_cndmask_b32_e64 v8, 0, 1, vcc
	v_lshrrev_b64 v[8:9], v8, v[28:29]
; %bb.1200:                             ;   in Loop: Header=BB2_849 Depth=3
	s_andn2_saveexec_b64 s[28:29], s[28:29]
; %bb.1201:                             ;   in Loop: Header=BB2_849 Depth=3
	v_mov_b32_e32 v8, v28
	v_bfe_u32 v10, v28, 23, 1
	v_mov_b32_e32 v9, v29
; %bb.1202:                             ;   in Loop: Header=BB2_849 Depth=3
	s_or_b64 exec, exec, s[28:29]
	v_lshrrev_b64 v[8:9], 20, v[8:9]
	v_cmp_gt_i32_e32 vcc, 16, v10
	v_cndmask_b32_e32 v9, 0, v9, vcc
	v_cndmask_b32_e32 v8, 7, v8, vcc
	v_cmp_eq_u64_e64 s[28:29], 0, v[8:9]
	v_min_i32_e32 v9, 15, v10
	v_lshlrev_b32_e32 v9, 3, v9
	v_cmp_eq_u32_e32 vcc, 0, v10
	v_and_b32_e32 v9, 0xf8, v9
	v_and_or_b32 v8, v8, 7, v9
	s_and_b64 s[28:29], vcc, s[28:29]
	v_cndmask_b32_e64 v8, v8, 0, s[28:29]
	v_or_b32_e32 v8, v8, v11
.LBB2_1203:                             ;   in Loop: Header=BB2_849 Depth=3
	s_or_b64 exec, exec, s[38:39]
                                        ; implicit-def: $vgpr11
.LBB2_1204:                             ;   in Loop: Header=BB2_849 Depth=3
	s_andn2_saveexec_b64 s[28:29], s[36:37]
; %bb.1205:                             ;   in Loop: Header=BB2_849 Depth=3
	v_or_b32_e32 v8, 0x7e, v11
; %bb.1206:                             ;   in Loop: Header=BB2_849 Depth=3
	s_or_b64 exec, exec, s[28:29]
                                        ; implicit-def: $vgpr9
.LBB2_1207:                             ;   in Loop: Header=BB2_849 Depth=3
	s_andn2_saveexec_b64 s[28:29], s[34:35]
	s_cbranch_execz .LBB2_848
; %bb.1208:                             ;   in Loop: Header=BB2_849 Depth=3
	v_or_b32_sdwa v8, v9, s85 dst_sel:DWORD dst_unused:UNUSED_PAD src0_sel:BYTE_3 src1_sel:DWORD
	s_branch .LBB2_848
.LBB2_1209:                             ;   in Loop: Header=BB2_57 Depth=2
	s_or_b64 exec, exec, s[30:31]
.LBB2_1210:                             ;   in Loop: Header=BB2_57 Depth=2
	s_or_b64 exec, exec, s[94:95]
	buffer_load_dword v3, off, s[0:3], s33 offset:208 ; 4-byte Folded Reload
	v_cmp_lt_i32_e32 vcc, 0, v7
	s_waitcnt vmcnt(0)
	v_and_b32_e32 v3, 15, v3
	v_sub_u32_e32 v5, v6, v3
	v_cndmask_b32_e64 v5, 0, v5, s[26:27]
	v_add3_u32 v2, v2, v1, v5
	v_cndmask_b32_e64 v3, v6, v3, s[26:27]
	v_cndmask_b32_e32 v1, 0, v14, vcc
	v_sub_u32_e32 v1, v1, v7
	v_cmp_ne_u32_e32 vcc, 0, v3
	v_lshl_add_u32 v5, v1, 6, v0
	s_and_b64 s[26:27], vcc, exec
.LBB2_1211:                             ;   in Loop: Header=BB2_57 Depth=2
	s_or_b64 exec, exec, s[92:93]
	s_and_saveexec_b64 s[28:29], s[26:27]
	s_cbranch_execz .LBB2_1464
.LBB2_1212:                             ;   in Loop: Header=BB2_57 Depth=2
	s_waitcnt vmcnt(1)
	v_ashrrev_i32_e32 v0, 31, v5
	v_ashrrev_i32_e32 v1, 31, v3
	v_lshrrev_b32_e32 v0, 26, v0
	v_lshrrev_b32_e32 v1, 23, v1
	v_add_u32_e32 v7, v5, v0
	v_add_u32_e32 v1, v3, v1
	v_ashrrev_i32_e32 v0, 6, v7
	v_ashrrev_i32_e32 v6, 9, v1
	v_sub_u32_e32 v1, v6, v0
	v_cmp_lt_i32_e32 vcc, 0, v1
	s_and_saveexec_b64 s[92:93], vcc
	s_cbranch_execz .LBB2_1429
; %bb.1213:                             ;   in Loop: Header=BB2_57 Depth=2
	v_and_b32_e32 v7, 0xffffffc0, v7
	v_sub_u32_e32 v7, v5, v7
	v_lshlrev_b32_e32 v8, 9, v0
	v_add3_u32 v7, v2, v7, v8
	v_ashrrev_i32_e32 v16, 31, v7
	s_mov_b64 s[94:95], 0
	s_branch .LBB2_1215
.LBB2_1214:                             ;   in Loop: Header=BB2_1215 Depth=3
	s_or_b64 exec, exec, s[26:27]
	v_add_co_u32_e32 v30, vcc, v7, v40
	v_addc_co_u32_e32 v31, vcc, v16, v41, vcc
	v_add_co_u32_e32 v54, vcc, v54, v32
	v_sub_u32_e32 v1, v1, v14
	v_addc_co_u32_e32 v55, vcc, 0, v55, vcc
	v_cmp_gt_i32_e32 vcc, 1, v1
	s_or_b64 s[94:95], vcc, s[94:95]
	v_add_co_u32_e32 v40, vcc, v40, v32
	v_addc_co_u32_e32 v41, vcc, 0, v41, vcc
	flat_store_byte v[30:31], v18 glc slc
	flat_store_byte v[30:31], v19 offset:64 glc slc
	flat_store_byte v[30:31], v22 offset:128 glc slc
	;; [unrolled: 1-line block ×7, first 2 shown]
	s_andn2_b64 exec, exec, s[94:95]
	s_cbranch_execz .LBB2_1428
.LBB2_1215:                             ;   Parent Loop BB2_47 Depth=1
                                        ;     Parent Loop BB2_57 Depth=2
                                        ; =>    This Inner Loop Header: Depth=3
	s_trap 2
	ds_read_b64 v[8:9], v0
	s_waitcnt lgkmcnt(0)
	v_cmp_eq_u32_sdwa vcc, v8, v29 src0_sel:BYTE_0 src1_sel:DWORD
	v_readfirstlane_b32 s26, v8
	v_readfirstlane_b32 s27, v9
	s_and_b64 vcc, exec, vcc
	s_cbranch_vccnz .LBB2_1219
; %bb.1216:                             ;   in Loop: Header=BB2_1215 Depth=3
	v_cmp_eq_u32_sdwa vcc, v8, s87 src0_sel:BYTE_0 src1_sel:DWORD
	s_brev_b32 s45, 1
	s_and_b64 vcc, exec, vcc
	s_cbranch_vccnz .LBB2_1220
; %bb.1217:                             ;   in Loop: Header=BB2_1215 Depth=3
	s_and_b32 s47, s26, 0x7f
	s_cmpk_eq_i32 s47, 0x7f
	s_mov_b32 s45, 0x7f800001
	s_cbranch_scc1 .LBB2_1220
; %bb.1218:                             ;   in Loop: Header=BB2_1215 Depth=3
	s_and_b32 s45, s26, 7
	s_flbit_i32_b32 s45, s45
	s_min_u32 s45, s45, 32
	s_lshr_b32 vcc_lo, s47, 3
	s_sub_i32 vcc_hi, s45, 28
	s_sub_i32 s45, 29, s45
	s_cmp_lt_u32 s47, 8
	s_cselect_b32 s45, s45, vcc_lo
	s_cselect_b32 s47, vcc_hi, 0
	s_lshl_b64 vcc, s[26:27], s47
	s_lshl_b32 s26, s26, 24
	s_lshl_b32 s45, s45, 23
	s_lshl_b32 s27, vcc_lo, 20
	s_and_b32 s26, s26, 0x80000000
	s_add_i32 s45, s45, 0x3c000000
	s_and_b32 s27, s27, 0x700000
	s_or_b32 s26, s26, s45
	s_or_b32 s45, s26, s27
	s_branch .LBB2_1220
.LBB2_1219:                             ;   in Loop: Header=BB2_1215 Depth=3
	s_mov_b32 s45, 0
.LBB2_1220:                             ;   in Loop: Header=BB2_1215 Depth=3
	v_add_co_u32_e32 v8, vcc, v7, v54
	v_addc_co_u32_e32 v9, vcc, v16, v55, vcc
	flat_load_ubyte v11, v[8:9] glc slc
	v_mov_b32_e32 v18, 0
	s_waitcnt vmcnt(0) lgkmcnt(0)
	v_cmp_ne_u16_e32 vcc, 0, v11
	s_and_saveexec_b64 s[26:27], vcc
	s_cbranch_execz .LBB2_1226
; %bb.1221:                             ;   in Loop: Header=BB2_1215 Depth=3
	v_cmp_ne_u16_e32 vcc, s87, v11
	v_bfrev_b32_e32 v18, 1
	s_and_saveexec_b64 s[30:31], vcc
	s_cbranch_execz .LBB2_1225
; %bb.1222:                             ;   in Loop: Header=BB2_1215 Depth=3
	v_and_b32_e32 v10, 0xffff, v11
	v_and_b32_e32 v19, 0x7f, v10
	v_cmp_ne_u32_e32 vcc, s85, v19
	v_mov_b32_e32 v18, 0x7f800001
	s_and_saveexec_b64 s[34:35], vcc
	s_cbranch_execz .LBB2_1224
; %bb.1223:                             ;   in Loop: Header=BB2_1215 Depth=3
	v_and_b32_e32 v22, 7, v10
	v_ffbh_u32_e32 v18, v22
	v_min_u32_e32 v24, 32, v18
	v_subrev_u32_e32 v18, 28, v24
	v_lshrrev_b32_e32 v23, 3, v19
	v_cmp_gt_u32_e32 vcc, 8, v19
	v_lshlrev_b64 v[18:19], v18, v[10:11]
	v_sub_u32_e32 v10, 29, v24
	v_and_b32_e32 v18, 7, v18
	v_cndmask_b32_e32 v10, v23, v10, vcc
	v_cndmask_b32_e32 v18, v22, v18, vcc
	v_lshlrev_b32_e32 v11, 24, v11
	v_lshlrev_b32_e32 v18, 20, v18
	v_and_b32_e32 v11, 0x80000000, v11
	v_lshl_add_u32 v10, v10, 23, v17
	v_or3_b32 v18, v11, v10, v18
.LBB2_1224:                             ;   in Loop: Header=BB2_1215 Depth=3
	s_or_b64 exec, exec, s[34:35]
.LBB2_1225:                             ;   in Loop: Header=BB2_1215 Depth=3
	s_or_b64 exec, exec, s[30:31]
.LBB2_1226:                             ;   in Loop: Header=BB2_1215 Depth=3
	s_or_b64 exec, exec, s[26:27]
	v_mul_f32_e32 v10, s45, v18
	v_and_b32_e32 v28, 0x7f800000, v10
	v_cmp_ne_u64_e32 vcc, s[76:77], v[28:29]
                                        ; implicit-def: $vgpr18
	s_and_saveexec_b64 s[26:27], vcc
	s_xor_b64 s[30:31], exec, s[26:27]
	s_cbranch_execz .LBB2_1244
; %bb.1227:                             ;   in Loop: Header=BB2_1215 Depth=3
	v_and_b32_e32 v28, 0x7fffffff, v10
	v_cmp_gt_u64_e32 vcc, s[78:79], v[28:29]
	v_and_b32_sdwa v19, v10, s87 dst_sel:DWORD dst_unused:UNUSED_PAD src0_sel:BYTE_3 src1_sel:DWORD
                                        ; implicit-def: $vgpr18
	s_and_saveexec_b64 s[26:27], vcc
	s_xor_b64 s[34:35], exec, s[26:27]
	s_cbranch_execz .LBB2_1241
; %bb.1228:                             ;   in Loop: Header=BB2_1215 Depth=3
	v_cmp_ne_u32_e32 vcc, 0, v10
	v_mov_b32_e32 v18, 0
	s_and_saveexec_b64 s[36:37], vcc
	s_cbranch_execz .LBB2_1240
; %bb.1229:                             ;   in Loop: Header=BB2_1215 Depth=3
	v_bfe_u32 v18, v10, 23, 8
	v_and_b32_e32 v11, 0x7fffff, v10
	v_cmp_gt_u32_e64 s[26:27], s96, v18
	v_sub_u32_e32 v10, 0x79, v18
	v_cmp_eq_u32_e32 vcc, 0, v18
	v_cndmask_b32_e64 v10, 0, v10, s[26:27]
	v_cndmask_b32_e32 v22, v10, v36, vcc
	v_or_b32_e32 v23, 0x800000, v11
	v_add_u32_e32 v10, 20, v22
	v_cndmask_b32_e32 v28, v23, v11, vcc
	v_lshlrev_b64 v[10:11], v10, -1
	v_add_u32_e32 v23, 19, v22
	v_lshlrev_b64 v[23:24], v23, 1
	v_bfi_b32 v11, v11, 0, 0
	v_bfi_b32 v10, v10, 0, v28
	v_cmp_eq_u64_e64 s[26:27], v[10:11], v[23:24]
	v_lshrrev_b64 v[10:11], v22, v[28:29]
	v_mov_b32_e32 v43, v11
	v_mov_b32_e32 v42, v10
	s_and_saveexec_b64 s[38:39], s[26:27]
; %bb.1230:                             ;   in Loop: Header=BB2_1215 Depth=3
	v_bfe_u32 v11, v10, 20, 1
	v_add_co_u32_e64 v11, s[26:27], v10, v11
	v_add_co_u32_e64 v42, s[26:27], -1, v11
; %bb.1231:                             ;   in Loop: Header=BB2_1215 Depth=3
	s_or_b64 exec, exec, s[38:39]
	v_add_u32_e32 v11, 0xffffff81, v18
	v_cndmask_b32_e32 v11, v11, v37, vcc
	v_lshrrev_b32_e32 v18, 23, v10
	v_add3_u32 v23, v22, v11, v18
	v_add_u32_e32 v18, 6, v23
	v_and_b32_e32 v11, 0xfffff, v42
	v_add_u32_e32 v28, v11, v10
	v_cmp_ne_u32_e32 vcc, 0, v18
                                        ; implicit-def: $vgpr10_vgpr11
                                        ; implicit-def: $vgpr22
	s_and_saveexec_b64 s[26:27], vcc
	s_xor_b64 s[26:27], exec, s[26:27]
; %bb.1232:                             ;   in Loop: Header=BB2_1215 Depth=3
	v_cmp_lt_u64_e32 vcc, s[88:89], v[28:29]
	v_add_u32_e32 v10, 7, v23
	v_cndmask_b32_e32 v22, v18, v10, vcc
	v_cndmask_b32_e64 v10, 0, 1, vcc
	v_lshrrev_b64 v[10:11], v10, v[28:29]
; %bb.1233:                             ;   in Loop: Header=BB2_1215 Depth=3
	s_andn2_saveexec_b64 s[26:27], s[26:27]
; %bb.1234:                             ;   in Loop: Header=BB2_1215 Depth=3
	v_mov_b32_e32 v10, v28
	v_bfe_u32 v22, v28, 23, 1
	v_mov_b32_e32 v11, v29
; %bb.1235:                             ;   in Loop: Header=BB2_1215 Depth=3
	s_or_b64 exec, exec, s[26:27]
	v_lshrrev_b64 v[10:11], 20, v[10:11]
	v_cmp_gt_i32_e32 vcc, 16, v22
	v_cndmask_b32_e32 v11, 0, v11, vcc
	v_cndmask_b32_e32 v10, 7, v10, vcc
	v_cmp_ne_u64_e32 vcc, 0, v[10:11]
	v_cmp_ne_u32_e64 s[26:27], 0, v22
	s_or_b64 s[26:27], s[26:27], vcc
                                        ; implicit-def: $vgpr18
	s_and_saveexec_b64 vcc, s[26:27]
	s_xor_b64 s[26:27], exec, vcc
; %bb.1236:                             ;   in Loop: Header=BB2_1215 Depth=3
	v_min_i32_e32 v11, 15, v22
	v_lshl_or_b32 v11, v11, 3, v19
	v_and_or_b32 v18, v10, 7, v11
                                        ; implicit-def: $vgpr19
; %bb.1237:                             ;   in Loop: Header=BB2_1215 Depth=3
	s_andn2_saveexec_b64 s[26:27], s[26:27]
; %bb.1238:                             ;   in Loop: Header=BB2_1215 Depth=3
	v_mov_b32_e32 v18, v19
; %bb.1239:                             ;   in Loop: Header=BB2_1215 Depth=3
	s_or_b64 exec, exec, s[26:27]
.LBB2_1240:                             ;   in Loop: Header=BB2_1215 Depth=3
	s_or_b64 exec, exec, s[36:37]
                                        ; implicit-def: $vgpr19
.LBB2_1241:                             ;   in Loop: Header=BB2_1215 Depth=3
	s_andn2_saveexec_b64 s[26:27], s[34:35]
; %bb.1242:                             ;   in Loop: Header=BB2_1215 Depth=3
	v_or_b32_e32 v18, 0x7e, v19
; %bb.1243:                             ;   in Loop: Header=BB2_1215 Depth=3
	s_or_b64 exec, exec, s[26:27]
                                        ; implicit-def: $vgpr10
.LBB2_1244:                             ;   in Loop: Header=BB2_1215 Depth=3
	s_andn2_saveexec_b64 s[26:27], s[30:31]
; %bb.1245:                             ;   in Loop: Header=BB2_1215 Depth=3
	v_or_b32_sdwa v18, v10, s85 dst_sel:DWORD dst_unused:UNUSED_PAD src0_sel:BYTE_3 src1_sel:DWORD
; %bb.1246:                             ;   in Loop: Header=BB2_1215 Depth=3
	s_or_b64 exec, exec, s[26:27]
	flat_load_ubyte v11, v[8:9] offset:64 glc slc
	v_mov_b32_e32 v19, 0
	s_waitcnt vmcnt(0) lgkmcnt(0)
	v_cmp_ne_u16_e32 vcc, 0, v11
	s_and_saveexec_b64 s[26:27], vcc
	s_cbranch_execz .LBB2_1252
; %bb.1247:                             ;   in Loop: Header=BB2_1215 Depth=3
	v_cmp_ne_u16_e32 vcc, s87, v11
	v_bfrev_b32_e32 v19, 1
	s_and_saveexec_b64 s[30:31], vcc
	s_cbranch_execz .LBB2_1251
; %bb.1248:                             ;   in Loop: Header=BB2_1215 Depth=3
	v_and_b32_e32 v10, 0xffff, v11
	v_and_b32_e32 v22, 0x7f, v10
	v_cmp_ne_u32_e32 vcc, s85, v22
	v_mov_b32_e32 v19, 0x7f800001
	s_and_saveexec_b64 s[34:35], vcc
	s_cbranch_execz .LBB2_1250
; %bb.1249:                             ;   in Loop: Header=BB2_1215 Depth=3
	v_and_b32_e32 v19, 7, v10
	v_lshrrev_b32_e32 v24, 3, v22
	v_cmp_gt_u32_e32 vcc, 8, v22
	v_ffbh_u32_e32 v22, v19
	v_min_u32_e32 v25, 32, v22
	v_subrev_u32_e32 v22, 28, v25
	v_lshlrev_b64 v[22:23], v22, v[10:11]
	v_sub_u32_e32 v10, 29, v25
	v_and_b32_e32 v22, 7, v22
	v_cndmask_b32_e32 v10, v24, v10, vcc
	v_cndmask_b32_e32 v19, v19, v22, vcc
	v_lshlrev_b32_e32 v11, 24, v11
	v_lshlrev_b32_e32 v19, 20, v19
	v_and_b32_e32 v11, 0x80000000, v11
	v_lshl_add_u32 v10, v10, 23, v17
	v_or3_b32 v19, v11, v10, v19
.LBB2_1250:                             ;   in Loop: Header=BB2_1215 Depth=3
	s_or_b64 exec, exec, s[34:35]
.LBB2_1251:                             ;   in Loop: Header=BB2_1215 Depth=3
	s_or_b64 exec, exec, s[30:31]
.LBB2_1252:                             ;   in Loop: Header=BB2_1215 Depth=3
	s_or_b64 exec, exec, s[26:27]
	v_mul_f32_e32 v10, s45, v19
	v_and_b32_e32 v28, 0x7f800000, v10
	v_cmp_ne_u64_e32 vcc, s[76:77], v[28:29]
                                        ; implicit-def: $vgpr19
	s_and_saveexec_b64 s[26:27], vcc
	s_xor_b64 s[30:31], exec, s[26:27]
	s_cbranch_execz .LBB2_1270
; %bb.1253:                             ;   in Loop: Header=BB2_1215 Depth=3
	v_and_b32_e32 v28, 0x7fffffff, v10
	v_cmp_gt_u64_e32 vcc, s[78:79], v[28:29]
	v_and_b32_sdwa v22, v10, s87 dst_sel:DWORD dst_unused:UNUSED_PAD src0_sel:BYTE_3 src1_sel:DWORD
                                        ; implicit-def: $vgpr19
	s_and_saveexec_b64 s[26:27], vcc
	s_xor_b64 s[34:35], exec, s[26:27]
	s_cbranch_execz .LBB2_1267
; %bb.1254:                             ;   in Loop: Header=BB2_1215 Depth=3
	v_cmp_ne_u32_e32 vcc, 0, v10
	v_mov_b32_e32 v19, 0
	s_and_saveexec_b64 s[36:37], vcc
	s_cbranch_execz .LBB2_1266
; %bb.1255:                             ;   in Loop: Header=BB2_1215 Depth=3
	v_bfe_u32 v19, v10, 23, 8
	v_and_b32_e32 v11, 0x7fffff, v10
	v_cmp_gt_u32_e64 s[26:27], s96, v19
	v_sub_u32_e32 v10, 0x79, v19
	v_cmp_eq_u32_e32 vcc, 0, v19
	v_cndmask_b32_e64 v10, 0, v10, s[26:27]
	v_cndmask_b32_e32 v23, v10, v36, vcc
	v_or_b32_e32 v24, 0x800000, v11
	v_add_u32_e32 v10, 20, v23
	v_cndmask_b32_e32 v28, v24, v11, vcc
	v_lshlrev_b64 v[10:11], v10, -1
	v_add_u32_e32 v24, 19, v23
	v_lshlrev_b64 v[24:25], v24, 1
	v_bfi_b32 v11, v11, 0, 0
	v_bfi_b32 v10, v10, 0, v28
	v_cmp_eq_u64_e64 s[26:27], v[10:11], v[24:25]
	v_lshrrev_b64 v[10:11], v23, v[28:29]
	v_mov_b32_e32 v43, v11
	v_mov_b32_e32 v42, v10
	s_and_saveexec_b64 s[38:39], s[26:27]
; %bb.1256:                             ;   in Loop: Header=BB2_1215 Depth=3
	v_bfe_u32 v11, v10, 20, 1
	v_add_co_u32_e64 v11, s[26:27], v10, v11
	v_add_co_u32_e64 v42, s[26:27], -1, v11
; %bb.1257:                             ;   in Loop: Header=BB2_1215 Depth=3
	s_or_b64 exec, exec, s[38:39]
	v_add_u32_e32 v11, 0xffffff81, v19
	v_cndmask_b32_e32 v11, v11, v37, vcc
	v_lshrrev_b32_e32 v19, 23, v10
	v_add3_u32 v24, v23, v11, v19
	v_add_u32_e32 v19, 6, v24
	v_and_b32_e32 v11, 0xfffff, v42
	v_add_u32_e32 v28, v11, v10
	v_cmp_ne_u32_e32 vcc, 0, v19
                                        ; implicit-def: $vgpr10_vgpr11
                                        ; implicit-def: $vgpr23
	s_and_saveexec_b64 s[26:27], vcc
	s_xor_b64 s[26:27], exec, s[26:27]
; %bb.1258:                             ;   in Loop: Header=BB2_1215 Depth=3
	v_cmp_lt_u64_e32 vcc, s[88:89], v[28:29]
	v_add_u32_e32 v10, 7, v24
	v_cndmask_b32_e32 v23, v19, v10, vcc
	v_cndmask_b32_e64 v10, 0, 1, vcc
	v_lshrrev_b64 v[10:11], v10, v[28:29]
; %bb.1259:                             ;   in Loop: Header=BB2_1215 Depth=3
	s_andn2_saveexec_b64 s[26:27], s[26:27]
; %bb.1260:                             ;   in Loop: Header=BB2_1215 Depth=3
	v_mov_b32_e32 v10, v28
	v_bfe_u32 v23, v28, 23, 1
	v_mov_b32_e32 v11, v29
; %bb.1261:                             ;   in Loop: Header=BB2_1215 Depth=3
	s_or_b64 exec, exec, s[26:27]
	v_lshrrev_b64 v[10:11], 20, v[10:11]
	v_cmp_gt_i32_e32 vcc, 16, v23
	v_cndmask_b32_e32 v11, 0, v11, vcc
	v_cndmask_b32_e32 v10, 7, v10, vcc
	v_cmp_ne_u64_e32 vcc, 0, v[10:11]
	v_cmp_ne_u32_e64 s[26:27], 0, v23
	s_or_b64 s[26:27], s[26:27], vcc
                                        ; implicit-def: $vgpr19
	s_and_saveexec_b64 vcc, s[26:27]
	s_xor_b64 s[26:27], exec, vcc
; %bb.1262:                             ;   in Loop: Header=BB2_1215 Depth=3
	v_min_i32_e32 v11, 15, v23
	v_lshl_or_b32 v11, v11, 3, v22
	v_and_or_b32 v19, v10, 7, v11
                                        ; implicit-def: $vgpr22
; %bb.1263:                             ;   in Loop: Header=BB2_1215 Depth=3
	s_andn2_saveexec_b64 s[26:27], s[26:27]
; %bb.1264:                             ;   in Loop: Header=BB2_1215 Depth=3
	v_mov_b32_e32 v19, v22
; %bb.1265:                             ;   in Loop: Header=BB2_1215 Depth=3
	s_or_b64 exec, exec, s[26:27]
.LBB2_1266:                             ;   in Loop: Header=BB2_1215 Depth=3
	s_or_b64 exec, exec, s[36:37]
                                        ; implicit-def: $vgpr22
.LBB2_1267:                             ;   in Loop: Header=BB2_1215 Depth=3
	s_andn2_saveexec_b64 s[26:27], s[34:35]
; %bb.1268:                             ;   in Loop: Header=BB2_1215 Depth=3
	v_or_b32_e32 v19, 0x7e, v22
; %bb.1269:                             ;   in Loop: Header=BB2_1215 Depth=3
	s_or_b64 exec, exec, s[26:27]
                                        ; implicit-def: $vgpr10
.LBB2_1270:                             ;   in Loop: Header=BB2_1215 Depth=3
	s_andn2_saveexec_b64 s[26:27], s[30:31]
; %bb.1271:                             ;   in Loop: Header=BB2_1215 Depth=3
	v_or_b32_sdwa v19, v10, s85 dst_sel:DWORD dst_unused:UNUSED_PAD src0_sel:BYTE_3 src1_sel:DWORD
; %bb.1272:                             ;   in Loop: Header=BB2_1215 Depth=3
	s_or_b64 exec, exec, s[26:27]
	flat_load_ubyte v11, v[8:9] offset:128 glc slc
	v_mov_b32_e32 v22, 0
	s_waitcnt vmcnt(0) lgkmcnt(0)
	v_cmp_ne_u16_e32 vcc, 0, v11
	s_and_saveexec_b64 s[26:27], vcc
	s_cbranch_execz .LBB2_1278
; %bb.1273:                             ;   in Loop: Header=BB2_1215 Depth=3
	v_cmp_ne_u16_e32 vcc, s87, v11
	v_bfrev_b32_e32 v22, 1
	s_and_saveexec_b64 s[30:31], vcc
	s_cbranch_execz .LBB2_1277
; %bb.1274:                             ;   in Loop: Header=BB2_1215 Depth=3
	v_and_b32_e32 v10, 0xffff, v11
	v_and_b32_e32 v23, 0x7f, v10
	v_cmp_ne_u32_e32 vcc, s85, v23
	v_mov_b32_e32 v22, 0x7f800001
	s_and_saveexec_b64 s[34:35], vcc
	s_cbranch_execz .LBB2_1276
; %bb.1275:                             ;   in Loop: Header=BB2_1215 Depth=3
	v_and_b32_e32 v24, 7, v10
	v_ffbh_u32_e32 v22, v24
	v_min_u32_e32 v28, 32, v22
	v_subrev_u32_e32 v22, 28, v28
	v_lshrrev_b32_e32 v25, 3, v23
	v_cmp_gt_u32_e32 vcc, 8, v23
	v_lshlrev_b64 v[22:23], v22, v[10:11]
	v_sub_u32_e32 v10, 29, v28
	v_and_b32_e32 v22, 7, v22
	v_cndmask_b32_e32 v10, v25, v10, vcc
	v_cndmask_b32_e32 v22, v24, v22, vcc
	v_lshlrev_b32_e32 v11, 24, v11
	v_lshlrev_b32_e32 v22, 20, v22
	v_and_b32_e32 v11, 0x80000000, v11
	v_lshl_add_u32 v10, v10, 23, v17
	v_or3_b32 v22, v11, v10, v22
.LBB2_1276:                             ;   in Loop: Header=BB2_1215 Depth=3
	s_or_b64 exec, exec, s[34:35]
.LBB2_1277:                             ;   in Loop: Header=BB2_1215 Depth=3
	s_or_b64 exec, exec, s[30:31]
.LBB2_1278:                             ;   in Loop: Header=BB2_1215 Depth=3
	s_or_b64 exec, exec, s[26:27]
	v_mul_f32_e32 v10, s45, v22
	v_and_b32_e32 v28, 0x7f800000, v10
	v_cmp_ne_u64_e32 vcc, s[76:77], v[28:29]
                                        ; implicit-def: $vgpr22
	s_and_saveexec_b64 s[26:27], vcc
	s_xor_b64 s[30:31], exec, s[26:27]
	s_cbranch_execz .LBB2_1296
; %bb.1279:                             ;   in Loop: Header=BB2_1215 Depth=3
	v_and_b32_e32 v28, 0x7fffffff, v10
	v_cmp_gt_u64_e32 vcc, s[78:79], v[28:29]
	v_and_b32_sdwa v23, v10, s87 dst_sel:DWORD dst_unused:UNUSED_PAD src0_sel:BYTE_3 src1_sel:DWORD
                                        ; implicit-def: $vgpr22
	s_and_saveexec_b64 s[26:27], vcc
	s_xor_b64 s[34:35], exec, s[26:27]
	s_cbranch_execz .LBB2_1293
; %bb.1280:                             ;   in Loop: Header=BB2_1215 Depth=3
	v_cmp_ne_u32_e32 vcc, 0, v10
	v_mov_b32_e32 v22, 0
	s_and_saveexec_b64 s[36:37], vcc
	s_cbranch_execz .LBB2_1292
; %bb.1281:                             ;   in Loop: Header=BB2_1215 Depth=3
	v_bfe_u32 v22, v10, 23, 8
	v_and_b32_e32 v11, 0x7fffff, v10
	v_cmp_gt_u32_e64 s[26:27], s96, v22
	v_sub_u32_e32 v10, 0x79, v22
	v_cmp_eq_u32_e32 vcc, 0, v22
	v_cndmask_b32_e64 v10, 0, v10, s[26:27]
	v_cndmask_b32_e32 v24, v10, v36, vcc
	v_or_b32_e32 v25, 0x800000, v11
	v_add_u32_e32 v10, 20, v24
	v_cndmask_b32_e32 v28, v25, v11, vcc
	v_lshlrev_b64 v[10:11], v10, -1
	v_add_u32_e32 v25, 19, v24
	v_lshlrev_b64 v[30:31], v25, 1
	v_bfi_b32 v11, v11, 0, 0
	v_bfi_b32 v10, v10, 0, v28
	v_cmp_eq_u64_e64 s[26:27], v[10:11], v[30:31]
	v_lshrrev_b64 v[10:11], v24, v[28:29]
	v_mov_b32_e32 v43, v11
	v_mov_b32_e32 v42, v10
	s_and_saveexec_b64 s[38:39], s[26:27]
; %bb.1282:                             ;   in Loop: Header=BB2_1215 Depth=3
	v_bfe_u32 v11, v10, 20, 1
	v_add_co_u32_e64 v11, s[26:27], v10, v11
	v_add_co_u32_e64 v42, s[26:27], -1, v11
; %bb.1283:                             ;   in Loop: Header=BB2_1215 Depth=3
	s_or_b64 exec, exec, s[38:39]
	v_add_u32_e32 v11, 0xffffff81, v22
	v_cndmask_b32_e32 v11, v11, v37, vcc
	v_lshrrev_b32_e32 v22, 23, v10
	v_add3_u32 v25, v24, v11, v22
	v_add_u32_e32 v22, 6, v25
	v_and_b32_e32 v11, 0xfffff, v42
	v_add_u32_e32 v28, v11, v10
	v_cmp_ne_u32_e32 vcc, 0, v22
                                        ; implicit-def: $vgpr10_vgpr11
                                        ; implicit-def: $vgpr24
	s_and_saveexec_b64 s[26:27], vcc
	s_xor_b64 s[26:27], exec, s[26:27]
; %bb.1284:                             ;   in Loop: Header=BB2_1215 Depth=3
	v_cmp_lt_u64_e32 vcc, s[88:89], v[28:29]
	v_add_u32_e32 v10, 7, v25
	v_cndmask_b32_e32 v24, v22, v10, vcc
	v_cndmask_b32_e64 v10, 0, 1, vcc
	v_lshrrev_b64 v[10:11], v10, v[28:29]
; %bb.1285:                             ;   in Loop: Header=BB2_1215 Depth=3
	s_andn2_saveexec_b64 s[26:27], s[26:27]
; %bb.1286:                             ;   in Loop: Header=BB2_1215 Depth=3
	v_mov_b32_e32 v10, v28
	v_bfe_u32 v24, v28, 23, 1
	v_mov_b32_e32 v11, v29
; %bb.1287:                             ;   in Loop: Header=BB2_1215 Depth=3
	s_or_b64 exec, exec, s[26:27]
	v_lshrrev_b64 v[10:11], 20, v[10:11]
	v_cmp_gt_i32_e32 vcc, 16, v24
	v_cndmask_b32_e32 v11, 0, v11, vcc
	v_cndmask_b32_e32 v10, 7, v10, vcc
	v_cmp_ne_u64_e32 vcc, 0, v[10:11]
	v_cmp_ne_u32_e64 s[26:27], 0, v24
	s_or_b64 s[26:27], s[26:27], vcc
                                        ; implicit-def: $vgpr22
	s_and_saveexec_b64 vcc, s[26:27]
	s_xor_b64 s[26:27], exec, vcc
; %bb.1288:                             ;   in Loop: Header=BB2_1215 Depth=3
	v_min_i32_e32 v11, 15, v24
	v_lshl_or_b32 v11, v11, 3, v23
	v_and_or_b32 v22, v10, 7, v11
                                        ; implicit-def: $vgpr23
; %bb.1289:                             ;   in Loop: Header=BB2_1215 Depth=3
	s_andn2_saveexec_b64 s[26:27], s[26:27]
; %bb.1290:                             ;   in Loop: Header=BB2_1215 Depth=3
	v_mov_b32_e32 v22, v23
; %bb.1291:                             ;   in Loop: Header=BB2_1215 Depth=3
	s_or_b64 exec, exec, s[26:27]
.LBB2_1292:                             ;   in Loop: Header=BB2_1215 Depth=3
	s_or_b64 exec, exec, s[36:37]
                                        ; implicit-def: $vgpr23
.LBB2_1293:                             ;   in Loop: Header=BB2_1215 Depth=3
	s_andn2_saveexec_b64 s[26:27], s[34:35]
; %bb.1294:                             ;   in Loop: Header=BB2_1215 Depth=3
	v_or_b32_e32 v22, 0x7e, v23
; %bb.1295:                             ;   in Loop: Header=BB2_1215 Depth=3
	s_or_b64 exec, exec, s[26:27]
                                        ; implicit-def: $vgpr10
.LBB2_1296:                             ;   in Loop: Header=BB2_1215 Depth=3
	s_andn2_saveexec_b64 s[26:27], s[30:31]
; %bb.1297:                             ;   in Loop: Header=BB2_1215 Depth=3
	v_or_b32_sdwa v22, v10, s85 dst_sel:DWORD dst_unused:UNUSED_PAD src0_sel:BYTE_3 src1_sel:DWORD
; %bb.1298:                             ;   in Loop: Header=BB2_1215 Depth=3
	s_or_b64 exec, exec, s[26:27]
	flat_load_ubyte v11, v[8:9] offset:192 glc slc
	v_mov_b32_e32 v23, 0
	s_waitcnt vmcnt(0) lgkmcnt(0)
	v_cmp_ne_u16_e32 vcc, 0, v11
	s_and_saveexec_b64 s[26:27], vcc
	s_cbranch_execz .LBB2_1304
; %bb.1299:                             ;   in Loop: Header=BB2_1215 Depth=3
	v_cmp_ne_u16_e32 vcc, s87, v11
	v_bfrev_b32_e32 v23, 1
	s_and_saveexec_b64 s[30:31], vcc
	s_cbranch_execz .LBB2_1303
; %bb.1300:                             ;   in Loop: Header=BB2_1215 Depth=3
	v_and_b32_e32 v10, 0xffff, v11
	v_and_b32_e32 v24, 0x7f, v10
	v_cmp_ne_u32_e32 vcc, s85, v24
	v_mov_b32_e32 v23, 0x7f800001
	s_and_saveexec_b64 s[34:35], vcc
	s_cbranch_execz .LBB2_1302
; %bb.1301:                             ;   in Loop: Header=BB2_1215 Depth=3
	v_and_b32_e32 v25, 7, v10
	v_ffbh_u32_e32 v23, v25
	v_min_u32_e32 v30, 32, v23
	v_subrev_u32_e32 v23, 28, v30
	v_lshrrev_b32_e32 v28, 3, v24
	v_cmp_gt_u32_e32 vcc, 8, v24
	v_lshlrev_b64 v[23:24], v23, v[10:11]
	v_sub_u32_e32 v10, 29, v30
	v_and_b32_e32 v23, 7, v23
	v_cndmask_b32_e32 v10, v28, v10, vcc
	v_cndmask_b32_e32 v23, v25, v23, vcc
	v_lshlrev_b32_e32 v11, 24, v11
	v_lshlrev_b32_e32 v23, 20, v23
	v_and_b32_e32 v11, 0x80000000, v11
	v_lshl_add_u32 v10, v10, 23, v17
	v_or3_b32 v23, v11, v10, v23
.LBB2_1302:                             ;   in Loop: Header=BB2_1215 Depth=3
	s_or_b64 exec, exec, s[34:35]
.LBB2_1303:                             ;   in Loop: Header=BB2_1215 Depth=3
	s_or_b64 exec, exec, s[30:31]
.LBB2_1304:                             ;   in Loop: Header=BB2_1215 Depth=3
	s_or_b64 exec, exec, s[26:27]
	v_mul_f32_e32 v10, s45, v23
	v_and_b32_e32 v28, 0x7f800000, v10
	v_cmp_ne_u64_e32 vcc, s[76:77], v[28:29]
                                        ; implicit-def: $vgpr23
	s_and_saveexec_b64 s[26:27], vcc
	s_xor_b64 s[30:31], exec, s[26:27]
	s_cbranch_execz .LBB2_1322
; %bb.1305:                             ;   in Loop: Header=BB2_1215 Depth=3
	v_and_b32_e32 v28, 0x7fffffff, v10
	v_cmp_gt_u64_e32 vcc, s[78:79], v[28:29]
	v_and_b32_sdwa v24, v10, s87 dst_sel:DWORD dst_unused:UNUSED_PAD src0_sel:BYTE_3 src1_sel:DWORD
                                        ; implicit-def: $vgpr23
	s_and_saveexec_b64 s[26:27], vcc
	s_xor_b64 s[34:35], exec, s[26:27]
	s_cbranch_execz .LBB2_1319
; %bb.1306:                             ;   in Loop: Header=BB2_1215 Depth=3
	v_cmp_ne_u32_e32 vcc, 0, v10
	v_mov_b32_e32 v23, 0
	s_and_saveexec_b64 s[36:37], vcc
	s_cbranch_execz .LBB2_1318
; %bb.1307:                             ;   in Loop: Header=BB2_1215 Depth=3
	v_bfe_u32 v23, v10, 23, 8
	v_and_b32_e32 v11, 0x7fffff, v10
	v_cmp_gt_u32_e64 s[26:27], s96, v23
	v_sub_u32_e32 v10, 0x79, v23
	v_cmp_eq_u32_e32 vcc, 0, v23
	v_cndmask_b32_e64 v10, 0, v10, s[26:27]
	v_cndmask_b32_e32 v25, v10, v36, vcc
	v_or_b32_e32 v28, 0x800000, v11
	v_add_u32_e32 v10, 20, v25
	v_cndmask_b32_e32 v28, v28, v11, vcc
	v_lshlrev_b64 v[10:11], v10, -1
	v_add_u32_e32 v30, 19, v25
	v_lshlrev_b64 v[30:31], v30, 1
	v_bfi_b32 v11, v11, 0, 0
	v_bfi_b32 v10, v10, 0, v28
	v_cmp_eq_u64_e64 s[26:27], v[10:11], v[30:31]
	v_lshrrev_b64 v[10:11], v25, v[28:29]
	v_mov_b32_e32 v43, v11
	v_mov_b32_e32 v42, v10
	s_and_saveexec_b64 s[38:39], s[26:27]
; %bb.1308:                             ;   in Loop: Header=BB2_1215 Depth=3
	v_bfe_u32 v11, v10, 20, 1
	v_add_co_u32_e64 v11, s[26:27], v10, v11
	v_add_co_u32_e64 v42, s[26:27], -1, v11
; %bb.1309:                             ;   in Loop: Header=BB2_1215 Depth=3
	s_or_b64 exec, exec, s[38:39]
	v_add_u32_e32 v11, 0xffffff81, v23
	v_cndmask_b32_e32 v11, v11, v37, vcc
	v_lshrrev_b32_e32 v23, 23, v10
	v_add3_u32 v30, v25, v11, v23
	v_add_u32_e32 v23, 6, v30
	v_and_b32_e32 v11, 0xfffff, v42
	v_add_u32_e32 v28, v11, v10
	v_cmp_ne_u32_e32 vcc, 0, v23
                                        ; implicit-def: $vgpr10_vgpr11
                                        ; implicit-def: $vgpr25
	s_and_saveexec_b64 s[26:27], vcc
	s_xor_b64 s[26:27], exec, s[26:27]
; %bb.1310:                             ;   in Loop: Header=BB2_1215 Depth=3
	v_cmp_lt_u64_e32 vcc, s[88:89], v[28:29]
	v_add_u32_e32 v10, 7, v30
	v_cndmask_b32_e32 v25, v23, v10, vcc
	v_cndmask_b32_e64 v10, 0, 1, vcc
	v_lshrrev_b64 v[10:11], v10, v[28:29]
; %bb.1311:                             ;   in Loop: Header=BB2_1215 Depth=3
	s_andn2_saveexec_b64 s[26:27], s[26:27]
; %bb.1312:                             ;   in Loop: Header=BB2_1215 Depth=3
	v_mov_b32_e32 v10, v28
	v_bfe_u32 v25, v28, 23, 1
	v_mov_b32_e32 v11, v29
; %bb.1313:                             ;   in Loop: Header=BB2_1215 Depth=3
	s_or_b64 exec, exec, s[26:27]
	v_lshrrev_b64 v[10:11], 20, v[10:11]
	v_cmp_gt_i32_e32 vcc, 16, v25
	v_cndmask_b32_e32 v11, 0, v11, vcc
	v_cndmask_b32_e32 v10, 7, v10, vcc
	v_cmp_ne_u64_e32 vcc, 0, v[10:11]
	v_cmp_ne_u32_e64 s[26:27], 0, v25
	s_or_b64 s[26:27], s[26:27], vcc
                                        ; implicit-def: $vgpr23
	s_and_saveexec_b64 vcc, s[26:27]
	s_xor_b64 s[26:27], exec, vcc
; %bb.1314:                             ;   in Loop: Header=BB2_1215 Depth=3
	v_min_i32_e32 v11, 15, v25
	v_lshl_or_b32 v11, v11, 3, v24
	v_and_or_b32 v23, v10, 7, v11
                                        ; implicit-def: $vgpr24
; %bb.1315:                             ;   in Loop: Header=BB2_1215 Depth=3
	s_andn2_saveexec_b64 s[26:27], s[26:27]
; %bb.1316:                             ;   in Loop: Header=BB2_1215 Depth=3
	v_mov_b32_e32 v23, v24
; %bb.1317:                             ;   in Loop: Header=BB2_1215 Depth=3
	s_or_b64 exec, exec, s[26:27]
.LBB2_1318:                             ;   in Loop: Header=BB2_1215 Depth=3
	s_or_b64 exec, exec, s[36:37]
                                        ; implicit-def: $vgpr24
.LBB2_1319:                             ;   in Loop: Header=BB2_1215 Depth=3
	s_andn2_saveexec_b64 s[26:27], s[34:35]
; %bb.1320:                             ;   in Loop: Header=BB2_1215 Depth=3
	v_or_b32_e32 v23, 0x7e, v24
; %bb.1321:                             ;   in Loop: Header=BB2_1215 Depth=3
	s_or_b64 exec, exec, s[26:27]
                                        ; implicit-def: $vgpr10
.LBB2_1322:                             ;   in Loop: Header=BB2_1215 Depth=3
	s_andn2_saveexec_b64 s[26:27], s[30:31]
; %bb.1323:                             ;   in Loop: Header=BB2_1215 Depth=3
	v_or_b32_sdwa v23, v10, s85 dst_sel:DWORD dst_unused:UNUSED_PAD src0_sel:BYTE_3 src1_sel:DWORD
; %bb.1324:                             ;   in Loop: Header=BB2_1215 Depth=3
	s_or_b64 exec, exec, s[26:27]
	flat_load_ubyte v11, v[8:9] offset:256 glc slc
	v_mov_b32_e32 v24, 0
	s_waitcnt vmcnt(0) lgkmcnt(0)
	v_cmp_ne_u16_e32 vcc, 0, v11
	s_and_saveexec_b64 s[26:27], vcc
	s_cbranch_execz .LBB2_1330
; %bb.1325:                             ;   in Loop: Header=BB2_1215 Depth=3
	v_cmp_ne_u16_e32 vcc, s87, v11
	v_bfrev_b32_e32 v24, 1
	s_and_saveexec_b64 s[30:31], vcc
	s_cbranch_execz .LBB2_1329
; %bb.1326:                             ;   in Loop: Header=BB2_1215 Depth=3
	v_and_b32_e32 v10, 0xffff, v11
	v_and_b32_e32 v25, 0x7f, v10
	v_cmp_ne_u32_e32 vcc, s85, v25
	v_mov_b32_e32 v24, 0x7f800001
	s_and_saveexec_b64 s[34:35], vcc
	s_cbranch_execz .LBB2_1328
; %bb.1327:                             ;   in Loop: Header=BB2_1215 Depth=3
	v_and_b32_e32 v28, 7, v10
	v_ffbh_u32_e32 v24, v28
	v_min_u32_e32 v31, 32, v24
	v_subrev_u32_e32 v24, 28, v31
	v_lshrrev_b32_e32 v30, 3, v25
	v_cmp_gt_u32_e32 vcc, 8, v25
	v_lshlrev_b64 v[24:25], v24, v[10:11]
	v_sub_u32_e32 v10, 29, v31
	v_and_b32_e32 v24, 7, v24
	v_cndmask_b32_e32 v10, v30, v10, vcc
	v_cndmask_b32_e32 v24, v28, v24, vcc
	v_lshlrev_b32_e32 v11, 24, v11
	v_lshlrev_b32_e32 v24, 20, v24
	v_and_b32_e32 v11, 0x80000000, v11
	v_lshl_add_u32 v10, v10, 23, v17
	v_or3_b32 v24, v11, v10, v24
.LBB2_1328:                             ;   in Loop: Header=BB2_1215 Depth=3
	s_or_b64 exec, exec, s[34:35]
.LBB2_1329:                             ;   in Loop: Header=BB2_1215 Depth=3
	s_or_b64 exec, exec, s[30:31]
.LBB2_1330:                             ;   in Loop: Header=BB2_1215 Depth=3
	s_or_b64 exec, exec, s[26:27]
	v_mul_f32_e32 v10, s45, v24
	v_and_b32_e32 v28, 0x7f800000, v10
	v_cmp_ne_u64_e32 vcc, s[76:77], v[28:29]
                                        ; implicit-def: $vgpr24
	s_and_saveexec_b64 s[26:27], vcc
	s_xor_b64 s[30:31], exec, s[26:27]
	s_cbranch_execz .LBB2_1348
; %bb.1331:                             ;   in Loop: Header=BB2_1215 Depth=3
	v_and_b32_e32 v28, 0x7fffffff, v10
	v_cmp_gt_u64_e32 vcc, s[78:79], v[28:29]
	v_and_b32_sdwa v25, v10, s87 dst_sel:DWORD dst_unused:UNUSED_PAD src0_sel:BYTE_3 src1_sel:DWORD
                                        ; implicit-def: $vgpr24
	s_and_saveexec_b64 s[26:27], vcc
	s_xor_b64 s[34:35], exec, s[26:27]
	s_cbranch_execz .LBB2_1345
; %bb.1332:                             ;   in Loop: Header=BB2_1215 Depth=3
	v_cmp_ne_u32_e32 vcc, 0, v10
	v_mov_b32_e32 v24, 0
	s_and_saveexec_b64 s[36:37], vcc
	s_cbranch_execz .LBB2_1344
; %bb.1333:                             ;   in Loop: Header=BB2_1215 Depth=3
	v_bfe_u32 v24, v10, 23, 8
	v_and_b32_e32 v11, 0x7fffff, v10
	v_cmp_gt_u32_e64 s[26:27], s96, v24
	v_sub_u32_e32 v10, 0x79, v24
	v_cmp_eq_u32_e32 vcc, 0, v24
	v_cndmask_b32_e64 v10, 0, v10, s[26:27]
	v_cndmask_b32_e32 v30, v10, v36, vcc
	v_or_b32_e32 v28, 0x800000, v11
	v_add_u32_e32 v10, 20, v30
	v_cndmask_b32_e32 v28, v28, v11, vcc
	v_lshlrev_b64 v[10:11], v10, -1
	v_add_u32_e32 v31, 19, v30
	v_lshlrev_b64 v[33:34], v31, 1
	v_bfi_b32 v11, v11, 0, 0
	v_bfi_b32 v10, v10, 0, v28
	v_cmp_eq_u64_e64 s[26:27], v[10:11], v[33:34]
	v_lshrrev_b64 v[10:11], v30, v[28:29]
	v_mov_b32_e32 v43, v11
	v_mov_b32_e32 v42, v10
	s_and_saveexec_b64 s[38:39], s[26:27]
; %bb.1334:                             ;   in Loop: Header=BB2_1215 Depth=3
	v_bfe_u32 v11, v10, 20, 1
	v_add_co_u32_e64 v11, s[26:27], v10, v11
	v_add_co_u32_e64 v42, s[26:27], -1, v11
; %bb.1335:                             ;   in Loop: Header=BB2_1215 Depth=3
	s_or_b64 exec, exec, s[38:39]
	v_add_u32_e32 v11, 0xffffff81, v24
	v_cndmask_b32_e32 v11, v11, v37, vcc
	v_lshrrev_b32_e32 v24, 23, v10
	v_add3_u32 v31, v30, v11, v24
	v_add_u32_e32 v24, 6, v31
	v_and_b32_e32 v11, 0xfffff, v42
	v_add_u32_e32 v28, v11, v10
	v_cmp_ne_u32_e32 vcc, 0, v24
                                        ; implicit-def: $vgpr10_vgpr11
                                        ; implicit-def: $vgpr30
	s_and_saveexec_b64 s[26:27], vcc
	s_xor_b64 s[26:27], exec, s[26:27]
; %bb.1336:                             ;   in Loop: Header=BB2_1215 Depth=3
	v_cmp_lt_u64_e32 vcc, s[88:89], v[28:29]
	v_add_u32_e32 v10, 7, v31
	v_cndmask_b32_e32 v30, v24, v10, vcc
	v_cndmask_b32_e64 v10, 0, 1, vcc
	v_lshrrev_b64 v[10:11], v10, v[28:29]
; %bb.1337:                             ;   in Loop: Header=BB2_1215 Depth=3
	s_andn2_saveexec_b64 s[26:27], s[26:27]
; %bb.1338:                             ;   in Loop: Header=BB2_1215 Depth=3
	v_mov_b32_e32 v10, v28
	v_bfe_u32 v30, v28, 23, 1
	v_mov_b32_e32 v11, v29
; %bb.1339:                             ;   in Loop: Header=BB2_1215 Depth=3
	s_or_b64 exec, exec, s[26:27]
	v_lshrrev_b64 v[10:11], 20, v[10:11]
	v_cmp_gt_i32_e32 vcc, 16, v30
	v_cndmask_b32_e32 v11, 0, v11, vcc
	v_cndmask_b32_e32 v10, 7, v10, vcc
	v_cmp_ne_u64_e32 vcc, 0, v[10:11]
	v_cmp_ne_u32_e64 s[26:27], 0, v30
	s_or_b64 s[26:27], s[26:27], vcc
                                        ; implicit-def: $vgpr24
	s_and_saveexec_b64 vcc, s[26:27]
	s_xor_b64 s[26:27], exec, vcc
; %bb.1340:                             ;   in Loop: Header=BB2_1215 Depth=3
	v_min_i32_e32 v11, 15, v30
	v_lshl_or_b32 v11, v11, 3, v25
	v_and_or_b32 v24, v10, 7, v11
                                        ; implicit-def: $vgpr25
; %bb.1341:                             ;   in Loop: Header=BB2_1215 Depth=3
	s_andn2_saveexec_b64 s[26:27], s[26:27]
; %bb.1342:                             ;   in Loop: Header=BB2_1215 Depth=3
	v_mov_b32_e32 v24, v25
; %bb.1343:                             ;   in Loop: Header=BB2_1215 Depth=3
	s_or_b64 exec, exec, s[26:27]
.LBB2_1344:                             ;   in Loop: Header=BB2_1215 Depth=3
	s_or_b64 exec, exec, s[36:37]
                                        ; implicit-def: $vgpr25
.LBB2_1345:                             ;   in Loop: Header=BB2_1215 Depth=3
	s_andn2_saveexec_b64 s[26:27], s[34:35]
; %bb.1346:                             ;   in Loop: Header=BB2_1215 Depth=3
	v_or_b32_e32 v24, 0x7e, v25
; %bb.1347:                             ;   in Loop: Header=BB2_1215 Depth=3
	s_or_b64 exec, exec, s[26:27]
                                        ; implicit-def: $vgpr10
.LBB2_1348:                             ;   in Loop: Header=BB2_1215 Depth=3
	s_andn2_saveexec_b64 s[26:27], s[30:31]
; %bb.1349:                             ;   in Loop: Header=BB2_1215 Depth=3
	v_or_b32_sdwa v24, v10, s85 dst_sel:DWORD dst_unused:UNUSED_PAD src0_sel:BYTE_3 src1_sel:DWORD
; %bb.1350:                             ;   in Loop: Header=BB2_1215 Depth=3
	s_or_b64 exec, exec, s[26:27]
	flat_load_ubyte v11, v[8:9] offset:320 glc slc
	v_mov_b32_e32 v25, 0
	s_waitcnt vmcnt(0) lgkmcnt(0)
	v_cmp_ne_u16_e32 vcc, 0, v11
	s_and_saveexec_b64 s[26:27], vcc
	s_cbranch_execz .LBB2_1356
; %bb.1351:                             ;   in Loop: Header=BB2_1215 Depth=3
	v_cmp_ne_u16_e32 vcc, s87, v11
	v_bfrev_b32_e32 v25, 1
	s_and_saveexec_b64 s[30:31], vcc
	s_cbranch_execz .LBB2_1355
; %bb.1352:                             ;   in Loop: Header=BB2_1215 Depth=3
	v_and_b32_e32 v10, 0xffff, v11
	v_and_b32_e32 v28, 0x7f, v10
	v_cmp_ne_u32_e32 vcc, s85, v28
	v_mov_b32_e32 v25, 0x7f800001
	s_and_saveexec_b64 s[34:35], vcc
	s_cbranch_execz .LBB2_1354
; %bb.1353:                             ;   in Loop: Header=BB2_1215 Depth=3
	v_and_b32_e32 v25, 7, v10
	v_lshrrev_b32_e32 v33, 3, v28
	v_cmp_gt_u32_e32 vcc, 8, v28
	v_ffbh_u32_e32 v28, v25
	v_min_u32_e32 v28, 32, v28
	v_subrev_u32_e32 v30, 28, v28
	v_lshlrev_b64 v[30:31], v30, v[10:11]
	v_sub_u32_e32 v10, 29, v28
	v_and_b32_e32 v28, 7, v30
	v_cndmask_b32_e32 v10, v33, v10, vcc
	v_cndmask_b32_e32 v25, v25, v28, vcc
	v_lshlrev_b32_e32 v11, 24, v11
	v_lshlrev_b32_e32 v25, 20, v25
	v_and_b32_e32 v11, 0x80000000, v11
	v_lshl_add_u32 v10, v10, 23, v17
	v_or3_b32 v25, v11, v10, v25
.LBB2_1354:                             ;   in Loop: Header=BB2_1215 Depth=3
	s_or_b64 exec, exec, s[34:35]
.LBB2_1355:                             ;   in Loop: Header=BB2_1215 Depth=3
	s_or_b64 exec, exec, s[30:31]
.LBB2_1356:                             ;   in Loop: Header=BB2_1215 Depth=3
	s_or_b64 exec, exec, s[26:27]
	v_mul_f32_e32 v10, s45, v25
	v_and_b32_e32 v28, 0x7f800000, v10
	v_cmp_ne_u64_e32 vcc, s[76:77], v[28:29]
                                        ; implicit-def: $vgpr25
	s_and_saveexec_b64 s[26:27], vcc
	s_xor_b64 s[30:31], exec, s[26:27]
	s_cbranch_execz .LBB2_1374
; %bb.1357:                             ;   in Loop: Header=BB2_1215 Depth=3
	v_and_b32_e32 v28, 0x7fffffff, v10
	v_cmp_gt_u64_e32 vcc, s[78:79], v[28:29]
	v_and_b32_sdwa v30, v10, s87 dst_sel:DWORD dst_unused:UNUSED_PAD src0_sel:BYTE_3 src1_sel:DWORD
                                        ; implicit-def: $vgpr25
	s_and_saveexec_b64 s[26:27], vcc
	s_xor_b64 s[34:35], exec, s[26:27]
	s_cbranch_execz .LBB2_1371
; %bb.1358:                             ;   in Loop: Header=BB2_1215 Depth=3
	v_cmp_ne_u32_e32 vcc, 0, v10
	v_mov_b32_e32 v25, 0
	s_and_saveexec_b64 s[36:37], vcc
	s_cbranch_execz .LBB2_1370
; %bb.1359:                             ;   in Loop: Header=BB2_1215 Depth=3
	v_bfe_u32 v25, v10, 23, 8
	v_and_b32_e32 v11, 0x7fffff, v10
	v_cmp_gt_u32_e64 s[26:27], s96, v25
	v_sub_u32_e32 v10, 0x79, v25
	v_cmp_eq_u32_e32 vcc, 0, v25
	v_cndmask_b32_e64 v10, 0, v10, s[26:27]
	v_cndmask_b32_e32 v31, v10, v36, vcc
	v_or_b32_e32 v28, 0x800000, v11
	v_add_u32_e32 v10, 20, v31
	v_cndmask_b32_e32 v28, v28, v11, vcc
	v_lshlrev_b64 v[10:11], v10, -1
	v_add_u32_e32 v33, 19, v31
	v_lshlrev_b64 v[33:34], v33, 1
	v_bfi_b32 v11, v11, 0, 0
	v_bfi_b32 v10, v10, 0, v28
	v_cmp_eq_u64_e64 s[26:27], v[10:11], v[33:34]
	v_lshrrev_b64 v[10:11], v31, v[28:29]
	v_mov_b32_e32 v43, v11
	v_mov_b32_e32 v42, v10
	s_and_saveexec_b64 s[38:39], s[26:27]
; %bb.1360:                             ;   in Loop: Header=BB2_1215 Depth=3
	v_bfe_u32 v11, v10, 20, 1
	v_add_co_u32_e64 v11, s[26:27], v10, v11
	v_add_co_u32_e64 v42, s[26:27], -1, v11
; %bb.1361:                             ;   in Loop: Header=BB2_1215 Depth=3
	s_or_b64 exec, exec, s[38:39]
	v_add_u32_e32 v11, 0xffffff81, v25
	v_cndmask_b32_e32 v11, v11, v37, vcc
	v_lshrrev_b32_e32 v25, 23, v10
	v_add3_u32 v33, v31, v11, v25
	v_add_u32_e32 v25, 6, v33
	v_and_b32_e32 v11, 0xfffff, v42
	v_add_u32_e32 v28, v11, v10
	v_cmp_ne_u32_e32 vcc, 0, v25
                                        ; implicit-def: $vgpr10_vgpr11
                                        ; implicit-def: $vgpr31
	s_and_saveexec_b64 s[26:27], vcc
	s_xor_b64 s[26:27], exec, s[26:27]
; %bb.1362:                             ;   in Loop: Header=BB2_1215 Depth=3
	v_cmp_lt_u64_e32 vcc, s[88:89], v[28:29]
	v_add_u32_e32 v10, 7, v33
	v_cndmask_b32_e32 v31, v25, v10, vcc
	v_cndmask_b32_e64 v10, 0, 1, vcc
	v_lshrrev_b64 v[10:11], v10, v[28:29]
; %bb.1363:                             ;   in Loop: Header=BB2_1215 Depth=3
	s_andn2_saveexec_b64 s[26:27], s[26:27]
; %bb.1364:                             ;   in Loop: Header=BB2_1215 Depth=3
	v_mov_b32_e32 v10, v28
	v_bfe_u32 v31, v28, 23, 1
	v_mov_b32_e32 v11, v29
; %bb.1365:                             ;   in Loop: Header=BB2_1215 Depth=3
	s_or_b64 exec, exec, s[26:27]
	v_lshrrev_b64 v[10:11], 20, v[10:11]
	v_cmp_gt_i32_e32 vcc, 16, v31
	v_cndmask_b32_e32 v11, 0, v11, vcc
	v_cndmask_b32_e32 v10, 7, v10, vcc
	v_cmp_ne_u64_e32 vcc, 0, v[10:11]
	v_cmp_ne_u32_e64 s[26:27], 0, v31
	s_or_b64 s[26:27], s[26:27], vcc
                                        ; implicit-def: $vgpr25
	s_and_saveexec_b64 vcc, s[26:27]
	s_xor_b64 s[26:27], exec, vcc
; %bb.1366:                             ;   in Loop: Header=BB2_1215 Depth=3
	v_min_i32_e32 v11, 15, v31
	v_lshl_or_b32 v11, v11, 3, v30
	v_and_or_b32 v25, v10, 7, v11
                                        ; implicit-def: $vgpr30
; %bb.1367:                             ;   in Loop: Header=BB2_1215 Depth=3
	s_andn2_saveexec_b64 s[26:27], s[26:27]
; %bb.1368:                             ;   in Loop: Header=BB2_1215 Depth=3
	v_mov_b32_e32 v25, v30
; %bb.1369:                             ;   in Loop: Header=BB2_1215 Depth=3
	s_or_b64 exec, exec, s[26:27]
.LBB2_1370:                             ;   in Loop: Header=BB2_1215 Depth=3
	s_or_b64 exec, exec, s[36:37]
                                        ; implicit-def: $vgpr30
.LBB2_1371:                             ;   in Loop: Header=BB2_1215 Depth=3
	s_andn2_saveexec_b64 s[26:27], s[34:35]
; %bb.1372:                             ;   in Loop: Header=BB2_1215 Depth=3
	v_or_b32_e32 v25, 0x7e, v30
; %bb.1373:                             ;   in Loop: Header=BB2_1215 Depth=3
	s_or_b64 exec, exec, s[26:27]
                                        ; implicit-def: $vgpr10
.LBB2_1374:                             ;   in Loop: Header=BB2_1215 Depth=3
	s_andn2_saveexec_b64 s[26:27], s[30:31]
; %bb.1375:                             ;   in Loop: Header=BB2_1215 Depth=3
	v_or_b32_sdwa v25, v10, s85 dst_sel:DWORD dst_unused:UNUSED_PAD src0_sel:BYTE_3 src1_sel:DWORD
; %bb.1376:                             ;   in Loop: Header=BB2_1215 Depth=3
	s_or_b64 exec, exec, s[26:27]
	flat_load_ubyte v11, v[8:9] offset:384 glc slc
	v_mov_b32_e32 v28, 0
	s_waitcnt vmcnt(0) lgkmcnt(0)
	v_cmp_ne_u16_e32 vcc, 0, v11
	s_and_saveexec_b64 s[26:27], vcc
	s_cbranch_execz .LBB2_1382
; %bb.1377:                             ;   in Loop: Header=BB2_1215 Depth=3
	v_cmp_ne_u16_e32 vcc, s87, v11
	v_bfrev_b32_e32 v28, 1
	s_and_saveexec_b64 s[30:31], vcc
	s_cbranch_execz .LBB2_1381
; %bb.1378:                             ;   in Loop: Header=BB2_1215 Depth=3
	v_and_b32_e32 v10, 0xffff, v11
	v_and_b32_e32 v30, 0x7f, v10
	v_cmp_ne_u32_e32 vcc, s85, v30
	v_mov_b32_e32 v28, 0x7f800001
	s_and_saveexec_b64 s[34:35], vcc
	s_cbranch_execz .LBB2_1380
; %bb.1379:                             ;   in Loop: Header=BB2_1215 Depth=3
	v_and_b32_e32 v28, 7, v10
	v_lshrrev_b32_e32 v33, 3, v30
	v_cmp_gt_u32_e32 vcc, 8, v30
	v_ffbh_u32_e32 v30, v28
	v_min_u32_e32 v34, 32, v30
	v_subrev_u32_e32 v30, 28, v34
	v_lshlrev_b64 v[30:31], v30, v[10:11]
	v_sub_u32_e32 v10, 29, v34
	v_and_b32_e32 v30, 7, v30
	v_cndmask_b32_e32 v10, v33, v10, vcc
	v_cndmask_b32_e32 v28, v28, v30, vcc
	v_lshlrev_b32_e32 v11, 24, v11
	v_lshlrev_b32_e32 v28, 20, v28
	v_and_b32_e32 v11, 0x80000000, v11
	v_lshl_add_u32 v10, v10, 23, v17
	v_or3_b32 v28, v11, v10, v28
.LBB2_1380:                             ;   in Loop: Header=BB2_1215 Depth=3
	s_or_b64 exec, exec, s[34:35]
.LBB2_1381:                             ;   in Loop: Header=BB2_1215 Depth=3
	s_or_b64 exec, exec, s[30:31]
.LBB2_1382:                             ;   in Loop: Header=BB2_1215 Depth=3
	s_or_b64 exec, exec, s[26:27]
	v_mul_f32_e32 v10, s45, v28
	v_and_b32_e32 v28, 0x7f800000, v10
	v_cmp_ne_u64_e32 vcc, s[76:77], v[28:29]
                                        ; implicit-def: $vgpr11
	s_and_saveexec_b64 s[26:27], vcc
	s_xor_b64 s[30:31], exec, s[26:27]
	s_cbranch_execz .LBB2_1400
; %bb.1383:                             ;   in Loop: Header=BB2_1215 Depth=3
	v_and_b32_e32 v28, 0x7fffffff, v10
	v_cmp_gt_u64_e32 vcc, s[78:79], v[28:29]
	v_and_b32_sdwa v30, v10, s87 dst_sel:DWORD dst_unused:UNUSED_PAD src0_sel:BYTE_3 src1_sel:DWORD
                                        ; implicit-def: $vgpr11
	s_and_saveexec_b64 s[26:27], vcc
	s_xor_b64 s[34:35], exec, s[26:27]
	s_cbranch_execz .LBB2_1397
; %bb.1384:                             ;   in Loop: Header=BB2_1215 Depth=3
	v_cmp_ne_u32_e32 vcc, 0, v10
	v_mov_b32_e32 v11, 0
	s_and_saveexec_b64 s[36:37], vcc
	s_cbranch_execz .LBB2_1396
; %bb.1385:                             ;   in Loop: Header=BB2_1215 Depth=3
	v_bfe_u32 v31, v10, 23, 8
	v_and_b32_e32 v11, 0x7fffff, v10
	v_cmp_gt_u32_e64 s[26:27], s96, v31
	v_sub_u32_e32 v10, 0x79, v31
	v_cmp_eq_u32_e32 vcc, 0, v31
	v_cndmask_b32_e64 v10, 0, v10, s[26:27]
	v_cndmask_b32_e32 v33, v10, v36, vcc
	v_or_b32_e32 v28, 0x800000, v11
	v_add_u32_e32 v10, 20, v33
	v_cndmask_b32_e32 v28, v28, v11, vcc
	v_lshlrev_b64 v[10:11], v10, -1
	v_add_u32_e32 v34, 19, v33
	v_lshlrev_b64 v[34:35], v34, 1
	v_bfi_b32 v11, v11, 0, 0
	v_bfi_b32 v10, v10, 0, v28
	v_cmp_eq_u64_e64 s[26:27], v[10:11], v[34:35]
	v_lshrrev_b64 v[10:11], v33, v[28:29]
	v_mov_b32_e32 v43, v11
	v_mov_b32_e32 v42, v10
	s_and_saveexec_b64 s[38:39], s[26:27]
; %bb.1386:                             ;   in Loop: Header=BB2_1215 Depth=3
	v_bfe_u32 v11, v10, 20, 1
	v_add_co_u32_e64 v11, s[26:27], v10, v11
	v_add_co_u32_e64 v42, s[26:27], -1, v11
; %bb.1387:                             ;   in Loop: Header=BB2_1215 Depth=3
	s_or_b64 exec, exec, s[38:39]
	v_add_u32_e32 v11, 0xffffff81, v31
	v_cndmask_b32_e32 v11, v11, v37, vcc
	v_lshrrev_b32_e32 v28, 23, v10
	v_add3_u32 v34, v33, v11, v28
	v_add_u32_e32 v33, 6, v34
	v_and_b32_e32 v11, 0xfffff, v42
	v_add_u32_e32 v28, v11, v10
	v_cmp_ne_u32_e32 vcc, 0, v33
                                        ; implicit-def: $vgpr10_vgpr11
                                        ; implicit-def: $vgpr31
	s_and_saveexec_b64 s[26:27], vcc
	s_xor_b64 s[26:27], exec, s[26:27]
; %bb.1388:                             ;   in Loop: Header=BB2_1215 Depth=3
	v_cmp_lt_u64_e32 vcc, s[88:89], v[28:29]
	v_add_u32_e32 v10, 7, v34
	v_cndmask_b32_e32 v31, v33, v10, vcc
	v_cndmask_b32_e64 v10, 0, 1, vcc
	v_lshrrev_b64 v[10:11], v10, v[28:29]
; %bb.1389:                             ;   in Loop: Header=BB2_1215 Depth=3
	s_andn2_saveexec_b64 s[26:27], s[26:27]
; %bb.1390:                             ;   in Loop: Header=BB2_1215 Depth=3
	v_mov_b32_e32 v10, v28
	v_bfe_u32 v31, v28, 23, 1
	v_mov_b32_e32 v11, v29
; %bb.1391:                             ;   in Loop: Header=BB2_1215 Depth=3
	s_or_b64 exec, exec, s[26:27]
	v_lshrrev_b64 v[10:11], 20, v[10:11]
	v_cmp_gt_i32_e32 vcc, 16, v31
	v_cndmask_b32_e32 v11, 0, v11, vcc
	v_cndmask_b32_e32 v10, 7, v10, vcc
	v_cmp_ne_u64_e32 vcc, 0, v[10:11]
	v_cmp_ne_u32_e64 s[26:27], 0, v31
	s_or_b64 s[26:27], s[26:27], vcc
                                        ; implicit-def: $vgpr11
	s_and_saveexec_b64 vcc, s[26:27]
	s_xor_b64 s[26:27], exec, vcc
; %bb.1392:                             ;   in Loop: Header=BB2_1215 Depth=3
	v_min_i32_e32 v11, 15, v31
	v_lshl_or_b32 v11, v11, 3, v30
	v_and_or_b32 v11, v10, 7, v11
                                        ; implicit-def: $vgpr30
; %bb.1393:                             ;   in Loop: Header=BB2_1215 Depth=3
	s_andn2_saveexec_b64 s[26:27], s[26:27]
; %bb.1394:                             ;   in Loop: Header=BB2_1215 Depth=3
	v_mov_b32_e32 v11, v30
; %bb.1395:                             ;   in Loop: Header=BB2_1215 Depth=3
	s_or_b64 exec, exec, s[26:27]
.LBB2_1396:                             ;   in Loop: Header=BB2_1215 Depth=3
	s_or_b64 exec, exec, s[36:37]
                                        ; implicit-def: $vgpr30
.LBB2_1397:                             ;   in Loop: Header=BB2_1215 Depth=3
	s_andn2_saveexec_b64 s[26:27], s[34:35]
; %bb.1398:                             ;   in Loop: Header=BB2_1215 Depth=3
	v_or_b32_e32 v11, 0x7e, v30
; %bb.1399:                             ;   in Loop: Header=BB2_1215 Depth=3
	s_or_b64 exec, exec, s[26:27]
                                        ; implicit-def: $vgpr10
.LBB2_1400:                             ;   in Loop: Header=BB2_1215 Depth=3
	s_andn2_saveexec_b64 s[26:27], s[30:31]
; %bb.1401:                             ;   in Loop: Header=BB2_1215 Depth=3
	v_or_b32_sdwa v11, v10, s85 dst_sel:DWORD dst_unused:UNUSED_PAD src0_sel:BYTE_3 src1_sel:DWORD
; %bb.1402:                             ;   in Loop: Header=BB2_1215 Depth=3
	s_or_b64 exec, exec, s[26:27]
	flat_load_ubyte v9, v[8:9] offset:448 glc slc
	v_mov_b32_e32 v10, 0
	s_waitcnt vmcnt(0) lgkmcnt(0)
	v_cmp_ne_u16_e32 vcc, 0, v9
	s_and_saveexec_b64 s[26:27], vcc
	s_cbranch_execz .LBB2_1408
; %bb.1403:                             ;   in Loop: Header=BB2_1215 Depth=3
	v_cmp_ne_u16_e32 vcc, s87, v9
	v_bfrev_b32_e32 v10, 1
	s_and_saveexec_b64 s[30:31], vcc
	s_cbranch_execz .LBB2_1407
; %bb.1404:                             ;   in Loop: Header=BB2_1215 Depth=3
	v_and_b32_e32 v8, 0xffff, v9
	v_and_b32_e32 v28, 0x7f, v8
	v_cmp_ne_u32_e32 vcc, s85, v28
	v_mov_b32_e32 v10, 0x7f800001
	s_and_saveexec_b64 s[34:35], vcc
	s_cbranch_execz .LBB2_1406
; %bb.1405:                             ;   in Loop: Header=BB2_1215 Depth=3
	v_and_b32_e32 v10, 7, v8
	v_lshrrev_b32_e32 v33, 3, v28
	v_cmp_gt_u32_e32 vcc, 8, v28
	v_ffbh_u32_e32 v28, v10
	v_min_u32_e32 v28, 32, v28
	v_subrev_u32_e32 v30, 28, v28
	v_lshlrev_b64 v[30:31], v30, v[8:9]
	v_sub_u32_e32 v8, 29, v28
	v_and_b32_e32 v28, 7, v30
	v_cndmask_b32_e32 v8, v33, v8, vcc
	v_cndmask_b32_e32 v10, v10, v28, vcc
	v_lshlrev_b32_e32 v9, 24, v9
	v_lshlrev_b32_e32 v10, 20, v10
	v_and_b32_e32 v9, 0x80000000, v9
	v_lshl_add_u32 v8, v8, 23, v17
	v_or3_b32 v10, v9, v8, v10
.LBB2_1406:                             ;   in Loop: Header=BB2_1215 Depth=3
	s_or_b64 exec, exec, s[34:35]
.LBB2_1407:                             ;   in Loop: Header=BB2_1215 Depth=3
	s_or_b64 exec, exec, s[30:31]
.LBB2_1408:                             ;   in Loop: Header=BB2_1215 Depth=3
	s_or_b64 exec, exec, s[26:27]
	v_mul_f32_e32 v8, s45, v10
	v_and_b32_e32 v28, 0x7f800000, v8
	v_cmp_ne_u64_e32 vcc, s[76:77], v[28:29]
                                        ; implicit-def: $vgpr9
	s_and_saveexec_b64 s[26:27], vcc
	s_xor_b64 s[30:31], exec, s[26:27]
	s_cbranch_execz .LBB2_1426
; %bb.1409:                             ;   in Loop: Header=BB2_1215 Depth=3
	v_and_b32_e32 v28, 0x7fffffff, v8
	v_cmp_gt_u64_e32 vcc, s[78:79], v[28:29]
	v_and_b32_sdwa v30, v8, s87 dst_sel:DWORD dst_unused:UNUSED_PAD src0_sel:BYTE_3 src1_sel:DWORD
                                        ; implicit-def: $vgpr9
	s_and_saveexec_b64 s[26:27], vcc
	s_xor_b64 s[34:35], exec, s[26:27]
	s_cbranch_execz .LBB2_1423
; %bb.1410:                             ;   in Loop: Header=BB2_1215 Depth=3
	v_cmp_ne_u32_e32 vcc, 0, v8
	v_mov_b32_e32 v9, 0
	s_and_saveexec_b64 s[36:37], vcc
	s_cbranch_execz .LBB2_1422
; %bb.1411:                             ;   in Loop: Header=BB2_1215 Depth=3
	v_bfe_u32 v31, v8, 23, 8
	v_and_b32_e32 v9, 0x7fffff, v8
	v_cmp_gt_u32_e64 s[26:27], s96, v31
	v_sub_u32_e32 v8, 0x79, v31
	v_cmp_eq_u32_e32 vcc, 0, v31
	v_cndmask_b32_e64 v8, 0, v8, s[26:27]
	v_cndmask_b32_e32 v33, v8, v36, vcc
	v_or_b32_e32 v10, 0x800000, v9
	v_add_u32_e32 v8, 20, v33
	v_cndmask_b32_e32 v28, v10, v9, vcc
	v_lshlrev_b64 v[8:9], v8, -1
	v_add_u32_e32 v10, 19, v33
	v_lshlrev_b64 v[34:35], v10, 1
	v_bfi_b32 v9, v9, 0, 0
	v_bfi_b32 v8, v8, 0, v28
	v_cmp_eq_u64_e64 s[26:27], v[8:9], v[34:35]
	v_lshrrev_b64 v[8:9], v33, v[28:29]
	v_mov_b32_e32 v10, v9
	v_mov_b32_e32 v9, v8
	s_and_saveexec_b64 s[38:39], s[26:27]
; %bb.1412:                             ;   in Loop: Header=BB2_1215 Depth=3
	v_bfe_u32 v9, v8, 20, 1
	v_add_co_u32_e64 v9, s[26:27], v8, v9
	v_add_co_u32_e64 v9, s[26:27], -1, v9
; %bb.1413:                             ;   in Loop: Header=BB2_1215 Depth=3
	s_or_b64 exec, exec, s[38:39]
	v_add_u32_e32 v10, 0xffffff81, v31
	v_cndmask_b32_e32 v10, v10, v37, vcc
	v_lshrrev_b32_e32 v28, 23, v8
	v_add3_u32 v33, v33, v10, v28
	v_add_u32_e32 v31, 6, v33
	v_and_b32_e32 v9, 0xfffff, v9
	v_add_u32_e32 v28, v9, v8
	v_cmp_ne_u32_e32 vcc, 0, v31
                                        ; implicit-def: $vgpr8_vgpr9
                                        ; implicit-def: $vgpr10
	s_and_saveexec_b64 s[26:27], vcc
	s_xor_b64 s[26:27], exec, s[26:27]
; %bb.1414:                             ;   in Loop: Header=BB2_1215 Depth=3
	v_cmp_lt_u64_e32 vcc, s[88:89], v[28:29]
	v_add_u32_e32 v8, 7, v33
	v_cndmask_b32_e32 v10, v31, v8, vcc
	v_cndmask_b32_e64 v8, 0, 1, vcc
	v_lshrrev_b64 v[8:9], v8, v[28:29]
; %bb.1415:                             ;   in Loop: Header=BB2_1215 Depth=3
	s_andn2_saveexec_b64 s[26:27], s[26:27]
; %bb.1416:                             ;   in Loop: Header=BB2_1215 Depth=3
	v_mov_b32_e32 v8, v28
	v_bfe_u32 v10, v28, 23, 1
	v_mov_b32_e32 v9, v29
; %bb.1417:                             ;   in Loop: Header=BB2_1215 Depth=3
	s_or_b64 exec, exec, s[26:27]
	v_lshrrev_b64 v[8:9], 20, v[8:9]
	v_cmp_gt_i32_e32 vcc, 16, v10
	v_cndmask_b32_e32 v9, 0, v9, vcc
	v_cndmask_b32_e32 v8, 7, v8, vcc
	v_cmp_ne_u64_e32 vcc, 0, v[8:9]
	v_cmp_ne_u32_e64 s[26:27], 0, v10
	s_or_b64 s[26:27], s[26:27], vcc
                                        ; implicit-def: $vgpr9
	s_and_saveexec_b64 vcc, s[26:27]
	s_xor_b64 s[26:27], exec, vcc
; %bb.1418:                             ;   in Loop: Header=BB2_1215 Depth=3
	v_min_i32_e32 v9, 15, v10
	v_lshl_or_b32 v9, v9, 3, v30
	v_and_or_b32 v9, v8, 7, v9
                                        ; implicit-def: $vgpr30
; %bb.1419:                             ;   in Loop: Header=BB2_1215 Depth=3
	s_andn2_saveexec_b64 s[26:27], s[26:27]
; %bb.1420:                             ;   in Loop: Header=BB2_1215 Depth=3
	v_mov_b32_e32 v9, v30
; %bb.1421:                             ;   in Loop: Header=BB2_1215 Depth=3
	s_or_b64 exec, exec, s[26:27]
.LBB2_1422:                             ;   in Loop: Header=BB2_1215 Depth=3
	s_or_b64 exec, exec, s[36:37]
                                        ; implicit-def: $vgpr30
.LBB2_1423:                             ;   in Loop: Header=BB2_1215 Depth=3
	s_andn2_saveexec_b64 s[26:27], s[34:35]
; %bb.1424:                             ;   in Loop: Header=BB2_1215 Depth=3
	v_or_b32_e32 v9, 0x7e, v30
; %bb.1425:                             ;   in Loop: Header=BB2_1215 Depth=3
	s_or_b64 exec, exec, s[26:27]
                                        ; implicit-def: $vgpr8
.LBB2_1426:                             ;   in Loop: Header=BB2_1215 Depth=3
	s_andn2_saveexec_b64 s[26:27], s[30:31]
	s_cbranch_execz .LBB2_1214
; %bb.1427:                             ;   in Loop: Header=BB2_1215 Depth=3
	v_or_b32_sdwa v9, v8, s85 dst_sel:DWORD dst_unused:UNUSED_PAD src0_sel:BYTE_3 src1_sel:DWORD
	s_branch .LBB2_1214
.LBB2_1428:                             ;   in Loop: Header=BB2_57 Depth=2
	s_or_b64 exec, exec, s[94:95]
.LBB2_1429:                             ;   in Loop: Header=BB2_57 Depth=2
	s_or_b64 exec, exec, s[92:93]
	v_lshlrev_b32_e32 v6, 9, v6
	v_cmp_ne_u32_e32 vcc, v3, v6
	s_and_b64 exec, exec, vcc
	s_cbranch_execz .LBB2_1464
; %bb.1430:                             ;   in Loop: Header=BB2_57 Depth=2
	v_lshlrev_b32_e32 v0, 6, v0
	v_sub_u32_e32 v0, v5, v0
	v_lshlrev_b32_e32 v1, 6, v1
	v_sub_u32_e32 v0, v0, v1
	v_add_u32_e32 v1, v6, v0
	v_sub_u32_e32 v0, v3, v1
	v_cmp_lt_i32_e32 vcc, 0, v0
	s_and_b64 exec, exec, vcc
	s_cbranch_execz .LBB2_1464
; %bb.1431:                             ;   in Loop: Header=BB2_57 Depth=2
	s_trap 2
	ds_read_b64 v[8:9], v0
	v_add_u32_e32 v1, v1, v2
	v_ashrrev_i32_e32 v2, 31, v1
	s_mov_b64 s[92:93], 0
	s_branch .LBB2_1433
.LBB2_1432:                             ;   in Loop: Header=BB2_1433 Depth=3
	s_or_b64 exec, exec, s[26:27]
	buffer_load_dword v3, off, s[0:3], s33 offset:56 ; 4-byte Folded Reload
	s_waitcnt vmcnt(0)
	v_sub_u32_e32 v0, v0, v3
	v_cmp_gt_i32_e32 vcc, 1, v0
	s_or_b64 s[92:93], vcc, s[92:93]
	v_add_co_u32_e32 v1, vcc, v1, v3
	v_addc_co_u32_e32 v2, vcc, 0, v2, vcc
	flat_store_byte v[10:11], v5 glc slc
	s_andn2_b64 exec, exec, s[92:93]
	s_cbranch_execz .LBB2_1464
.LBB2_1433:                             ;   Parent Loop BB2_47 Depth=1
                                        ;     Parent Loop BB2_57 Depth=2
                                        ; =>    This Inner Loop Header: Depth=3
	s_trap 2
	ds_read_b64 v[10:11], v0
	s_waitcnt lgkmcnt(0)
	v_cmp_eq_u32_sdwa s[94:95], v10, v29 src0_sel:BYTE_0 src1_sel:DWORD
	v_readfirstlane_b32 s26, v10
	v_readfirstlane_b32 s27, v11
	s_and_b64 vcc, exec, s[94:95]
	s_cbranch_vccnz .LBB2_1437
; %bb.1434:                             ;   in Loop: Header=BB2_1433 Depth=3
	v_cmp_eq_u32_sdwa s[94:95], v10, s87 src0_sel:BYTE_0 src1_sel:DWORD
	s_brev_b32 s45, 1
	s_and_b64 vcc, exec, s[94:95]
	s_cbranch_vccnz .LBB2_1438
; %bb.1435:                             ;   in Loop: Header=BB2_1433 Depth=3
	s_and_b32 s47, s26, 0x7f
	s_cmpk_eq_i32 s47, 0x7f
	s_mov_b32 s45, 0x7f800001
	s_cbranch_scc1 .LBB2_1438
; %bb.1436:                             ;   in Loop: Header=BB2_1433 Depth=3
	s_and_b32 s45, s26, 7
	s_flbit_i32_b32 s45, s45
	s_min_u32 s45, s45, 32
	s_lshr_b32 s94, s47, 3
	s_sub_i32 s95, s45, 28
	s_sub_i32 s45, 29, s45
	s_cmp_lt_u32 s47, 8
	s_cselect_b32 s45, s45, s94
	s_cselect_b32 s47, s95, 0
	s_lshl_b64 s[94:95], s[26:27], s47
	s_lshl_b32 s26, s26, 24
	s_lshl_b32 s45, s45, 23
	;; [unrolled: 1-line block ×3, first 2 shown]
	s_and_b32 s26, s26, 0x80000000
	s_add_i32 s45, s45, 0x3c000000
	s_and_b32 s27, s27, 0x700000
	s_or_b32 s26, s26, s45
	s_or_b32 s45, s26, s27
	s_branch .LBB2_1438
.LBB2_1437:                             ;   in Loop: Header=BB2_1433 Depth=3
	s_mov_b32 s45, 0
.LBB2_1438:                             ;   in Loop: Header=BB2_1433 Depth=3
	v_add_co_u32_e32 v10, vcc, v8, v1
	v_addc_co_u32_e32 v11, vcc, v9, v2, vcc
	flat_load_ubyte v3, v[10:11] glc slc
	v_mov_b32_e32 v5, 0
	s_waitcnt vmcnt(0) lgkmcnt(0)
	v_cmp_ne_u16_e32 vcc, 0, v3
	s_and_saveexec_b64 s[26:27], vcc
	s_cbranch_execz .LBB2_1444
; %bb.1439:                             ;   in Loop: Header=BB2_1433 Depth=3
	v_cmp_ne_u16_e32 vcc, s87, v3
	v_bfrev_b32_e32 v5, 1
	s_and_saveexec_b64 s[94:95], vcc
	s_cbranch_execz .LBB2_1443
; %bb.1440:                             ;   in Loop: Header=BB2_1433 Depth=3
	v_and_b32_e32 v28, 0xffff, v3
	v_and_b32_e32 v6, 0x7f, v28
	v_cmp_ne_u32_e32 vcc, s85, v6
	v_mov_b32_e32 v5, 0x7f800001
	s_and_saveexec_b64 s[30:31], vcc
	s_cbranch_execz .LBB2_1442
; %bb.1441:                             ;   in Loop: Header=BB2_1433 Depth=3
	v_and_b32_e32 v7, 7, v28
	v_ffbh_u32_e32 v5, v7
	v_min_u32_e32 v18, 32, v5
	v_subrev_u32_e32 v5, 28, v18
	v_lshrrev_b32_e32 v16, 3, v6
	v_cmp_gt_u32_e32 vcc, 8, v6
	v_lshlrev_b64 v[5:6], v5, v[28:29]
	v_sub_u32_e32 v6, 29, v18
	v_and_b32_e32 v5, 7, v5
	v_cndmask_b32_e32 v6, v16, v6, vcc
	v_cndmask_b32_e32 v5, v7, v5, vcc
	v_lshlrev_b32_e32 v3, 24, v3
	v_lshlrev_b32_e32 v5, 20, v5
	v_and_b32_e32 v3, 0x80000000, v3
	v_lshl_add_u32 v6, v6, 23, v17
	v_or3_b32 v5, v3, v6, v5
.LBB2_1442:                             ;   in Loop: Header=BB2_1433 Depth=3
	s_or_b64 exec, exec, s[30:31]
.LBB2_1443:                             ;   in Loop: Header=BB2_1433 Depth=3
	s_or_b64 exec, exec, s[94:95]
.LBB2_1444:                             ;   in Loop: Header=BB2_1433 Depth=3
	s_or_b64 exec, exec, s[26:27]
	v_mul_f32_e32 v6, s45, v5
	v_and_b32_e32 v28, 0x7f800000, v6
	v_cmp_ne_u64_e32 vcc, s[76:77], v[28:29]
                                        ; implicit-def: $vgpr5
	s_and_saveexec_b64 s[26:27], vcc
	s_xor_b64 s[94:95], exec, s[26:27]
	s_cbranch_execz .LBB2_1462
; %bb.1445:                             ;   in Loop: Header=BB2_1433 Depth=3
	v_and_b32_e32 v28, 0x7fffffff, v6
	v_cmp_gt_u64_e32 vcc, s[78:79], v[28:29]
	v_and_b32_sdwa v3, v6, s87 dst_sel:DWORD dst_unused:UNUSED_PAD src0_sel:BYTE_3 src1_sel:DWORD
                                        ; implicit-def: $vgpr5
	s_and_saveexec_b64 s[26:27], vcc
	s_xor_b64 s[30:31], exec, s[26:27]
	s_cbranch_execz .LBB2_1459
; %bb.1446:                             ;   in Loop: Header=BB2_1433 Depth=3
	v_cmp_ne_u32_e32 vcc, 0, v6
	v_mov_b32_e32 v5, 0
	s_and_saveexec_b64 s[34:35], vcc
	s_cbranch_execz .LBB2_1458
; %bb.1447:                             ;   in Loop: Header=BB2_1433 Depth=3
	v_bfe_u32 v5, v6, 23, 8
	v_and_b32_e32 v7, 0x7fffff, v6
	v_cmp_gt_u32_e64 s[26:27], s96, v5
	v_sub_u32_e32 v6, 0x79, v5
	v_cmp_eq_u32_e32 vcc, 0, v5
	v_cndmask_b32_e64 v6, 0, v6, s[26:27]
	v_or_b32_e32 v16, 0x800000, v7
	v_cndmask_b32_e32 v6, v6, v36, vcc
	v_cndmask_b32_e32 v28, v16, v7, vcc
	v_add_u32_e32 v7, 20, v6
	v_lshlrev_b64 v[18:19], v7, -1
	v_add_u32_e32 v7, 19, v6
	v_lshlrev_b64 v[22:23], v7, 1
	v_bfi_b32 v19, v19, 0, 0
	v_bfi_b32 v18, v18, 0, v28
	v_lshrrev_b64 v[54:55], v6, v[28:29]
	v_cmp_eq_u64_e64 s[26:27], v[18:19], v[22:23]
	v_mov_b32_e32 v40, v54
	v_mov_b32_e32 v41, v55
	s_and_saveexec_b64 s[36:37], s[26:27]
; %bb.1448:                             ;   in Loop: Header=BB2_1433 Depth=3
	v_bfe_u32 v7, v54, 20, 1
	v_add_co_u32_e64 v7, s[26:27], v54, v7
	v_add_co_u32_e64 v40, s[26:27], -1, v7
; %bb.1449:                             ;   in Loop: Header=BB2_1433 Depth=3
	s_or_b64 exec, exec, s[36:37]
	v_add_u32_e32 v5, 0xffffff81, v5
	v_cndmask_b32_e32 v5, v5, v37, vcc
	v_lshrrev_b32_e32 v7, 23, v54
	v_add3_u32 v7, v6, v5, v7
	v_add_u32_e32 v5, 6, v7
	v_and_b32_e32 v6, 0xfffff, v40
	v_add_u32_e32 v28, v6, v54
	v_cmp_ne_u32_e32 vcc, 0, v5
                                        ; implicit-def: $vgpr54_vgpr55
                                        ; implicit-def: $vgpr6
	s_and_saveexec_b64 s[26:27], vcc
	s_xor_b64 s[26:27], exec, s[26:27]
; %bb.1450:                             ;   in Loop: Header=BB2_1433 Depth=3
	v_cmp_lt_u64_e32 vcc, s[88:89], v[28:29]
	v_add_u32_e32 v6, 7, v7
	v_cndmask_b32_e32 v6, v5, v6, vcc
	v_cndmask_b32_e64 v5, 0, 1, vcc
	v_lshrrev_b64 v[54:55], v5, v[28:29]
; %bb.1451:                             ;   in Loop: Header=BB2_1433 Depth=3
	s_andn2_saveexec_b64 s[26:27], s[26:27]
; %bb.1452:                             ;   in Loop: Header=BB2_1433 Depth=3
	v_mov_b32_e32 v55, v29
	v_bfe_u32 v6, v28, 23, 1
	v_mov_b32_e32 v54, v28
; %bb.1453:                             ;   in Loop: Header=BB2_1433 Depth=3
	s_or_b64 exec, exec, s[26:27]
	v_lshrrev_b64 v[18:19], 20, v[54:55]
	v_cmp_gt_i32_e32 vcc, 16, v6
	v_cndmask_b32_e32 v55, 0, v19, vcc
	v_cndmask_b32_e32 v54, 7, v18, vcc
	v_cmp_ne_u64_e32 vcc, 0, v[54:55]
	v_cmp_ne_u32_e64 s[26:27], 0, v6
	s_or_b64 s[26:27], s[26:27], vcc
                                        ; implicit-def: $vgpr5
	s_and_saveexec_b64 vcc, s[26:27]
	s_xor_b64 s[26:27], exec, vcc
; %bb.1454:                             ;   in Loop: Header=BB2_1433 Depth=3
	v_min_i32_e32 v5, 15, v6
	v_lshl_or_b32 v3, v5, 3, v3
	v_and_or_b32 v5, v54, 7, v3
                                        ; implicit-def: $vgpr3
; %bb.1455:                             ;   in Loop: Header=BB2_1433 Depth=3
	s_andn2_saveexec_b64 s[26:27], s[26:27]
; %bb.1456:                             ;   in Loop: Header=BB2_1433 Depth=3
	v_mov_b32_e32 v5, v3
; %bb.1457:                             ;   in Loop: Header=BB2_1433 Depth=3
	s_or_b64 exec, exec, s[26:27]
.LBB2_1458:                             ;   in Loop: Header=BB2_1433 Depth=3
	s_or_b64 exec, exec, s[34:35]
                                        ; implicit-def: $vgpr3
.LBB2_1459:                             ;   in Loop: Header=BB2_1433 Depth=3
	s_andn2_saveexec_b64 s[26:27], s[30:31]
; %bb.1460:                             ;   in Loop: Header=BB2_1433 Depth=3
	v_or_b32_e32 v5, 0x7e, v3
; %bb.1461:                             ;   in Loop: Header=BB2_1433 Depth=3
	s_or_b64 exec, exec, s[26:27]
                                        ; implicit-def: $vgpr6
.LBB2_1462:                             ;   in Loop: Header=BB2_1433 Depth=3
	s_andn2_saveexec_b64 s[26:27], s[94:95]
	s_cbranch_execz .LBB2_1432
; %bb.1463:                             ;   in Loop: Header=BB2_1433 Depth=3
	v_or_b32_sdwa v5, v6, s85 dst_sel:DWORD dst_unused:UNUSED_PAD src0_sel:BYTE_3 src1_sel:DWORD
	s_branch .LBB2_1432
.LBB2_1464:                             ;   in Loop: Header=BB2_57 Depth=2
	s_or_b64 exec, exec, s[28:29]
	buffer_load_dword v0, off, s[0:3], s33 offset:208 ; 4-byte Folded Reload
	s_waitcnt vmcnt(0)
	v_cmp_lt_i32_e64 s[26:27], 0, v0
.LBB2_1465:                             ;   in Loop: Header=BB2_57 Depth=2
	buffer_load_dword v5, off, s[0:3], s33 offset:196 ; 4-byte Folded Reload
	buffer_load_dword v6, off, s[0:3], s33 offset:200 ; 4-byte Folded Reload
	;; [unrolled: 1-line block ×3, first 2 shown]
	s_and_saveexec_b64 s[28:29], s[12:13]
	s_cbranch_execz .LBB2_1484
.LBB2_1466:                             ;   in Loop: Header=BB2_57 Depth=2
	s_and_saveexec_b64 s[92:93], s[58:59]
	s_xor_b64 s[92:93], exec, s[92:93]
	s_cbranch_execz .LBB2_1481
; %bb.1467:                             ;   in Loop: Header=BB2_57 Depth=2
	s_and_saveexec_b64 s[94:95], s[6:7]
	s_cbranch_execz .LBB2_1480
; %bb.1468:                             ;   in Loop: Header=BB2_57 Depth=2
	s_mov_b64 s[34:35], exec
	v_mbcnt_lo_u32_b32 v0, s34, 0
	v_mbcnt_hi_u32_b32 v0, s35, v0
	v_cmp_eq_u32_e32 vcc, 0, v0
	s_waitcnt vmcnt(0) lgkmcnt(0)
	buffer_wbinvl1_vol
	s_and_saveexec_b64 s[30:31], vcc
	s_cbranch_execz .LBB2_1470
; %bb.1469:                             ;   in Loop: Header=BB2_57 Depth=2
	s_bcnt1_i32_b64 s45, s[34:35]
	v_mov_b32_e32 v0, s45
	v_mov_b32_e32 v1, v29
	ds_add_u64 v0, v[0:1]
	s_trap 2
.LBB2_1470:                             ;   in Loop: Header=BB2_57 Depth=2
	s_or_b64 exec, exec, s[30:31]
	s_trap 2
	ds_read_b64 v[0:1], v0
	s_waitcnt lgkmcnt(0)
	v_add_co_u32_e32 v12, vcc, v12, v14
	v_addc_co_u32_e32 v13, vcc, 0, v13, vcc
	v_cmp_lt_u64_e32 vcc, v[0:1], v[12:13]
	s_and_saveexec_b64 s[30:31], vcc
	s_cbranch_execz .LBB2_1479
; %bb.1471:                             ;   in Loop: Header=BB2_57 Depth=2
	s_mov_b32 s45, 0
	s_mov_b64 s[34:35], 0
                                        ; implicit-def: $sgpr36_sgpr37
                                        ; implicit-def: $sgpr38_sgpr39
	s_branch .LBB2_1473
.LBB2_1472:                             ;   in Loop: Header=BB2_1473 Depth=3
	s_or_b64 exec, exec, s[50:51]
	s_and_b64 vcc, exec, vcc
	s_or_b64 s[34:35], vcc, s[34:35]
	s_andn2_b64 vcc, s[36:37], exec
	s_and_b64 s[36:37], s[38:39], exec
	s_or_b64 s[36:37], vcc, s[36:37]
	s_andn2_b64 exec, exec, s[34:35]
	s_cbranch_execz .LBB2_1477
.LBB2_1473:                             ;   Parent Loop BB2_47 Depth=1
                                        ;     Parent Loop BB2_57 Depth=2
                                        ; =>    This Inner Loop Header: Depth=3
	s_add_i32 s45, s45, 1
	s_cmpk_lg_i32 s45, 0x2710
	s_cselect_b64 s[48:49], -1, 0
	s_and_b64 vcc, exec, s[48:49]
	s_cbranch_vccz .LBB2_1475
; %bb.1474:                             ;   in Loop: Header=BB2_1473 Depth=3
	s_mov_b64 vcc, -1
	s_or_b64 s[38:39], s[38:39], exec
	s_and_saveexec_b64 s[50:51], s[48:49]
	s_cbranch_execz .LBB2_1472
	s_branch .LBB2_1476
.LBB2_1475:                             ;   in Loop: Header=BB2_1473 Depth=3
	s_trap 2
	ds_read_b64 v[0:1], v0
	s_andn2_b64 s[48:49], s[48:49], exec
	s_mov_b32 s45, 0
	s_waitcnt lgkmcnt(0)
	flat_load_dword v0, v[0:1] glc
	s_waitcnt vmcnt(0) lgkmcnt(0)
	buffer_wbinvl1_vol
	v_cmp_eq_u32_e32 vcc, 0, v0
	s_and_b64 vcc, vcc, exec
	s_or_b64 s[48:49], s[48:49], vcc
	s_mov_b64 vcc, -1
	s_or_b64 s[38:39], s[38:39], exec
	s_and_saveexec_b64 s[50:51], s[48:49]
	s_cbranch_execz .LBB2_1472
.LBB2_1476:                             ;   in Loop: Header=BB2_1473 Depth=3
	s_sleep 1
	s_trap 2
	ds_read_b64 v[0:1], v0
	s_waitcnt lgkmcnt(0)
	s_andn2_b64 s[38:39], s[38:39], exec
	v_cmp_ge_u64_e32 vcc, v[0:1], v[12:13]
	s_orn2_b64 vcc, vcc, exec
	s_branch .LBB2_1472
.LBB2_1477:                             ;   in Loop: Header=BB2_57 Depth=2
	s_or_b64 exec, exec, s[34:35]
	s_and_saveexec_b64 vcc, s[36:37]
	s_xor_b64 vcc, exec, vcc
	s_cbranch_execz .LBB2_1479
; %bb.1478:                             ;   in Loop: Header=BB2_57 Depth=2
	v_mov_b32_e32 v0, 1
	ds_write_b32 v0, v0
	s_trap 2
.LBB2_1479:                             ;   in Loop: Header=BB2_57 Depth=2
	s_or_b64 exec, exec, s[30:31]
	;;#ASMSTART
	s_wakeup
	;;#ASMEND
.LBB2_1480:                             ;   in Loop: Header=BB2_57 Depth=2
	s_or_b64 exec, exec, s[94:95]
.LBB2_1481:                             ;   in Loop: Header=BB2_57 Depth=2
	s_andn2_saveexec_b64 s[92:93], s[92:93]
	s_cbranch_execz .LBB2_1483
; %bb.1482:                             ;   in Loop: Header=BB2_57 Depth=2
	s_waitcnt vmcnt(0) lgkmcnt(0)
	buffer_wbinvl1_vol
	s_barrier
.LBB2_1483:                             ;   in Loop: Header=BB2_57 Depth=2
	s_or_b64 exec, exec, s[92:93]
.LBB2_1484:                             ;   in Loop: Header=BB2_57 Depth=2
	s_or_b64 exec, exec, s[28:29]
	v_and_b32_e32 v0, 16, v61
	s_and_saveexec_b64 s[28:29], s[18:19]
	s_xor_b64 s[28:29], exec, s[28:29]
	s_cbranch_execz .LBB2_1489
; %bb.1485:                             ;   in Loop: Header=BB2_57 Depth=2
	v_and_b32_e32 v1, 16, v61
	v_cmp_ne_u32_e32 vcc, 0, v1
	v_and_b32_e32 v0, 16, v61
	s_and_b64 s[92:93], vcc, s[26:27]
	s_and_saveexec_b64 s[26:27], s[92:93]
	s_cbranch_execz .LBB2_1487
; %bb.1486:                             ;   in Loop: Header=BB2_57 Depth=2
	v_mov_b32_e32 v0, 1
	s_waitcnt vmcnt(0) lgkmcnt(0)
	buffer_wbinvl1_vol
.LBB2_1487:                             ;   in Loop: Header=BB2_57 Depth=2
	s_or_b64 exec, exec, s[26:27]
	s_andn2_saveexec_b64 s[26:27], s[28:29]
	s_cbranch_execnz .LBB2_1490
.LBB2_1488:                             ;   in Loop: Header=BB2_57 Depth=2
	s_or_b64 exec, exec, s[26:27]
	v_cmp_ne_u32_e32 vcc, 0, v0
	s_and_saveexec_b64 s[26:27], vcc
	s_cbranch_execz .LBB2_56
	s_branch .LBB2_1508
.LBB2_1489:                             ;   in Loop: Header=BB2_57 Depth=2
	s_andn2_saveexec_b64 s[26:27], s[28:29]
	s_cbranch_execz .LBB2_1488
.LBB2_1490:                             ;   in Loop: Header=BB2_57 Depth=2
	s_and_saveexec_b64 s[28:29], s[58:59]
	s_xor_b64 s[28:29], exec, s[28:29]
	s_cbranch_execz .LBB2_1505
; %bb.1491:                             ;   in Loop: Header=BB2_57 Depth=2
	s_and_saveexec_b64 s[92:93], s[6:7]
	s_cbranch_execz .LBB2_1504
; %bb.1492:                             ;   in Loop: Header=BB2_57 Depth=2
	s_mov_b64 s[30:31], exec
	v_mbcnt_lo_u32_b32 v1, s30, 0
	v_mbcnt_hi_u32_b32 v1, s31, v1
	v_cmp_eq_u32_e32 vcc, 0, v1
	;;#ASMSTART
	s_waitcnt lgkmcnt(0) vmcnt(0)
	;;#ASMEND
	s_and_saveexec_b64 s[94:95], vcc
	s_cbranch_execz .LBB2_1494
; %bb.1493:                             ;   in Loop: Header=BB2_57 Depth=2
	s_bcnt1_i32_b64 s45, s[30:31]
	v_mov_b32_e32 v1, s45
	v_mov_b32_e32 v2, v29
	s_waitcnt lgkmcnt(0)
	ds_add_u64 v0, v[1:2]
	s_trap 2
.LBB2_1494:                             ;   in Loop: Header=BB2_57 Depth=2
	s_or_b64 exec, exec, s[94:95]
	s_trap 2
	ds_read_b64 v[1:2], v0
	s_waitcnt lgkmcnt(0)
	v_add_co_u32_e32 v12, vcc, v12, v14
	v_addc_co_u32_e32 v13, vcc, 0, v13, vcc
	v_cmp_lt_u64_e32 vcc, v[1:2], v[12:13]
	s_and_saveexec_b64 s[94:95], vcc
	s_cbranch_execz .LBB2_1503
; %bb.1495:                             ;   in Loop: Header=BB2_57 Depth=2
	s_mov_b32 s45, 0
	s_mov_b64 s[30:31], 0
                                        ; implicit-def: $sgpr34_sgpr35
                                        ; implicit-def: $sgpr36_sgpr37
	s_branch .LBB2_1497
.LBB2_1496:                             ;   in Loop: Header=BB2_1497 Depth=3
	s_or_b64 exec, exec, s[48:49]
	s_and_b64 vcc, exec, vcc
	s_or_b64 s[30:31], vcc, s[30:31]
	s_andn2_b64 vcc, s[34:35], exec
	s_and_b64 s[34:35], s[36:37], exec
	s_or_b64 s[34:35], vcc, s[34:35]
	s_andn2_b64 exec, exec, s[30:31]
	s_cbranch_execz .LBB2_1501
.LBB2_1497:                             ;   Parent Loop BB2_47 Depth=1
                                        ;     Parent Loop BB2_57 Depth=2
                                        ; =>    This Inner Loop Header: Depth=3
	s_add_i32 s45, s45, 1
	s_cmpk_lg_i32 s45, 0x2710
	s_cselect_b64 s[38:39], -1, 0
	s_and_b64 vcc, exec, s[38:39]
	s_cbranch_vccz .LBB2_1499
; %bb.1498:                             ;   in Loop: Header=BB2_1497 Depth=3
	s_mov_b64 vcc, -1
	s_or_b64 s[36:37], s[36:37], exec
	s_and_saveexec_b64 s[48:49], s[38:39]
	s_cbranch_execz .LBB2_1496
	s_branch .LBB2_1500
.LBB2_1499:                             ;   in Loop: Header=BB2_1497 Depth=3
	s_trap 2
	ds_read_b64 v[1:2], v0
	s_andn2_b64 s[38:39], s[38:39], exec
	s_mov_b32 s45, 0
	s_waitcnt vmcnt(0) lgkmcnt(0)
	flat_load_dword v1, v[1:2] glc
	s_waitcnt vmcnt(0) lgkmcnt(0)
	buffer_wbinvl1_vol
	v_cmp_eq_u32_e32 vcc, 0, v1
	s_and_b64 vcc, vcc, exec
	s_or_b64 s[38:39], s[38:39], vcc
	s_mov_b64 vcc, -1
	s_or_b64 s[36:37], s[36:37], exec
	s_and_saveexec_b64 s[48:49], s[38:39]
	s_cbranch_execz .LBB2_1496
.LBB2_1500:                             ;   in Loop: Header=BB2_1497 Depth=3
	s_sleep 1
	s_trap 2
	ds_read_b64 v[1:2], v0
	s_waitcnt lgkmcnt(0)
	s_andn2_b64 s[36:37], s[36:37], exec
	v_cmp_ge_u64_e32 vcc, v[1:2], v[12:13]
	s_orn2_b64 vcc, vcc, exec
	s_branch .LBB2_1496
.LBB2_1501:                             ;   in Loop: Header=BB2_57 Depth=2
	s_or_b64 exec, exec, s[30:31]
	s_and_saveexec_b64 vcc, s[34:35]
	s_xor_b64 vcc, exec, vcc
	s_cbranch_execz .LBB2_1503
; %bb.1502:                             ;   in Loop: Header=BB2_57 Depth=2
	v_mov_b32_e32 v1, 1
	ds_write_b32 v0, v1
	s_trap 2
.LBB2_1503:                             ;   in Loop: Header=BB2_57 Depth=2
	s_or_b64 exec, exec, s[94:95]
	;;#ASMSTART
	s_wakeup
	;;#ASMEND
.LBB2_1504:                             ;   in Loop: Header=BB2_57 Depth=2
	s_or_b64 exec, exec, s[92:93]
.LBB2_1505:                             ;   in Loop: Header=BB2_57 Depth=2
	s_andn2_saveexec_b64 s[28:29], s[28:29]
	s_cbranch_execz .LBB2_1507
; %bb.1506:                             ;   in Loop: Header=BB2_57 Depth=2
	;;#ASMSTART
	s_waitcnt lgkmcnt(0) vmcnt(0)
	;;#ASMEND
	s_waitcnt vmcnt(0) lgkmcnt(0)
	s_barrier
.LBB2_1507:                             ;   in Loop: Header=BB2_57 Depth=2
	s_or_b64 exec, exec, s[28:29]
	s_or_b64 exec, exec, s[26:27]
	v_cmp_ne_u32_e32 vcc, 0, v0
	s_and_saveexec_b64 s[26:27], vcc
	s_cbranch_execz .LBB2_56
.LBB2_1508:                             ;   in Loop: Header=BB2_57 Depth=2
	s_and_saveexec_b64 s[28:29], s[22:23]
	s_cbranch_execz .LBB2_55
; %bb.1509:                             ;   in Loop: Header=BB2_57 Depth=2
	buffer_load_dword v0, off, s[0:3], s33 offset:96 ; 4-byte Folded Reload
	buffer_load_dword v1, off, s[0:3], s33 offset:100 ; 4-byte Folded Reload
	v_mov_b32_e32 v2, 1
	s_waitcnt vmcnt(0)
	flat_store_dword v[0:1], v2
	s_branch .LBB2_55
.LBB2_1510:                             ;   in Loop: Header=BB2_47 Depth=1
	s_or_b64 exec, exec, s[42:43]
.LBB2_1511:                             ;   in Loop: Header=BB2_47 Depth=1
	s_or_b64 exec, exec, s[40:41]
	v_cmp_gt_i32_e32 vcc, 2, v0
	s_and_saveexec_b64 s[28:29], vcc
	s_cbranch_execz .LBB2_1583
; %bb.1512:                             ;   in Loop: Header=BB2_47 Depth=1
	v_cmp_eq_u32_e64 s[42:43], 0, v0
	s_mov_b64 s[40:41], 0
	s_branch .LBB2_1515
.LBB2_1513:                             ;   in Loop: Header=BB2_1515 Depth=2
	s_or_b64 exec, exec, s[42:43]
	v_add_co_u32_e32 v38, vcc, 2, v38
	v_addc_co_u32_e32 v39, vcc, 0, v39, vcc
	flat_store_dwordx2 v[20:21], v[38:39]
.LBB2_1514:                             ;   in Loop: Header=BB2_1515 Depth=2
	s_or_b64 exec, exec, s[26:27]
	v_add_u32_e32 v49, v5, v49
	s_mov_b64 s[42:43], 0
	s_andn2_b64 exec, exec, s[40:41]
	s_cbranch_execz .LBB2_1582
.LBB2_1515:                             ;   Parent Loop BB2_47 Depth=1
                                        ; =>  This Loop Header: Depth=2
                                        ;       Child Loop BB2_1521 Depth 3
                                        ;       Child Loop BB2_1545 Depth 3
	;; [unrolled: 1-line block ×3, first 2 shown]
	v_sub_u32_e32 v0, v7, v49
	v_min_i32_e32 v5, v5, v0
	v_and_b32_e32 v0, 8, v61
	v_cmp_ne_u32_e32 vcc, 0, v0
	s_and_saveexec_b64 s[90:91], vcc
	s_cbranch_execz .LBB2_1537
; %bb.1516:                             ;   in Loop: Header=BB2_1515 Depth=2
	s_waitcnt lgkmcnt(0)
	v_add_co_u32_e32 v0, vcc, 8, v26
	v_addc_co_u32_e32 v1, vcc, 0, v27, vcc
	v_add_co_u32_e32 v8, vcc, 2, v38
	v_addc_co_u32_e32 v9, vcc, 0, v39, vcc
	v_cmp_lt_u64_e32 vcc, v[0:1], v[8:9]
	s_and_saveexec_b64 s[92:93], vcc
	s_cbranch_execz .LBB2_1528
; %bb.1517:                             ;   in Loop: Header=BB2_1515 Depth=2
	v_and_b32_e32 v0, 64, v61
	s_mov_b32 s44, 0
	v_cmp_eq_u32_e32 vcc, 0, v0
	s_mov_b64 s[94:95], 0
                                        ; implicit-def: $sgpr30_sgpr31
                                        ; implicit-def: $sgpr34_sgpr35
                                        ; implicit-def: $sgpr36_sgpr37
	s_branch .LBB2_1521
.LBB2_1518:                             ;   in Loop: Header=BB2_1521 Depth=3
	s_waitcnt vmcnt(0) lgkmcnt(0)
	v_add_co_u32_e64 v1, s[26:27], 8, v26
	v_addc_co_u32_e64 v2, s[26:27], 0, v27, s[26:27]
	v_cmp_ge_u64_e64 s[26:27], v[1:2], v[8:9]
	s_or_b64 s[50:51], s[50:51], exec
	s_orn2_b64 s[48:49], s[26:27], exec
.LBB2_1519:                             ;   in Loop: Header=BB2_1521 Depth=3
	s_or_b64 exec, exec, s[54:55]
	s_andn2_b64 s[26:27], s[36:37], exec
	s_and_b64 s[36:37], s[50:51], exec
	s_or_b64 s[36:37], s[26:27], s[36:37]
	s_andn2_b64 s[26:27], s[34:35], exec
	s_and_b64 s[34:35], s[48:49], exec
	s_or_b64 s[34:35], s[26:27], s[34:35]
.LBB2_1520:                             ;   in Loop: Header=BB2_1521 Depth=3
	s_or_b64 exec, exec, s[38:39]
	s_and_b64 s[26:27], exec, s[34:35]
	s_or_b64 s[94:95], s[26:27], s[94:95]
	s_andn2_b64 s[26:27], s[30:31], exec
	s_and_b64 s[30:31], s[36:37], exec
	s_or_b64 s[30:31], s[26:27], s[30:31]
	s_andn2_b64 exec, exec, s[94:95]
	s_cbranch_execz .LBB2_1525
.LBB2_1521:                             ;   Parent Loop BB2_47 Depth=1
                                        ;     Parent Loop BB2_1515 Depth=2
                                        ; =>    This Inner Loop Header: Depth=3
	s_sleep 1
	s_waitcnt vmcnt(0) lgkmcnt(0)
	flat_load_dwordx2 v[26:27], v[20:21] glc
	s_or_b64 s[36:37], s[36:37], exec
	s_or_b64 s[34:35], s[34:35], exec
                                        ; implicit-def: $vgpr0
	s_and_saveexec_b64 s[38:39], vcc
	s_cbranch_execz .LBB2_1520
; %bb.1522:                             ;   in Loop: Header=BB2_1521 Depth=3
	s_cmpk_lt_i32 s44, 0x270f
	s_cselect_b64 s[52:53], -1, 0
	s_cmpk_gt_i32 s44, 0x270e
	s_mov_b64 s[48:49], -1
	s_cbranch_scc0 .LBB2_1524
; %bb.1523:                             ;   in Loop: Header=BB2_1521 Depth=3
	s_trap 2
	ds_read_b64 v[0:1], v0
	s_andn2_b64 s[52:53], s[52:53], exec
	s_mov_b32 s44, 0
	s_mov_b64 s[50:51], 0
	s_waitcnt vmcnt(0) lgkmcnt(0)
	flat_load_dword v0, v[0:1] glc
	s_waitcnt vmcnt(0) lgkmcnt(0)
	buffer_wbinvl1_vol
	v_cmp_eq_u32_e64 s[26:27], 0, v0
	s_and_b64 s[26:27], s[26:27], exec
	s_or_b64 s[52:53], s[52:53], s[26:27]
	s_and_saveexec_b64 s[54:55], s[52:53]
	s_cbranch_execz .LBB2_1519
	s_branch .LBB2_1518
.LBB2_1524:                             ;   in Loop: Header=BB2_1521 Depth=3
	s_add_i32 s44, s44, 1
	s_mov_b64 s[50:51], -1
                                        ; implicit-def: $vgpr0
	s_and_saveexec_b64 s[54:55], s[52:53]
	s_cbranch_execz .LBB2_1519
	s_branch .LBB2_1518
.LBB2_1525:                             ;   in Loop: Header=BB2_1515 Depth=2
	s_or_b64 exec, exec, s[94:95]
	s_xor_b64 s[26:27], s[30:31], -1
	s_and_saveexec_b64 s[44:45], s[26:27]
	s_xor_b64 s[26:27], exec, s[44:45]
	s_cbranch_execz .LBB2_1527
; %bb.1526:                             ;   in Loop: Header=BB2_1515 Depth=2
	v_or_b32_e32 v61, 64, v61
	s_waitcnt lgkmcnt(0)
	ds_write_b32 v0, v0
	s_trap 2
.LBB2_1527:                             ;   in Loop: Header=BB2_1515 Depth=2
	s_or_b64 exec, exec, s[26:27]
.LBB2_1528:                             ;   in Loop: Header=BB2_1515 Depth=2
	s_or_b64 exec, exec, s[92:93]
	v_and_b32_e32 v0, 0x100, v61
	v_cmp_ne_u32_e32 vcc, 0, v0
	v_and_b32_e32 v0, 7, v38
	s_mov_b64 s[26:27], -1
	;;#ASMSTART
	s_wakeup
	;;#ASMEND
                                        ; implicit-def: $vgpr10_vgpr11
	s_and_saveexec_b64 s[92:93], vcc
	s_cbranch_execz .LBB2_1532
; %bb.1529:                             ;   in Loop: Header=BB2_1515 Depth=2
	buffer_load_dword v22, off, s[0:3], s33 offset:80 ; 4-byte Folded Reload
	buffer_load_dword v23, off, s[0:3], s33 offset:84 ; 4-byte Folded Reload
	;; [unrolled: 1-line block ×4, first 2 shown]
	v_ashrrev_i32_e32 v6, 31, v5
                                        ; implicit-def: $vgpr10_vgpr11
	s_waitcnt vmcnt(0)
	v_mad_u64_u32 v[38:39], s[26:27], v0, 24, v[22:23]
	flat_load_dword v1, v[38:39]
	s_nop 0
	flat_store_dwordx2 v[38:39], v[5:6] offset:8
	s_waitcnt vmcnt(0) lgkmcnt(0)
	v_cmp_ne_u32_e32 vcc, 1, v1
	v_cmp_eq_u32_e64 s[26:27], 1, v1
	s_and_saveexec_b64 s[94:95], s[26:27]
	s_cbranch_execz .LBB2_1531
; %bb.1530:                             ;   in Loop: Header=BB2_1515 Depth=2
	flat_load_dword v10, v[38:39] offset:4 glc
	s_waitcnt vmcnt(0) lgkmcnt(0)
	v_ashrrev_i32_e32 v11, 31, v10
.LBB2_1531:                             ;   in Loop: Header=BB2_1515 Depth=2
	s_or_b64 exec, exec, s[94:95]
	s_orn2_b64 s[26:27], vcc, exec
.LBB2_1532:                             ;   in Loop: Header=BB2_1515 Depth=2
	s_or_b64 exec, exec, s[92:93]
	s_and_saveexec_b64 s[92:93], s[26:27]
	s_cbranch_execz .LBB2_1534
; %bb.1533:                             ;   in Loop: Header=BB2_1515 Depth=2
	buffer_load_dword v1, off, s[0:3], s33 offset:104 ; 4-byte Folded Reload
	s_waitcnt vmcnt(0)
	v_mad_i64_i32 v[10:11], s[26:27], v0, v1, 0
.LBB2_1534:                             ;   in Loop: Header=BB2_1515 Depth=2
	s_or_b64 exec, exec, s[92:93]
	buffer_load_dword v0, off, s[0:3], s33 offset:72 ; 4-byte Folded Reload
	buffer_load_dword v1, off, s[0:3], s33 offset:76 ; 4-byte Folded Reload
	s_waitcnt vmcnt(0)
	v_add_co_u32_e32 v0, vcc, v0, v10
	v_addc_co_u32_e32 v1, vcc, v1, v11, vcc
	ds_write_b64 v0, v[0:1] offset:784
	v_and_b32_e32 v0, 0x2000, v61
	v_cmp_ne_u32_e32 vcc, 0, v0
	s_and_saveexec_b64 s[26:27], vcc
	s_cbranch_execz .LBB2_1536
; %bb.1535:                             ;   in Loop: Header=BB2_1515 Depth=2
	ds_read_b64 v[0:1], v0 offset:872
	s_waitcnt lgkmcnt(0)
	v_add_co_u32_e32 v0, vcc, 1, v0
	v_addc_co_u32_e32 v1, vcc, 0, v1, vcc
	ds_write_b64 v0, v[0:1] offset:872
.LBB2_1536:                             ;   in Loop: Header=BB2_1515 Depth=2
	s_or_b64 exec, exec, s[26:27]
	v_mov_b32_e32 v39, v9
	v_mov_b32_e32 v38, v8
.LBB2_1537:                             ;   in Loop: Header=BB2_1515 Depth=2
	s_or_b64 exec, exec, s[90:91]
	s_xor_b64 s[26:27], s[42:43], -1
	s_and_b64 s[26:27], exec, s[26:27]
	s_or_b64 s[40:41], s[26:27], s[40:41]
	s_and_saveexec_b64 s[26:27], s[12:13]
	s_cbranch_execz .LBB2_1556
; %bb.1538:                             ;   in Loop: Header=BB2_1515 Depth=2
	s_and_saveexec_b64 s[42:43], s[58:59]
	s_xor_b64 s[42:43], exec, s[42:43]
	s_cbranch_execz .LBB2_1553
; %bb.1539:                             ;   in Loop: Header=BB2_1515 Depth=2
	s_and_saveexec_b64 s[90:91], s[6:7]
	s_cbranch_execz .LBB2_1552
; %bb.1540:                             ;   in Loop: Header=BB2_1515 Depth=2
	s_mov_b64 s[94:95], exec
	v_mbcnt_lo_u32_b32 v0, s94, 0
	v_mbcnt_hi_u32_b32 v0, s95, v0
	v_cmp_eq_u32_e32 vcc, 0, v0
	s_waitcnt vmcnt(0) lgkmcnt(0)
	buffer_wbinvl1_vol
	s_and_saveexec_b64 s[92:93], vcc
	s_cbranch_execz .LBB2_1542
; %bb.1541:                             ;   in Loop: Header=BB2_1515 Depth=2
	s_bcnt1_i32_b64 s44, s[94:95]
	v_mov_b32_e32 v0, s44
	v_mov_b32_e32 v1, v29
	ds_add_u64 v0, v[0:1]
	s_trap 2
.LBB2_1542:                             ;   in Loop: Header=BB2_1515 Depth=2
	s_or_b64 exec, exec, s[92:93]
	s_trap 2
	ds_read_b64 v[0:1], v0
	s_waitcnt lgkmcnt(0)
	v_add_co_u32_e32 v12, vcc, v12, v14
	v_addc_co_u32_e32 v13, vcc, 0, v13, vcc
	v_cmp_lt_u64_e32 vcc, v[0:1], v[12:13]
	s_and_saveexec_b64 s[92:93], vcc
	s_cbranch_execz .LBB2_1551
; %bb.1543:                             ;   in Loop: Header=BB2_1515 Depth=2
	s_mov_b32 s44, 0
	s_mov_b64 s[94:95], 0
                                        ; implicit-def: $sgpr30_sgpr31
                                        ; implicit-def: $sgpr34_sgpr35
	s_branch .LBB2_1545
.LBB2_1544:                             ;   in Loop: Header=BB2_1545 Depth=3
	s_or_b64 exec, exec, s[38:39]
	s_and_b64 vcc, exec, vcc
	s_or_b64 s[94:95], vcc, s[94:95]
	s_andn2_b64 vcc, s[30:31], exec
	s_and_b64 s[30:31], s[34:35], exec
	s_or_b64 s[30:31], vcc, s[30:31]
	s_andn2_b64 exec, exec, s[94:95]
	s_cbranch_execz .LBB2_1549
.LBB2_1545:                             ;   Parent Loop BB2_47 Depth=1
                                        ;     Parent Loop BB2_1515 Depth=2
                                        ; =>    This Inner Loop Header: Depth=3
	s_add_i32 s44, s44, 1
	s_cmpk_lg_i32 s44, 0x2710
	s_cselect_b64 s[36:37], -1, 0
	s_and_b64 vcc, exec, s[36:37]
	s_cbranch_vccz .LBB2_1547
; %bb.1546:                             ;   in Loop: Header=BB2_1545 Depth=3
	s_mov_b64 vcc, -1
	s_or_b64 s[34:35], s[34:35], exec
	s_and_saveexec_b64 s[38:39], s[36:37]
	s_cbranch_execz .LBB2_1544
	s_branch .LBB2_1548
.LBB2_1547:                             ;   in Loop: Header=BB2_1545 Depth=3
	s_trap 2
	ds_read_b64 v[0:1], v0
	s_andn2_b64 s[36:37], s[36:37], exec
	s_mov_b32 s44, 0
	s_waitcnt lgkmcnt(0)
	flat_load_dword v0, v[0:1] glc
	s_waitcnt vmcnt(0) lgkmcnt(0)
	buffer_wbinvl1_vol
	v_cmp_eq_u32_e32 vcc, 0, v0
	s_and_b64 vcc, vcc, exec
	s_or_b64 s[36:37], s[36:37], vcc
	s_mov_b64 vcc, -1
	s_or_b64 s[34:35], s[34:35], exec
	s_and_saveexec_b64 s[38:39], s[36:37]
	s_cbranch_execz .LBB2_1544
.LBB2_1548:                             ;   in Loop: Header=BB2_1545 Depth=3
	s_sleep 1
	s_trap 2
	ds_read_b64 v[0:1], v0
	s_waitcnt lgkmcnt(0)
	s_andn2_b64 s[34:35], s[34:35], exec
	v_cmp_ge_u64_e32 vcc, v[0:1], v[12:13]
	s_orn2_b64 vcc, vcc, exec
	s_branch .LBB2_1544
.LBB2_1549:                             ;   in Loop: Header=BB2_1515 Depth=2
	s_or_b64 exec, exec, s[94:95]
	s_and_saveexec_b64 s[44:45], s[30:31]
	s_xor_b64 s[44:45], exec, s[44:45]
	s_cbranch_execz .LBB2_1551
; %bb.1550:                             ;   in Loop: Header=BB2_1515 Depth=2
	v_mov_b32_e32 v0, 1
	ds_write_b32 v0, v0
	s_trap 2
.LBB2_1551:                             ;   in Loop: Header=BB2_1515 Depth=2
	s_or_b64 exec, exec, s[92:93]
	;;#ASMSTART
	s_wakeup
	;;#ASMEND
.LBB2_1552:                             ;   in Loop: Header=BB2_1515 Depth=2
	s_or_b64 exec, exec, s[90:91]
.LBB2_1553:                             ;   in Loop: Header=BB2_1515 Depth=2
	s_andn2_saveexec_b64 s[42:43], s[42:43]
	s_cbranch_execz .LBB2_1555
; %bb.1554:                             ;   in Loop: Header=BB2_1515 Depth=2
	s_waitcnt vmcnt(0) lgkmcnt(0)
	buffer_wbinvl1_vol
	s_barrier
.LBB2_1555:                             ;   in Loop: Header=BB2_1515 Depth=2
	s_or_b64 exec, exec, s[42:43]
.LBB2_1556:                             ;   in Loop: Header=BB2_1515 Depth=2
	s_or_b64 exec, exec, s[26:27]
	v_and_b32_e32 v0, 16, v61
	s_and_saveexec_b64 s[26:27], s[18:19]
	s_xor_b64 s[26:27], exec, s[26:27]
	s_cbranch_execz .LBB2_1561
; %bb.1557:                             ;   in Loop: Header=BB2_1515 Depth=2
	s_trap 2
	ds_read_b32 v0, v0
	v_cmp_lt_i32_e32 vcc, 0, v5
	v_and_b32_e32 v1, 16, v61
	s_waitcnt lgkmcnt(0)
	v_readfirstlane_b32 s42, v0
	s_cmp_eq_u32 s42, 0
	s_cselect_b64 s[42:43], -1, 0
	s_and_b64 s[42:43], vcc, s[42:43]
	v_cmp_ne_u32_e32 vcc, 0, v1
	v_and_b32_e32 v0, 16, v61
	s_and_b64 s[44:45], vcc, s[42:43]
	s_and_saveexec_b64 s[42:43], s[44:45]
	s_cbranch_execz .LBB2_1559
; %bb.1558:                             ;   in Loop: Header=BB2_1515 Depth=2
	v_mov_b32_e32 v0, 1
	s_waitcnt vmcnt(0)
	buffer_wbinvl1_vol
.LBB2_1559:                             ;   in Loop: Header=BB2_1515 Depth=2
	s_or_b64 exec, exec, s[42:43]
	s_andn2_saveexec_b64 s[26:27], s[26:27]
	s_cbranch_execnz .LBB2_1562
.LBB2_1560:                             ;   in Loop: Header=BB2_1515 Depth=2
	s_or_b64 exec, exec, s[26:27]
	v_cmp_ne_u32_e32 vcc, 0, v0
	s_and_saveexec_b64 s[26:27], vcc
	s_cbranch_execz .LBB2_1514
	s_branch .LBB2_1580
.LBB2_1561:                             ;   in Loop: Header=BB2_1515 Depth=2
	s_andn2_saveexec_b64 s[26:27], s[26:27]
	s_cbranch_execz .LBB2_1560
.LBB2_1562:                             ;   in Loop: Header=BB2_1515 Depth=2
	s_and_saveexec_b64 s[42:43], s[58:59]
	s_xor_b64 s[42:43], exec, s[42:43]
	s_cbranch_execz .LBB2_1577
; %bb.1563:                             ;   in Loop: Header=BB2_1515 Depth=2
	s_and_saveexec_b64 s[90:91], s[6:7]
	s_cbranch_execz .LBB2_1576
; %bb.1564:                             ;   in Loop: Header=BB2_1515 Depth=2
	s_mov_b64 s[94:95], exec
	v_mbcnt_lo_u32_b32 v1, s94, 0
	v_mbcnt_hi_u32_b32 v1, s95, v1
	v_cmp_eq_u32_e32 vcc, 0, v1
	;;#ASMSTART
	s_waitcnt lgkmcnt(0) vmcnt(0)
	;;#ASMEND
	s_and_saveexec_b64 s[92:93], vcc
	s_cbranch_execz .LBB2_1566
; %bb.1565:                             ;   in Loop: Header=BB2_1515 Depth=2
	s_bcnt1_i32_b64 s44, s[94:95]
	v_mov_b32_e32 v1, s44
	v_mov_b32_e32 v2, v29
	s_waitcnt lgkmcnt(0)
	ds_add_u64 v0, v[1:2]
	s_trap 2
.LBB2_1566:                             ;   in Loop: Header=BB2_1515 Depth=2
	s_or_b64 exec, exec, s[92:93]
	s_trap 2
	ds_read_b64 v[1:2], v0
	s_waitcnt lgkmcnt(0)
	v_add_co_u32_e32 v12, vcc, v12, v14
	v_addc_co_u32_e32 v13, vcc, 0, v13, vcc
	v_cmp_lt_u64_e32 vcc, v[1:2], v[12:13]
	s_and_saveexec_b64 s[92:93], vcc
	s_cbranch_execz .LBB2_1575
; %bb.1567:                             ;   in Loop: Header=BB2_1515 Depth=2
	s_mov_b32 s44, 0
	s_mov_b64 s[94:95], 0
                                        ; implicit-def: $sgpr30_sgpr31
                                        ; implicit-def: $sgpr34_sgpr35
	s_branch .LBB2_1569
.LBB2_1568:                             ;   in Loop: Header=BB2_1569 Depth=3
	s_or_b64 exec, exec, s[38:39]
	s_and_b64 vcc, exec, vcc
	s_or_b64 s[94:95], vcc, s[94:95]
	s_andn2_b64 vcc, s[30:31], exec
	s_and_b64 s[30:31], s[34:35], exec
	s_or_b64 s[30:31], vcc, s[30:31]
	s_andn2_b64 exec, exec, s[94:95]
	s_cbranch_execz .LBB2_1573
.LBB2_1569:                             ;   Parent Loop BB2_47 Depth=1
                                        ;     Parent Loop BB2_1515 Depth=2
                                        ; =>    This Inner Loop Header: Depth=3
	s_add_i32 s44, s44, 1
	s_cmpk_lg_i32 s44, 0x2710
	s_cselect_b64 s[36:37], -1, 0
	s_and_b64 vcc, exec, s[36:37]
	s_cbranch_vccz .LBB2_1571
; %bb.1570:                             ;   in Loop: Header=BB2_1569 Depth=3
	s_mov_b64 vcc, -1
	s_or_b64 s[34:35], s[34:35], exec
	s_and_saveexec_b64 s[38:39], s[36:37]
	s_cbranch_execz .LBB2_1568
	s_branch .LBB2_1572
.LBB2_1571:                             ;   in Loop: Header=BB2_1569 Depth=3
	s_trap 2
	ds_read_b64 v[1:2], v0
	s_andn2_b64 s[36:37], s[36:37], exec
	s_mov_b32 s44, 0
	s_waitcnt vmcnt(0) lgkmcnt(0)
	flat_load_dword v1, v[1:2] glc
	s_waitcnt vmcnt(0) lgkmcnt(0)
	buffer_wbinvl1_vol
	v_cmp_eq_u32_e32 vcc, 0, v1
	s_and_b64 vcc, vcc, exec
	s_or_b64 s[36:37], s[36:37], vcc
	s_mov_b64 vcc, -1
	s_or_b64 s[34:35], s[34:35], exec
	s_and_saveexec_b64 s[38:39], s[36:37]
	s_cbranch_execz .LBB2_1568
.LBB2_1572:                             ;   in Loop: Header=BB2_1569 Depth=3
	s_sleep 1
	s_trap 2
	ds_read_b64 v[1:2], v0
	s_waitcnt lgkmcnt(0)
	s_andn2_b64 s[34:35], s[34:35], exec
	v_cmp_ge_u64_e32 vcc, v[1:2], v[12:13]
	s_orn2_b64 vcc, vcc, exec
	s_branch .LBB2_1568
.LBB2_1573:                             ;   in Loop: Header=BB2_1515 Depth=2
	s_or_b64 exec, exec, s[94:95]
	s_and_saveexec_b64 s[44:45], s[30:31]
	s_xor_b64 s[44:45], exec, s[44:45]
	s_cbranch_execz .LBB2_1575
; %bb.1574:                             ;   in Loop: Header=BB2_1515 Depth=2
	v_mov_b32_e32 v1, 1
	ds_write_b32 v0, v1
	s_trap 2
.LBB2_1575:                             ;   in Loop: Header=BB2_1515 Depth=2
	s_or_b64 exec, exec, s[92:93]
	;;#ASMSTART
	s_wakeup
	;;#ASMEND
.LBB2_1576:                             ;   in Loop: Header=BB2_1515 Depth=2
	s_or_b64 exec, exec, s[90:91]
.LBB2_1577:                             ;   in Loop: Header=BB2_1515 Depth=2
	s_andn2_saveexec_b64 s[42:43], s[42:43]
	s_cbranch_execz .LBB2_1579
; %bb.1578:                             ;   in Loop: Header=BB2_1515 Depth=2
	;;#ASMSTART
	s_waitcnt lgkmcnt(0) vmcnt(0)
	;;#ASMEND
	s_waitcnt vmcnt(0) lgkmcnt(0)
	s_barrier
.LBB2_1579:                             ;   in Loop: Header=BB2_1515 Depth=2
	s_or_b64 exec, exec, s[42:43]
	s_or_b64 exec, exec, s[26:27]
	v_cmp_ne_u32_e32 vcc, 0, v0
	s_and_saveexec_b64 s[26:27], vcc
	s_cbranch_execz .LBB2_1514
.LBB2_1580:                             ;   in Loop: Header=BB2_1515 Depth=2
	s_and_saveexec_b64 s[42:43], s[22:23]
	s_cbranch_execz .LBB2_1513
; %bb.1581:                             ;   in Loop: Header=BB2_1515 Depth=2
	buffer_load_dword v0, off, s[0:3], s33 offset:96 ; 4-byte Folded Reload
	buffer_load_dword v1, off, s[0:3], s33 offset:100 ; 4-byte Folded Reload
	v_mov_b32_e32 v2, 1
	s_waitcnt vmcnt(0)
	flat_store_dword v[0:1], v2
	s_branch .LBB2_1513
.LBB2_1582:                             ;   in Loop: Header=BB2_47 Depth=1
	s_or_b64 exec, exec, s[40:41]
.LBB2_1583:                             ;   in Loop: Header=BB2_47 Depth=1
	s_or_b64 exec, exec, s[28:29]
	v_cndmask_b32_e64 v0, 0, 1, s[62:63]
	v_cmp_ne_u32_e64 s[26:27], 1, v0
	s_andn2_b64 vcc, exec, s[62:63]
	s_cbranch_vccnz .LBB2_3954
; %bb.1584:                             ;   in Loop: Header=BB2_47 Depth=1
	s_mov_b32 s47, 2
	s_branch .LBB2_1587
.LBB2_1585:                             ;   in Loop: Header=BB2_1587 Depth=2
	s_or_b64 exec, exec, s[42:43]
.LBB2_1586:                             ;   in Loop: Header=BB2_1587 Depth=2
	s_or_b64 exec, exec, s[40:41]
	s_add_i32 s47, s47, 1
	s_cmp_eq_u32 s47, s66
	s_cbranch_scc1 .LBB2_3954
.LBB2_1587:                             ;   Parent Loop BB2_47 Depth=1
                                        ; =>  This Loop Header: Depth=2
                                        ;       Child Loop BB2_1590 Depth 3
                                        ;         Child Loop BB2_1598 Depth 4
                                        ;         Child Loop BB2_1626 Depth 4
	;; [unrolled: 1-line block ×9, first 2 shown]
                                        ;       Child Loop BB2_3882 Depth 3
                                        ;         Child Loop BB2_3888 Depth 4
                                        ;         Child Loop BB2_3916 Depth 4
	;; [unrolled: 1-line block ×3, first 2 shown]
	buffer_load_dword v2, off, s[0:3], s33 offset:188 ; 4-byte Folded Reload
	buffer_load_dword v3, off, s[0:3], s33 offset:192 ; 4-byte Folded Reload
	s_sub_i32 s28, s70, s47
	s_cmp_ge_i32 s28, s66
	s_cselect_b32 s29, s66, 0
	s_sub_i32 s28, s28, s29
	s_ashr_i32 s40, s28, 31
	v_mov_b32_e32 v49, 0
	s_waitcnt vmcnt(0)
	v_mul_lo_u32 v1, v2, s40
	v_mul_lo_u32 v0, v3, s28
	v_mad_u64_u32 v[5:6], s[28:29], v2, s28, 0
	v_add3_u32 v6, v6, v1, v0
	buffer_load_dword v0, off, s[0:3], s33 offset:180 ; 4-byte Folded Reload
	buffer_load_dword v1, off, s[0:3], s33 offset:184 ; 4-byte Folded Reload
	s_waitcnt vmcnt(0)
	v_sub_co_u32_e32 v0, vcc, v0, v5
	buffer_store_dword v5, off, s[0:3], s33 offset:140 ; 4-byte Folded Spill
	s_nop 0
	buffer_store_dword v6, off, s[0:3], s33 offset:144 ; 4-byte Folded Spill
	v_subb_co_u32_e32 v1, vcc, v1, v6, vcc
	v_cmp_lt_i64_e32 vcc, v[2:3], v[0:1]
	v_cndmask_b32_e32 v0, v0, v2, vcc
	v_max_i32_e32 v48, 0, v0
	v_add_u32_e32 v1, 31, v48
	v_lshrrev_b32_e32 v1, 1, v1
	v_and_b32_e32 v1, 0x3ffffff0, v1
	v_cmp_lt_i32_e32 vcc, 0, v0
	v_max_i32_e32 v50, s81, v1
	s_and_b64 s[28:29], s[74:75], vcc
	v_mov_b32_e32 v0, 0
	s_and_saveexec_b64 s[42:43], s[28:29]
	s_cbranch_execz .LBB2_3879
; %bb.1588:                             ;   in Loop: Header=BB2_1587 Depth=2
	s_mov_b32 s44, 1
	s_mov_b64 s[92:93], -1
	v_mov_b32_e32 v49, 0
	s_mov_b64 s[90:91], 0
	s_branch .LBB2_1590
.LBB2_1589:                             ;   in Loop: Header=BB2_1590 Depth=3
	s_or_b64 exec, exec, s[28:29]
	v_add_u32_e32 v49, v50, v49
	v_cmp_ge_i32_e32 vcc, v49, v48
	s_xor_b64 s[28:29], s[92:93], -1
	s_or_b64 s[28:29], s[28:29], vcc
	s_and_b64 s[28:29], exec, s[28:29]
	s_or_b64 s[90:91], s[28:29], s[90:91]
	s_mov_b64 s[92:93], 0
	v_mov_b32_e32 v0, s44
	s_mov_b32 s44, 2
	s_andn2_b64 exec, exec, s[90:91]
	s_cbranch_execz .LBB2_3878
.LBB2_1590:                             ;   Parent Loop BB2_47 Depth=1
                                        ;     Parent Loop BB2_1587 Depth=2
                                        ; =>    This Loop Header: Depth=3
                                        ;         Child Loop BB2_1598 Depth 4
                                        ;         Child Loop BB2_1626 Depth 4
	;; [unrolled: 1-line block ×9, first 2 shown]
	s_and_saveexec_b64 s[28:29], s[4:5]
	s_cbranch_execz .LBB2_1592
; %bb.1591:                             ;   in Loop: Header=BB2_1590 Depth=3
	s_trap 2
	buffer_load_dword v2, off, s[0:3], s33 offset:132 ; 4-byte Folded Reload
	ds_read_b64 v[0:1], v0
	s_waitcnt vmcnt(0) lgkmcnt(0)
	v_add_co_u32_e32 v0, vcc, v0, v2
	buffer_load_dword v2, off, s[0:3], s33 offset:136 ; 4-byte Folded Reload
	s_waitcnt vmcnt(0)
	v_addc_co_u32_e32 v1, vcc, v1, v2, vcc
	buffer_load_dword v2, off, s[0:3], s33 offset:140 ; 4-byte Folded Reload
	buffer_load_dword v3, off, s[0:3], s33 offset:144 ; 4-byte Folded Reload
	s_waitcnt vmcnt(1)
	v_add_co_u32_e32 v0, vcc, v0, v2
	s_waitcnt vmcnt(0)
	v_addc_co_u32_e32 v1, vcc, v1, v3, vcc
	v_ashrrev_i32_e32 v2, 31, v49
	v_add_co_u32_e32 v0, vcc, v0, v49
	v_addc_co_u32_e32 v1, vcc, v1, v2, vcc
	ds_write_b64 v0, v[0:1]
	v_mov_b32_e32 v0, v29
	v_mov_b32_e32 v1, v29
	ds_write_b64 v0, v[0:1]
.LBB2_1592:                             ;   in Loop: Header=BB2_1590 Depth=3
	s_or_b64 exec, exec, s[28:29]
	v_sub_u32_e32 v0, v48, v49
	v_min_i32_e32 v50, v50, v0
	v_and_b32_e32 v0, 12, v61
	v_cmp_ne_u32_e32 vcc, 0, v0
	s_and_saveexec_b64 s[40:41], vcc
	s_cbranch_execz .LBB2_1618
; %bb.1593:                             ;   in Loop: Header=BB2_1590 Depth=3
	v_and_b32_e32 v0, 8, v61
	s_waitcnt lgkmcnt(0)
	v_add_co_u32_e32 v1, vcc, v26, v0
	v_addc_co_u32_e32 v2, vcc, 0, v27, vcc
	v_add_co_u32_e32 v8, vcc, 2, v38
	v_addc_co_u32_e32 v9, vcc, 0, v39, vcc
	v_cmp_lt_u64_e32 vcc, v[1:2], v[8:9]
	s_and_saveexec_b64 s[94:95], vcc
	s_cbranch_execz .LBB2_1605
; %bb.1594:                             ;   in Loop: Header=BB2_1590 Depth=3
	v_and_b32_e32 v1, 64, v61
	s_mov_b32 s45, 0
	v_cmp_eq_u32_e32 vcc, 0, v1
	s_mov_b64 s[30:31], 0
                                        ; implicit-def: $sgpr34_sgpr35
                                        ; implicit-def: $sgpr36_sgpr37
                                        ; implicit-def: $sgpr38_sgpr39
	s_branch .LBB2_1598
.LBB2_1595:                             ;   in Loop: Header=BB2_1598 Depth=4
	s_waitcnt vmcnt(0) lgkmcnt(0)
	v_add_co_u32_e64 v2, s[28:29], v26, v0
	v_addc_co_u32_e64 v3, s[28:29], 0, v27, s[28:29]
	v_cmp_ge_u64_e64 s[28:29], v[2:3], v[8:9]
	s_or_b64 s[52:53], s[52:53], exec
	s_orn2_b64 s[50:51], s[28:29], exec
.LBB2_1596:                             ;   in Loop: Header=BB2_1598 Depth=4
	s_or_b64 exec, exec, s[64:65]
	s_andn2_b64 s[28:29], s[38:39], exec
	s_and_b64 s[38:39], s[52:53], exec
	s_or_b64 s[38:39], s[28:29], s[38:39]
	s_andn2_b64 s[28:29], s[36:37], exec
	s_and_b64 s[36:37], s[50:51], exec
	s_or_b64 s[36:37], s[28:29], s[36:37]
.LBB2_1597:                             ;   in Loop: Header=BB2_1598 Depth=4
	s_or_b64 exec, exec, s[48:49]
	s_and_b64 s[28:29], exec, s[36:37]
	s_or_b64 s[30:31], s[28:29], s[30:31]
	s_andn2_b64 s[28:29], s[34:35], exec
	s_and_b64 s[34:35], s[38:39], exec
	s_or_b64 s[34:35], s[28:29], s[34:35]
	s_andn2_b64 exec, exec, s[30:31]
	s_cbranch_execz .LBB2_1602
.LBB2_1598:                             ;   Parent Loop BB2_47 Depth=1
                                        ;     Parent Loop BB2_1587 Depth=2
                                        ;       Parent Loop BB2_1590 Depth=3
                                        ; =>      This Inner Loop Header: Depth=4
	s_sleep 1
	s_waitcnt vmcnt(0) lgkmcnt(0)
	flat_load_dwordx2 v[26:27], v[20:21] glc
	s_or_b64 s[38:39], s[38:39], exec
	s_or_b64 s[36:37], s[36:37], exec
                                        ; implicit-def: $vgpr1
	s_and_saveexec_b64 s[48:49], vcc
	s_cbranch_execz .LBB2_1597
; %bb.1599:                             ;   in Loop: Header=BB2_1598 Depth=4
	s_cmpk_lt_i32 s45, 0x270f
	s_cselect_b64 s[54:55], -1, 0
	s_cmpk_gt_i32 s45, 0x270e
	s_mov_b64 s[50:51], -1
	s_cbranch_scc0 .LBB2_1601
; %bb.1600:                             ;   in Loop: Header=BB2_1598 Depth=4
	s_trap 2
	ds_read_b64 v[1:2], v0
	s_andn2_b64 s[54:55], s[54:55], exec
	s_mov_b32 s45, 0
	s_mov_b64 s[52:53], 0
	s_waitcnt vmcnt(0) lgkmcnt(0)
	flat_load_dword v1, v[1:2] glc
	s_waitcnt vmcnt(0) lgkmcnt(0)
	buffer_wbinvl1_vol
	v_cmp_eq_u32_e64 s[28:29], 0, v1
	s_and_b64 s[28:29], s[28:29], exec
	s_or_b64 s[54:55], s[54:55], s[28:29]
	s_and_saveexec_b64 s[64:65], s[54:55]
	s_cbranch_execz .LBB2_1596
	s_branch .LBB2_1595
.LBB2_1601:                             ;   in Loop: Header=BB2_1598 Depth=4
	s_add_i32 s45, s45, 1
	s_mov_b64 s[52:53], -1
                                        ; implicit-def: $vgpr1
	s_and_saveexec_b64 s[64:65], s[54:55]
	s_cbranch_execz .LBB2_1596
	s_branch .LBB2_1595
.LBB2_1602:                             ;   in Loop: Header=BB2_1590 Depth=3
	s_or_b64 exec, exec, s[30:31]
	s_xor_b64 s[28:29], s[34:35], -1
	s_and_saveexec_b64 vcc, s[28:29]
	s_xor_b64 s[28:29], exec, vcc
	s_cbranch_execz .LBB2_1604
; %bb.1603:                             ;   in Loop: Header=BB2_1590 Depth=3
	v_or_b32_e32 v61, 64, v61
	s_waitcnt lgkmcnt(0)
	ds_write_b32 v0, v1
	s_trap 2
.LBB2_1604:                             ;   in Loop: Header=BB2_1590 Depth=3
	s_or_b64 exec, exec, s[28:29]
.LBB2_1605:                             ;   in Loop: Header=BB2_1590 Depth=3
	s_or_b64 exec, exec, s[94:95]
	v_and_b32_e32 v1, 0x108, v61
	v_cmp_ne_u32_e32 vcc, s46, v1
	;;#ASMSTART
	s_wakeup
	;;#ASMEND
                                        ; implicit-def: $vgpr10_vgpr11
	s_and_saveexec_b64 s[28:29], vcc
	s_xor_b64 s[28:29], exec, s[28:29]
; %bb.1606:                             ;   in Loop: Header=BB2_1590 Depth=3
	v_and_b32_e32 v10, 7, v38
	v_mov_b32_e32 v11, v29
                                        ; implicit-def: $vgpr38_vgpr39
; %bb.1607:                             ;   in Loop: Header=BB2_1590 Depth=3
	s_andn2_saveexec_b64 s[28:29], s[28:29]
	s_cbranch_execz .LBB2_1609
; %bb.1608:                             ;   in Loop: Header=BB2_1590 Depth=3
	buffer_load_dword v22, off, s[0:3], s33 offset:80 ; 4-byte Folded Reload
	buffer_load_dword v23, off, s[0:3], s33 offset:84 ; 4-byte Folded Reload
	;; [unrolled: 1-line block ×4, first 2 shown]
	v_and_b32_e32 v10, 7, v38
	v_mov_b32_e32 v11, v29
	v_ashrrev_i32_e32 v51, 31, v50
	s_waitcnt vmcnt(0)
	v_mad_u64_u32 v[1:2], s[94:95], v10, 24, v[22:23]
	flat_store_dwordx2 v[1:2], v[50:51] offset:8
.LBB2_1609:                             ;   in Loop: Header=BB2_1590 Depth=3
	s_or_b64 exec, exec, s[28:29]
	v_and_b32_e32 v1, 0x100, v61
	v_cmp_ne_u32_e32 vcc, 0, v1
	s_mov_b64 s[28:29], -1
                                        ; implicit-def: $vgpr38_vgpr39
	s_and_saveexec_b64 s[94:95], vcc
	s_cbranch_execz .LBB2_1613
; %bb.1610:                             ;   in Loop: Header=BB2_1590 Depth=3
	buffer_load_dword v22, off, s[0:3], s33 offset:80 ; 4-byte Folded Reload
	buffer_load_dword v23, off, s[0:3], s33 offset:84 ; 4-byte Folded Reload
	;; [unrolled: 1-line block ×4, first 2 shown]
                                        ; implicit-def: $vgpr38_vgpr39
	s_waitcnt vmcnt(0)
	v_mad_u64_u32 v[54:55], s[28:29], v10, 24, v[22:23]
	v_mov_b32_e32 v1, v55
	v_mad_u64_u32 v[1:2], s[28:29], v11, 24, v[1:2]
	v_mov_b32_e32 v55, v1
	flat_load_dword v1, v[54:55]
	s_waitcnt vmcnt(0) lgkmcnt(0)
	v_cmp_ne_u32_e32 vcc, 1, v1
	v_cmp_eq_u32_e64 s[28:29], 1, v1
	s_and_saveexec_b64 s[30:31], s[28:29]
	s_cbranch_execz .LBB2_1612
; %bb.1611:                             ;   in Loop: Header=BB2_1590 Depth=3
	flat_load_dword v38, v[54:55] offset:4 glc
	s_waitcnt vmcnt(0) lgkmcnt(0)
	v_ashrrev_i32_e32 v39, 31, v38
.LBB2_1612:                             ;   in Loop: Header=BB2_1590 Depth=3
	s_or_b64 exec, exec, s[30:31]
	s_orn2_b64 s[28:29], vcc, exec
.LBB2_1613:                             ;   in Loop: Header=BB2_1590 Depth=3
	s_or_b64 exec, exec, s[94:95]
	s_and_saveexec_b64 s[94:95], s[28:29]
	s_cbranch_execz .LBB2_1615
; %bb.1614:                             ;   in Loop: Header=BB2_1590 Depth=3
	buffer_load_dword v3, off, s[0:3], s33 offset:104 ; 4-byte Folded Reload
	buffer_load_dword v2, off, s[0:3], s33 offset:124 ; 4-byte Folded Reload
	s_waitcnt vmcnt(0)
	v_mul_lo_u32 v1, v11, v3
	v_mul_lo_u32 v2, v10, v2
	v_mad_u64_u32 v[38:39], s[28:29], v10, v3, 0
	v_add3_u32 v39, v39, v2, v1
.LBB2_1615:                             ;   in Loop: Header=BB2_1590 Depth=3
	s_or_b64 exec, exec, s[94:95]
	v_cmp_eq_u32_e32 vcc, 0, v0
	v_mov_b32_e32 v0, 0xc8
	v_mov_b32_e32 v1, 0x90
	v_cndmask_b32_e32 v2, v0, v1, vcc
	buffer_load_dword v0, off, s[0:3], s33 offset:72 ; 4-byte Folded Reload
	buffer_load_dword v1, off, s[0:3], s33 offset:76 ; 4-byte Folded Reload
	s_waitcnt vmcnt(0)
	v_add_co_u32_e32 v0, vcc, v0, v38
	v_addc_co_u32_e32 v1, vcc, v1, v39, vcc
	v_add_u32_e32 v2, v0, v2
	ds_write_b64 v2, v[0:1] offset:584
	v_and_b32_e32 v0, 0x2000, v61
	v_cmp_ne_u32_e32 vcc, 0, v0
	s_and_saveexec_b64 s[28:29], vcc
	s_cbranch_execz .LBB2_1617
; %bb.1616:                             ;   in Loop: Header=BB2_1590 Depth=3
	ds_read_b64 v[0:1], v0 offset:872
	s_waitcnt lgkmcnt(0)
	v_add_co_u32_e32 v0, vcc, 1, v0
	v_addc_co_u32_e32 v1, vcc, 0, v1, vcc
	ds_write_b64 v0, v[0:1] offset:872
.LBB2_1617:                             ;   in Loop: Header=BB2_1590 Depth=3
	s_or_b64 exec, exec, s[28:29]
	v_mov_b32_e32 v39, v9
	v_mov_b32_e32 v38, v8
.LBB2_1618:                             ;   in Loop: Header=BB2_1590 Depth=3
	s_or_b64 exec, exec, s[40:41]
	s_and_saveexec_b64 s[28:29], s[12:13]
	s_cbranch_execz .LBB2_1637
; %bb.1619:                             ;   in Loop: Header=BB2_1590 Depth=3
	s_and_saveexec_b64 s[40:41], s[58:59]
	s_xor_b64 s[40:41], exec, s[40:41]
	s_cbranch_execz .LBB2_1634
; %bb.1620:                             ;   in Loop: Header=BB2_1590 Depth=3
	s_and_saveexec_b64 s[94:95], s[6:7]
	s_cbranch_execz .LBB2_1633
; %bb.1621:                             ;   in Loop: Header=BB2_1590 Depth=3
	s_mov_b64 s[34:35], exec
	v_mbcnt_lo_u32_b32 v0, s34, 0
	v_mbcnt_hi_u32_b32 v0, s35, v0
	v_cmp_eq_u32_e32 vcc, 0, v0
	s_waitcnt vmcnt(0) lgkmcnt(0)
	buffer_wbinvl1_vol
	s_and_saveexec_b64 s[30:31], vcc
	s_cbranch_execz .LBB2_1623
; %bb.1622:                             ;   in Loop: Header=BB2_1590 Depth=3
	s_bcnt1_i32_b64 s45, s[34:35]
	v_mov_b32_e32 v0, s45
	v_mov_b32_e32 v1, v29
	ds_add_u64 v0, v[0:1]
	s_trap 2
.LBB2_1623:                             ;   in Loop: Header=BB2_1590 Depth=3
	s_or_b64 exec, exec, s[30:31]
	s_trap 2
	ds_read_b64 v[0:1], v0
	s_waitcnt lgkmcnt(0)
	v_add_co_u32_e32 v12, vcc, v12, v14
	v_addc_co_u32_e32 v13, vcc, 0, v13, vcc
	v_cmp_lt_u64_e32 vcc, v[0:1], v[12:13]
	s_and_saveexec_b64 s[30:31], vcc
	s_cbranch_execz .LBB2_1632
; %bb.1624:                             ;   in Loop: Header=BB2_1590 Depth=3
	s_mov_b32 s45, 0
	s_mov_b64 s[34:35], 0
                                        ; implicit-def: $sgpr36_sgpr37
                                        ; implicit-def: $sgpr38_sgpr39
	s_branch .LBB2_1626
.LBB2_1625:                             ;   in Loop: Header=BB2_1626 Depth=4
	s_or_b64 exec, exec, s[50:51]
	s_and_b64 vcc, exec, vcc
	s_or_b64 s[34:35], vcc, s[34:35]
	s_andn2_b64 vcc, s[36:37], exec
	s_and_b64 s[36:37], s[38:39], exec
	s_or_b64 s[36:37], vcc, s[36:37]
	s_andn2_b64 exec, exec, s[34:35]
	s_cbranch_execz .LBB2_1630
.LBB2_1626:                             ;   Parent Loop BB2_47 Depth=1
                                        ;     Parent Loop BB2_1587 Depth=2
                                        ;       Parent Loop BB2_1590 Depth=3
                                        ; =>      This Inner Loop Header: Depth=4
	s_add_i32 s45, s45, 1
	s_cmpk_lg_i32 s45, 0x2710
	s_cselect_b64 s[48:49], -1, 0
	s_and_b64 vcc, exec, s[48:49]
	s_cbranch_vccz .LBB2_1628
; %bb.1627:                             ;   in Loop: Header=BB2_1626 Depth=4
	s_mov_b64 vcc, -1
	s_or_b64 s[38:39], s[38:39], exec
	s_and_saveexec_b64 s[50:51], s[48:49]
	s_cbranch_execz .LBB2_1625
	s_branch .LBB2_1629
.LBB2_1628:                             ;   in Loop: Header=BB2_1626 Depth=4
	s_trap 2
	ds_read_b64 v[0:1], v0
	s_andn2_b64 s[48:49], s[48:49], exec
	s_mov_b32 s45, 0
	s_waitcnt lgkmcnt(0)
	flat_load_dword v0, v[0:1] glc
	s_waitcnt vmcnt(0) lgkmcnt(0)
	buffer_wbinvl1_vol
	v_cmp_eq_u32_e32 vcc, 0, v0
	s_and_b64 vcc, vcc, exec
	s_or_b64 s[48:49], s[48:49], vcc
	s_mov_b64 vcc, -1
	s_or_b64 s[38:39], s[38:39], exec
	s_and_saveexec_b64 s[50:51], s[48:49]
	s_cbranch_execz .LBB2_1625
.LBB2_1629:                             ;   in Loop: Header=BB2_1626 Depth=4
	s_sleep 1
	s_trap 2
	ds_read_b64 v[0:1], v0
	s_waitcnt lgkmcnt(0)
	s_andn2_b64 s[38:39], s[38:39], exec
	v_cmp_ge_u64_e32 vcc, v[0:1], v[12:13]
	s_orn2_b64 vcc, vcc, exec
	s_branch .LBB2_1625
.LBB2_1630:                             ;   in Loop: Header=BB2_1590 Depth=3
	s_or_b64 exec, exec, s[34:35]
	s_and_saveexec_b64 vcc, s[36:37]
	s_xor_b64 vcc, exec, vcc
	s_cbranch_execz .LBB2_1632
; %bb.1631:                             ;   in Loop: Header=BB2_1590 Depth=3
	v_mov_b32_e32 v0, 1
	ds_write_b32 v0, v0
	s_trap 2
.LBB2_1632:                             ;   in Loop: Header=BB2_1590 Depth=3
	s_or_b64 exec, exec, s[30:31]
	;;#ASMSTART
	s_wakeup
	;;#ASMEND
.LBB2_1633:                             ;   in Loop: Header=BB2_1590 Depth=3
	s_or_b64 exec, exec, s[94:95]
.LBB2_1634:                             ;   in Loop: Header=BB2_1590 Depth=3
	s_andn2_saveexec_b64 s[40:41], s[40:41]
	s_cbranch_execz .LBB2_1636
; %bb.1635:                             ;   in Loop: Header=BB2_1590 Depth=3
	s_waitcnt vmcnt(0) lgkmcnt(0)
	buffer_wbinvl1_vol
	s_barrier
.LBB2_1636:                             ;   in Loop: Header=BB2_1590 Depth=3
	s_or_b64 exec, exec, s[40:41]
.LBB2_1637:                             ;   in Loop: Header=BB2_1590 Depth=3
	s_or_b64 exec, exec, s[28:29]
	s_trap 2
	ds_read_b32 v0, v0
	v_and_b32_e32 v1, 0x4000, v61
	v_cmp_ne_u32_e32 vcc, 0, v1
	s_xor_b64 s[28:29], s[10:11], -1
	s_and_b64 s[40:41], s[28:29], vcc
	s_and_saveexec_b64 s[28:29], s[40:41]
	s_cbranch_execz .LBB2_1656
; %bb.1638:                             ;   in Loop: Header=BB2_1590 Depth=3
	s_and_saveexec_b64 s[40:41], s[58:59]
	s_xor_b64 s[40:41], exec, s[40:41]
	s_cbranch_execz .LBB2_1653
; %bb.1639:                             ;   in Loop: Header=BB2_1590 Depth=3
	s_and_saveexec_b64 s[94:95], s[6:7]
	s_cbranch_execz .LBB2_1652
; %bb.1640:                             ;   in Loop: Header=BB2_1590 Depth=3
	s_mov_b64 s[34:35], exec
	v_mbcnt_lo_u32_b32 v1, s34, 0
	v_mbcnt_hi_u32_b32 v1, s35, v1
	v_cmp_eq_u32_e32 vcc, 0, v1
	s_waitcnt vmcnt(0) lgkmcnt(0)
	buffer_wbinvl1_vol
	s_and_saveexec_b64 s[30:31], vcc
	s_cbranch_execz .LBB2_1642
; %bb.1641:                             ;   in Loop: Header=BB2_1590 Depth=3
	s_bcnt1_i32_b64 s45, s[34:35]
	v_mov_b32_e32 v1, s45
	v_mov_b32_e32 v2, v29
	ds_add_u64 v0, v[1:2]
	s_trap 2
.LBB2_1642:                             ;   in Loop: Header=BB2_1590 Depth=3
	s_or_b64 exec, exec, s[30:31]
	s_trap 2
	ds_read_b64 v[1:2], v0
	s_waitcnt lgkmcnt(0)
	v_add_co_u32_e32 v12, vcc, v12, v14
	v_addc_co_u32_e32 v13, vcc, 0, v13, vcc
	v_cmp_lt_u64_e32 vcc, v[1:2], v[12:13]
	s_and_saveexec_b64 s[30:31], vcc
	s_cbranch_execz .LBB2_1651
; %bb.1643:                             ;   in Loop: Header=BB2_1590 Depth=3
	s_mov_b32 s45, 0
	s_mov_b64 s[34:35], 0
                                        ; implicit-def: $sgpr36_sgpr37
                                        ; implicit-def: $sgpr38_sgpr39
	s_branch .LBB2_1645
.LBB2_1644:                             ;   in Loop: Header=BB2_1645 Depth=4
	s_or_b64 exec, exec, s[50:51]
	s_and_b64 vcc, exec, vcc
	s_or_b64 s[34:35], vcc, s[34:35]
	s_andn2_b64 vcc, s[36:37], exec
	s_and_b64 s[36:37], s[38:39], exec
	s_or_b64 s[36:37], vcc, s[36:37]
	s_andn2_b64 exec, exec, s[34:35]
	s_cbranch_execz .LBB2_1649
.LBB2_1645:                             ;   Parent Loop BB2_47 Depth=1
                                        ;     Parent Loop BB2_1587 Depth=2
                                        ;       Parent Loop BB2_1590 Depth=3
                                        ; =>      This Inner Loop Header: Depth=4
	s_add_i32 s45, s45, 1
	s_cmpk_lg_i32 s45, 0x2710
	s_cselect_b64 s[48:49], -1, 0
	s_and_b64 vcc, exec, s[48:49]
	s_cbranch_vccz .LBB2_1647
; %bb.1646:                             ;   in Loop: Header=BB2_1645 Depth=4
	s_mov_b64 vcc, -1
	s_or_b64 s[38:39], s[38:39], exec
	s_and_saveexec_b64 s[50:51], s[48:49]
	s_cbranch_execz .LBB2_1644
	s_branch .LBB2_1648
.LBB2_1647:                             ;   in Loop: Header=BB2_1645 Depth=4
	s_trap 2
	ds_read_b64 v[1:2], v0
	s_andn2_b64 s[48:49], s[48:49], exec
	s_mov_b32 s45, 0
	s_waitcnt lgkmcnt(0)
	flat_load_dword v1, v[1:2] glc
	s_waitcnt vmcnt(0) lgkmcnt(0)
	buffer_wbinvl1_vol
	v_cmp_eq_u32_e32 vcc, 0, v1
	s_and_b64 vcc, vcc, exec
	s_or_b64 s[48:49], s[48:49], vcc
	s_mov_b64 vcc, -1
	s_or_b64 s[38:39], s[38:39], exec
	s_and_saveexec_b64 s[50:51], s[48:49]
	s_cbranch_execz .LBB2_1644
.LBB2_1648:                             ;   in Loop: Header=BB2_1645 Depth=4
	s_sleep 1
	s_trap 2
	ds_read_b64 v[1:2], v0
	s_waitcnt lgkmcnt(0)
	s_andn2_b64 s[38:39], s[38:39], exec
	v_cmp_ge_u64_e32 vcc, v[1:2], v[12:13]
	s_orn2_b64 vcc, vcc, exec
	s_branch .LBB2_1644
.LBB2_1649:                             ;   in Loop: Header=BB2_1590 Depth=3
	s_or_b64 exec, exec, s[34:35]
	s_and_saveexec_b64 vcc, s[36:37]
	s_xor_b64 vcc, exec, vcc
	s_cbranch_execz .LBB2_1651
; %bb.1650:                             ;   in Loop: Header=BB2_1590 Depth=3
	v_mov_b32_e32 v1, 1
	ds_write_b32 v0, v1
	s_trap 2
.LBB2_1651:                             ;   in Loop: Header=BB2_1590 Depth=3
	s_or_b64 exec, exec, s[30:31]
	;;#ASMSTART
	s_wakeup
	;;#ASMEND
.LBB2_1652:                             ;   in Loop: Header=BB2_1590 Depth=3
	s_or_b64 exec, exec, s[94:95]
.LBB2_1653:                             ;   in Loop: Header=BB2_1590 Depth=3
	s_andn2_saveexec_b64 s[40:41], s[40:41]
	s_cbranch_execz .LBB2_1655
; %bb.1654:                             ;   in Loop: Header=BB2_1590 Depth=3
	s_waitcnt vmcnt(0) lgkmcnt(0)
	buffer_wbinvl1_vol
	s_barrier
.LBB2_1655:                             ;   in Loop: Header=BB2_1590 Depth=3
	s_or_b64 exec, exec, s[40:41]
.LBB2_1656:                             ;   in Loop: Header=BB2_1590 Depth=3
	s_or_b64 exec, exec, s[28:29]
	s_trap 2
	s_waitcnt lgkmcnt(0)
	ds_read_b64 v[40:41], v0
	s_waitcnt lgkmcnt(0)
	v_cmp_eq_u64_e32 vcc, 0, v[40:41]
	s_cbranch_vccnz .LBB2_1664
; %bb.1657:                             ;   in Loop: Header=BB2_1590 Depth=3
	s_trap 2
	ds_read_b64 v[22:23], v0
	s_waitcnt lgkmcnt(0)
	v_cmp_eq_u64_e32 vcc, 0, v[22:23]
	s_cbranch_vccnz .LBB2_1664
; %bb.1658:                             ;   in Loop: Header=BB2_1590 Depth=3
	s_mov_b64 s[28:29], -1
	s_and_saveexec_b64 s[40:41], s[24:25]
	s_cbranch_execz .LBB2_1660
; %bb.1659:                             ;   in Loop: Header=BB2_1590 Depth=3
	ds_read_b32 v1, v0 offset:720
	s_waitcnt lgkmcnt(0)
	v_and_b32_e32 v1, 15, v1
	v_cmp_eq_u32_e32 vcc, 0, v1
	s_orn2_b64 s[28:29], vcc, exec
.LBB2_1660:                             ;   in Loop: Header=BB2_1590 Depth=3
	s_or_b64 exec, exec, s[40:41]
	s_and_saveexec_b64 s[40:41], s[16:17]
	s_cbranch_execz .LBB2_1662
; %bb.1661:                             ;   in Loop: Header=BB2_1590 Depth=3
	ds_read_b32 v1, v0 offset:784
	s_waitcnt lgkmcnt(0)
	v_and_b32_e32 v1, 15, v1
	v_cmp_eq_u32_e32 vcc, 0, v1
	s_and_b64 s[94:95], s[28:29], vcc
	s_andn2_b64 s[28:29], s[28:29], exec
	s_and_b64 s[94:95], s[94:95], exec
	s_or_b64 s[28:29], s[28:29], s[94:95]
.LBB2_1662:                             ;   in Loop: Header=BB2_1590 Depth=3
	s_or_b64 exec, exec, s[40:41]
	buffer_load_dword v19, off, s[0:3], s33 offset:128 ; 4-byte Folded Reload
	v_cmp_eq_u32_e32 vcc, 0, v0
	s_xor_b64 s[28:29], s[28:29], -1
	v_cndmask_b32_e32 v51, 0, v50, vcc
	v_cndmask_b32_e64 v0, 0, 1, s[28:29]
	s_mov_b64 s[30:31], -1
	v_cmp_ne_u32_e32 vcc, 0, v0
	v_mov_b32_e32 v24, 0
	v_mov_b32_e32 v1, v51
	s_cbranch_vccz .LBB2_1665
; %bb.1663:                             ;   in Loop: Header=BB2_1590 Depth=3
	s_and_saveexec_b64 s[40:41], s[30:31]
	s_cbranch_execnz .LBB2_3292
	s_branch .LBB2_3832
.LBB2_1664:                             ;   in Loop: Header=BB2_1590 Depth=3
	s_mov_b64 s[28:29], 0
	s_and_saveexec_b64 s[40:41], s[12:13]
	s_cbranch_execnz .LBB2_3833
	s_branch .LBB2_3851
.LBB2_1665:                             ;   in Loop: Header=BB2_1590 Depth=3
	v_ashrrev_i32_e32 v1, 31, v51
	v_lshrrev_b32_e32 v1, 22, v1
	v_add_u32_e32 v1, v51, v1
	buffer_load_dword v0, off, s[0:3], s33 offset:148 ; 4-byte Folded Reload
	v_ashrrev_i32_e32 v2, 10, v1
	v_and_b32_e32 v3, 0xfffffc00, v1
	buffer_load_dword v1, off, s[0:3], s33 offset:152 ; 4-byte Folded Reload
	v_sub_u32_e32 v5, v51, v3
	v_cmp_lt_i32_e64 s[28:29], 15, v5
	s_waitcnt vmcnt(0)
	v_sub_u32_e32 v0, v51, v0
	s_waitcnt vmcnt(0)
	v_sub_u32_e32 v1, v2, v1
	v_addc_co_u32_e64 v35, vcc, 0, v1, s[28:29]
	v_cmp_lt_i32_e32 vcc, 15, v0
	s_and_saveexec_b64 s[94:95], vcc
	s_cbranch_execz .LBB2_2477
; %bb.1666:                             ;   in Loop: Header=BB2_1590 Depth=3
	buffer_store_dword v5, off, s[0:3], s33 offset:168 ; 4-byte Folded Spill
	buffer_store_dword v3, off, s[0:3], s33 offset:164 ; 4-byte Folded Spill
	s_trap 2
	buffer_load_dword v3, off, s[0:3], s33 offset:148 ; 4-byte Folded Reload
	ds_read_b64 v[1:2], v0
	s_mov_b64 s[30:31], 0
	s_waitcnt lgkmcnt(0)
	v_readfirstlane_b32 s40, v1
	s_and_b32 s41, s40, 7
	s_flbit_i32_b32 s41, s41
	s_min_u32 s41, s41, 32
	s_and_b32 s45, s40, 0x7f
	s_waitcnt vmcnt(0)
	v_add_co_u32_e32 v42, vcc, v40, v3
	v_addc_co_u32_e32 v43, vcc, 0, v41, vcc
	v_add_co_u32_e32 v44, vcc, v1, v3
	v_addc_co_u32_e32 v45, vcc, 0, v2, vcc
	v_add_co_u32_e32 v46, vcc, v22, v3
	buffer_store_dword v22, off, s[0:3], s33 offset:156 ; 4-byte Folded Spill
	s_nop 0
	buffer_store_dword v23, off, s[0:3], s33 offset:160 ; 4-byte Folded Spill
	v_addc_co_u32_e32 v47, vcc, 0, v23, vcc
	s_bfe_u32 vcc_lo, s40, 0x40003
	s_sub_i32 vcc_hi, s41, 28
	s_sub_i32 s41, 29, s41
	s_cmp_lt_u32 s45, 8
	s_cselect_b32 vcc_hi, vcc_hi, 0
	s_cselect_b32 s41, s41, vcc_lo
	v_lshlrev_b64 v[1:2], vcc_hi, v[1:2]
	s_lshl_b32 vcc_lo, s40, 24
	s_lshl_b32 s41, s41, 23
	s_and_b32 vcc_lo, vcc_lo, 0x80000000
	s_add_i32 s41, s41, 0x3c000000
	v_lshlrev_b32_e32 v1, 20, v1
	s_or_b32 s41, vcc_lo, s41
	v_and_b32_e32 v1, 0x700000, v1
	s_cmpk_lg_i32 s45, 0x7f
	v_or_b32_e32 v1, s41, v1
	s_cselect_b64 vcc, -1, 0
	v_cndmask_b32_e32 v1, v4, v1, vcc
	s_and_b32 s45, s40, 0xff
	s_branch .LBB2_1668
.LBB2_1667:                             ;   in Loop: Header=BB2_1668 Depth=4
	s_or_b64 exec, exec, s[40:41]
	v_lshl_or_b32 v9, v25, 8, v23
	v_lshlrev_b32_e32 v10, 16, v33
	v_lshlrev_b32_e32 v11, 24, v30
	v_or3_b32 v57, v9, v10, v11
	v_lshl_or_b32 v6, v6, 8, v19
	v_lshlrev_b32_e32 v2, 16, v2
	v_lshlrev_b32_e32 v9, 24, v31
	v_add_co_u32_e32 v42, vcc, v42, v15
	v_or3_b32 v56, v6, v2, v9
	v_lshl_or_b32 v2, v7, 8, v3
	v_lshlrev_b32_e32 v3, 16, v18
	v_lshlrev_b32_e32 v6, 24, v22
	v_addc_co_u32_e32 v43, vcc, 0, v43, vcc
	v_or3_b32 v58, v2, v3, v6
	v_lshlrev_b32_e32 v2, 24, v8
	v_lshlrev_b32_e32 v3, 16, v24
	v_lshl_or_b32 v5, v16, 8, v5
	v_add_co_u32_e32 v44, vcc, v44, v15
	v_or3_b32 v59, v5, v3, v2
	v_addc_co_u32_e32 v45, vcc, 0, v45, vcc
	global_store_dwordx4 v[46:47], v[56:59], off glc slc
	v_add_co_u32_e32 v46, vcc, v46, v15
	v_addc_co_u32_e32 v47, vcc, 0, v47, vcc
	v_sub_u32_e32 v0, v0, v15
	v_cmp_gt_i32_e32 vcc, 16, v0
	s_or_b64 s[30:31], vcc, s[30:31]
	v_sub_u32_e32 v35, v35, v14
	s_andn2_b64 exec, exec, s[30:31]
	s_cbranch_execz .LBB2_2476
.LBB2_1668:                             ;   Parent Loop BB2_47 Depth=1
                                        ;     Parent Loop BB2_1587 Depth=2
                                        ;       Parent Loop BB2_1590 Depth=3
                                        ; =>      This Inner Loop Header: Depth=4
	s_cmpk_lt_i32 s45, 0x80
	s_cbranch_scc1 .LBB2_1672
; %bb.1669:                             ;   in Loop: Header=BB2_1668 Depth=4
	s_and_b32 vcc_lo, 0xffff, s45
	s_mov_b64 s[40:41], -1
	s_cmpk_eq_i32 vcc_lo, 0x80
	s_cbranch_scc0 .LBB2_1671
; %bb.1670:                             ;   in Loop: Header=BB2_1668 Depth=4
	s_mov_b64 s[40:41], 0
.LBB2_1671:                             ;   in Loop: Header=BB2_1668 Depth=4
	s_brev_b32 s34, 1
	s_branch .LBB2_1674
.LBB2_1672:                             ;   in Loop: Header=BB2_1668 Depth=4
	s_mov_b64 s[40:41], 0
	s_brev_b32 s34, 1
	s_cbranch_execz .LBB2_1674
; %bb.1673:                             ;   in Loop: Header=BB2_1668 Depth=4
	s_and_b32 s40, 0xffff, s45
	s_cmp_lg_u32 s40, 0
	s_mov_b32 s34, 0
	s_cselect_b64 s[40:41], -1, 0
.LBB2_1674:                             ;   in Loop: Header=BB2_1668 Depth=4
	s_andn2_b64 vcc, exec, s[40:41]
	v_mov_b32_e32 v6, s34
	s_cbranch_vccnz .LBB2_1676
; %bb.1675:                             ;   in Loop: Header=BB2_1668 Depth=4
	v_mov_b32_e32 v6, v1
.LBB2_1676:                             ;   in Loop: Header=BB2_1668 Depth=4
	global_load_dwordx4 v[8:11], v[42:43], off glc slc
	v_mov_b32_e32 v2, 0
	s_waitcnt vmcnt(0)
	v_cmp_ne_u16_sdwa vcc, v8, v29 src0_sel:BYTE_0 src1_sel:DWORD
	s_and_saveexec_b64 s[40:41], vcc
	s_cbranch_execz .LBB2_1682
; %bb.1677:                             ;   in Loop: Header=BB2_1668 Depth=4
	v_cmp_ne_u16_sdwa vcc, v8, s87 src0_sel:BYTE_0 src1_sel:DWORD
	v_bfrev_b32_e32 v2, 1
	s_and_saveexec_b64 s[34:35], vcc
	s_cbranch_execz .LBB2_1681
; %bb.1678:                             ;   in Loop: Header=BB2_1668 Depth=4
	v_and_b32_e32 v3, 0x7f, v8
	v_cmp_ne_u32_e32 vcc, s85, v3
	v_mov_b32_e32 v2, 0x7f800001
	s_and_saveexec_b64 s[36:37], vcc
	s_cbranch_execz .LBB2_1680
; %bb.1679:                             ;   in Loop: Header=BB2_1668 Depth=4
	v_and_b32_e32 v2, 7, v8
	v_ffbh_u32_e32 v2, v2
	v_min_u32_e32 v2, 32, v2
	v_lshrrev_b32_e32 v5, 3, v3
	v_cmp_gt_u32_e32 vcc, 8, v3
	v_subrev_u32_e32 v3, 28, v2
	v_sub_u32_e32 v2, 29, v2
	v_cndmask_b32_e32 v5, v5, v2, vcc
	v_cndmask_b32_e32 v2, 0, v3, vcc
	v_lshlrev_b64 v[2:3], v2, v[8:9]
	v_lshlrev_b32_e32 v3, 24, v8
	v_lshlrev_b32_e32 v2, 20, v2
	v_and_b32_e32 v2, 0x700000, v2
	v_and_b32_e32 v3, 0x80000000, v3
	v_lshl_add_u32 v5, v5, 23, v17
	v_or3_b32 v2, v3, v5, v2
.LBB2_1680:                             ;   in Loop: Header=BB2_1668 Depth=4
	s_or_b64 exec, exec, s[36:37]
.LBB2_1681:                             ;   in Loop: Header=BB2_1668 Depth=4
	s_or_b64 exec, exec, s[34:35]
.LBB2_1682:                             ;   in Loop: Header=BB2_1668 Depth=4
	s_or_b64 exec, exec, s[40:41]
	v_mul_f32_e32 v5, v6, v2
	v_and_b32_e32 v28, 0x7f800000, v5
	v_cmp_ne_u64_e32 vcc, s[76:77], v[28:29]
                                        ; implicit-def: $vgpr2
	s_and_saveexec_b64 s[40:41], vcc
	s_xor_b64 s[34:35], exec, s[40:41]
	s_cbranch_execz .LBB2_1696
; %bb.1683:                             ;   in Loop: Header=BB2_1668 Depth=4
	v_and_b32_e32 v28, 0x7fffffff, v5
	v_cmp_gt_u64_e32 vcc, s[78:79], v[28:29]
	v_and_b32_sdwa v3, v5, s87 dst_sel:DWORD dst_unused:UNUSED_PAD src0_sel:BYTE_3 src1_sel:DWORD
                                        ; implicit-def: $vgpr2
	s_and_saveexec_b64 s[40:41], vcc
	s_xor_b64 s[36:37], exec, s[40:41]
	s_cbranch_execz .LBB2_1693
; %bb.1684:                             ;   in Loop: Header=BB2_1668 Depth=4
	v_mov_b32_e32 v2, 0
	v_cmp_ne_u32_e32 vcc, 0, v5
	s_and_saveexec_b64 s[38:39], vcc
	s_cbranch_execz .LBB2_1692
; %bb.1685:                             ;   in Loop: Header=BB2_1668 Depth=4
	v_bfe_u32 v2, v5, 23, 8
	v_and_b32_e32 v7, 0x7fffff, v5
	v_cmp_gt_u32_e64 s[40:41], s96, v2
	v_sub_u32_e32 v5, 0x79, v2
	v_cmp_eq_u32_e32 vcc, 0, v2
	v_cndmask_b32_e64 v5, 0, v5, s[40:41]
	v_or_b32_e32 v16, 0x800000, v7
	v_cndmask_b32_e32 v5, v5, v36, vcc
	v_cndmask_b32_e32 v28, v16, v7, vcc
	v_add_u32_e32 v7, 20, v5
	v_lshlrev_b64 v[18:19], v7, -1
	v_add_u32_e32 v7, 19, v5
	v_lshlrev_b64 v[22:23], v7, 1
	v_lshrrev_b64 v[56:57], v5, v[28:29]
	v_bfi_b32 v19, v19, 0, 0
	v_bfi_b32 v18, v18, 0, v28
	v_cmp_eq_u64_e64 s[40:41], v[18:19], v[22:23]
	v_mov_b32_e32 v58, v57
	v_mov_b32_e32 v57, v56
	s_and_saveexec_b64 s[48:49], s[40:41]
; %bb.1686:                             ;   in Loop: Header=BB2_1668 Depth=4
	v_bfe_u32 v7, v56, 20, 1
	v_add_co_u32_e64 v7, s[40:41], v56, v7
	v_add_co_u32_e64 v57, s[40:41], -1, v7
; %bb.1687:                             ;   in Loop: Header=BB2_1668 Depth=4
	s_or_b64 exec, exec, s[48:49]
	v_add_u32_e32 v2, 0xffffff81, v2
	v_cndmask_b32_e32 v2, v2, v37, vcc
	v_lshrrev_b32_e32 v7, 23, v56
	v_add3_u32 v7, v5, v2, v7
	v_add_u32_e32 v5, 6, v7
	v_and_b32_e32 v2, 0xfffff, v57
	v_add_u32_e32 v28, v2, v56
	v_cmp_ne_u32_e32 vcc, 0, v5
                                        ; implicit-def: $vgpr56_vgpr57
                                        ; implicit-def: $vgpr2
	s_and_saveexec_b64 s[40:41], vcc
	s_xor_b64 s[40:41], exec, s[40:41]
; %bb.1688:                             ;   in Loop: Header=BB2_1668 Depth=4
	v_cmp_lt_u64_e32 vcc, s[88:89], v[28:29]
	v_add_u32_e32 v2, 7, v7
	v_cndmask_b32_e32 v2, v5, v2, vcc
	v_cndmask_b32_e64 v5, 0, 1, vcc
	v_lshrrev_b64 v[56:57], v5, v[28:29]
; %bb.1689:                             ;   in Loop: Header=BB2_1668 Depth=4
	s_andn2_saveexec_b64 s[40:41], s[40:41]
; %bb.1690:                             ;   in Loop: Header=BB2_1668 Depth=4
	v_mov_b32_e32 v57, v29
	v_bfe_u32 v2, v28, 23, 1
	v_mov_b32_e32 v56, v28
; %bb.1691:                             ;   in Loop: Header=BB2_1668 Depth=4
	s_or_b64 exec, exec, s[40:41]
	v_lshrrev_b64 v[18:19], 20, v[56:57]
	v_cmp_gt_i32_e32 vcc, 16, v2
	v_cndmask_b32_e32 v19, 0, v19, vcc
	v_cndmask_b32_e32 v18, 7, v18, vcc
	v_cmp_eq_u32_e32 vcc, 0, v2
	v_min_i32_e32 v2, 15, v2
	v_cmp_eq_u64_e64 s[40:41], 0, v[18:19]
	v_lshlrev_b32_e32 v2, 3, v2
	v_and_b32_e32 v2, 0xf8, v2
	v_and_or_b32 v2, v18, 7, v2
	s_and_b64 s[40:41], vcc, s[40:41]
	v_cndmask_b32_e64 v2, v2, 0, s[40:41]
	v_or_b32_e32 v2, v2, v3
.LBB2_1692:                             ;   in Loop: Header=BB2_1668 Depth=4
	s_or_b64 exec, exec, s[38:39]
                                        ; implicit-def: $vgpr3
.LBB2_1693:                             ;   in Loop: Header=BB2_1668 Depth=4
	s_andn2_saveexec_b64 s[40:41], s[36:37]
; %bb.1694:                             ;   in Loop: Header=BB2_1668 Depth=4
	v_or_b32_e32 v2, 0x7e, v3
; %bb.1695:                             ;   in Loop: Header=BB2_1668 Depth=4
	s_or_b64 exec, exec, s[40:41]
                                        ; implicit-def: $vgpr5
.LBB2_1696:                             ;   in Loop: Header=BB2_1668 Depth=4
	s_andn2_saveexec_b64 s[40:41], s[34:35]
; %bb.1697:                             ;   in Loop: Header=BB2_1668 Depth=4
	v_or_b32_sdwa v2, v5, s85 dst_sel:DWORD dst_unused:UNUSED_PAD src0_sel:BYTE_3 src1_sel:DWORD
; %bb.1698:                             ;   in Loop: Header=BB2_1668 Depth=4
	s_or_b64 exec, exec, s[40:41]
	v_lshrrev_b16_e32 v28, 8, v8
	v_cmp_ne_u16_e32 vcc, 0, v28
	v_mov_b32_e32 v3, 0
	s_and_saveexec_b64 s[40:41], vcc
	s_cbranch_execz .LBB2_1704
; %bb.1699:                             ;   in Loop: Header=BB2_1668 Depth=4
	v_cmp_ne_u16_e32 vcc, s87, v28
	v_bfrev_b32_e32 v3, 1
	s_and_saveexec_b64 s[34:35], vcc
	s_cbranch_execz .LBB2_1703
; %bb.1700:                             ;   in Loop: Header=BB2_1668 Depth=4
	v_and_b32_e32 v5, 0x7f, v28
	v_cmp_ne_u32_e32 vcc, s85, v5
	v_mov_b32_e32 v3, 0x7f800001
	s_and_saveexec_b64 s[36:37], vcc
	s_cbranch_execz .LBB2_1702
; %bb.1701:                             ;   in Loop: Header=BB2_1668 Depth=4
	v_and_b32_e32 v3, 7, v28
	v_lshrrev_b32_e32 v7, 3, v5
	v_cmp_gt_u32_e32 vcc, 8, v5
	v_ffbh_u32_e32 v5, v3
	v_min_u32_e32 v5, 32, v5
	v_subrev_u32_e32 v16, 28, v5
	v_lshlrev_b64 v[18:19], v16, v[28:29]
	v_sub_u32_e32 v5, 29, v5
	v_and_b32_e32 v16, 7, v18
	v_cndmask_b32_e32 v5, v7, v5, vcc
	v_cndmask_b32_e32 v3, v3, v16, vcc
	v_lshlrev_b32_e32 v7, 16, v8
	v_lshlrev_b32_e32 v3, 20, v3
	v_and_b32_e32 v7, 0x80000000, v7
	v_lshl_add_u32 v5, v5, 23, v17
	v_or3_b32 v3, v7, v5, v3
.LBB2_1702:                             ;   in Loop: Header=BB2_1668 Depth=4
	s_or_b64 exec, exec, s[36:37]
.LBB2_1703:                             ;   in Loop: Header=BB2_1668 Depth=4
	s_or_b64 exec, exec, s[34:35]
.LBB2_1704:                             ;   in Loop: Header=BB2_1668 Depth=4
	s_or_b64 exec, exec, s[40:41]
	v_mul_f32_e32 v5, v6, v3
	v_and_b32_e32 v28, 0x7f800000, v5
	v_cmp_ne_u64_e32 vcc, s[76:77], v[28:29]
                                        ; implicit-def: $vgpr19
	s_and_saveexec_b64 s[40:41], vcc
	s_xor_b64 s[34:35], exec, s[40:41]
	s_cbranch_execz .LBB2_1718
; %bb.1705:                             ;   in Loop: Header=BB2_1668 Depth=4
	v_and_b32_e32 v28, 0x7fffffff, v5
	v_cmp_gt_u64_e32 vcc, s[78:79], v[28:29]
	v_and_b32_sdwa v3, v5, s87 dst_sel:DWORD dst_unused:UNUSED_PAD src0_sel:BYTE_3 src1_sel:DWORD
                                        ; implicit-def: $vgpr19
	s_and_saveexec_b64 s[40:41], vcc
	s_xor_b64 s[36:37], exec, s[40:41]
	s_cbranch_execz .LBB2_1715
; %bb.1706:                             ;   in Loop: Header=BB2_1668 Depth=4
	v_mov_b32_e32 v19, 0
	v_cmp_ne_u32_e32 vcc, 0, v5
	s_and_saveexec_b64 s[38:39], vcc
	s_cbranch_execz .LBB2_1714
; %bb.1707:                             ;   in Loop: Header=BB2_1668 Depth=4
	v_and_b32_e32 v16, 0x7fffff, v5
	v_bfe_u32 v5, v5, 23, 8
	v_cmp_gt_u32_e64 s[40:41], s96, v5
	v_sub_u32_e32 v7, 0x79, v5
	v_cmp_eq_u32_e32 vcc, 0, v5
	v_cndmask_b32_e64 v7, 0, v7, s[40:41]
	v_or_b32_e32 v18, 0x800000, v16
	v_cndmask_b32_e32 v7, v7, v36, vcc
	v_cndmask_b32_e32 v28, v18, v16, vcc
	v_add_u32_e32 v16, 20, v7
	v_lshlrev_b64 v[18:19], v16, -1
	v_add_u32_e32 v16, 19, v7
	v_lshlrev_b64 v[22:23], v16, 1
	v_lshrrev_b64 v[56:57], v7, v[28:29]
	v_bfi_b32 v19, v19, 0, 0
	v_bfi_b32 v18, v18, 0, v28
	v_cmp_eq_u64_e64 s[40:41], v[18:19], v[22:23]
	v_mov_b32_e32 v58, v57
	v_mov_b32_e32 v57, v56
	s_and_saveexec_b64 s[48:49], s[40:41]
; %bb.1708:                             ;   in Loop: Header=BB2_1668 Depth=4
	v_bfe_u32 v16, v56, 20, 1
	v_add_co_u32_e64 v16, s[40:41], v56, v16
	v_add_co_u32_e64 v57, s[40:41], -1, v16
; %bb.1709:                             ;   in Loop: Header=BB2_1668 Depth=4
	s_or_b64 exec, exec, s[48:49]
	v_add_u32_e32 v5, 0xffffff81, v5
	v_cndmask_b32_e32 v5, v5, v37, vcc
	v_lshrrev_b32_e32 v16, 23, v56
	v_add3_u32 v16, v7, v5, v16
	v_add_u32_e32 v7, 6, v16
	v_and_b32_e32 v5, 0xfffff, v57
	v_add_u32_e32 v28, v5, v56
	v_cmp_ne_u32_e32 vcc, 0, v7
                                        ; implicit-def: $vgpr56_vgpr57
                                        ; implicit-def: $vgpr5
	s_and_saveexec_b64 s[40:41], vcc
	s_xor_b64 s[40:41], exec, s[40:41]
; %bb.1710:                             ;   in Loop: Header=BB2_1668 Depth=4
	v_cmp_lt_u64_e32 vcc, s[88:89], v[28:29]
	v_add_u32_e32 v5, 7, v16
	v_cndmask_b32_e32 v5, v7, v5, vcc
	v_cndmask_b32_e64 v7, 0, 1, vcc
	v_lshrrev_b64 v[56:57], v7, v[28:29]
; %bb.1711:                             ;   in Loop: Header=BB2_1668 Depth=4
	s_andn2_saveexec_b64 s[40:41], s[40:41]
; %bb.1712:                             ;   in Loop: Header=BB2_1668 Depth=4
	v_mov_b32_e32 v57, v29
	v_bfe_u32 v5, v28, 23, 1
	v_mov_b32_e32 v56, v28
; %bb.1713:                             ;   in Loop: Header=BB2_1668 Depth=4
	s_or_b64 exec, exec, s[40:41]
	v_lshrrev_b64 v[18:19], 20, v[56:57]
	v_cmp_gt_i32_e32 vcc, 16, v5
	v_cndmask_b32_e32 v19, 0, v19, vcc
	v_cndmask_b32_e32 v18, 7, v18, vcc
	v_cmp_eq_u32_e32 vcc, 0, v5
	v_min_i32_e32 v5, 15, v5
	v_cmp_eq_u64_e64 s[40:41], 0, v[18:19]
	v_lshlrev_b32_e32 v5, 3, v5
	v_and_b32_e32 v5, 0xf8, v5
	v_and_or_b32 v5, v18, 7, v5
	s_and_b64 s[40:41], vcc, s[40:41]
	v_cndmask_b32_e64 v5, v5, 0, s[40:41]
	v_or_b32_e32 v19, v5, v3
.LBB2_1714:                             ;   in Loop: Header=BB2_1668 Depth=4
	s_or_b64 exec, exec, s[38:39]
                                        ; implicit-def: $vgpr3
.LBB2_1715:                             ;   in Loop: Header=BB2_1668 Depth=4
	s_andn2_saveexec_b64 s[40:41], s[36:37]
; %bb.1716:                             ;   in Loop: Header=BB2_1668 Depth=4
	v_or_b32_e32 v19, 0x7e, v3
; %bb.1717:                             ;   in Loop: Header=BB2_1668 Depth=4
	s_or_b64 exec, exec, s[40:41]
                                        ; implicit-def: $vgpr5
.LBB2_1718:                             ;   in Loop: Header=BB2_1668 Depth=4
	s_andn2_saveexec_b64 s[40:41], s[34:35]
; %bb.1719:                             ;   in Loop: Header=BB2_1668 Depth=4
	v_or_b32_sdwa v19, v5, s85 dst_sel:DWORD dst_unused:UNUSED_PAD src0_sel:BYTE_3 src1_sel:DWORD
; %bb.1720:                             ;   in Loop: Header=BB2_1668 Depth=4
	s_or_b64 exec, exec, s[40:41]
	v_lshrrev_b32_e32 v28, 16, v8
	v_cmp_ne_u16_sdwa vcc, v28, v29 src0_sel:BYTE_0 src1_sel:DWORD
	v_mov_b32_e32 v3, 0
	s_and_saveexec_b64 s[40:41], vcc
	s_cbranch_execz .LBB2_1726
; %bb.1721:                             ;   in Loop: Header=BB2_1668 Depth=4
	v_cmp_ne_u16_sdwa vcc, v28, s87 src0_sel:BYTE_0 src1_sel:DWORD
	v_bfrev_b32_e32 v3, 1
	s_and_saveexec_b64 s[34:35], vcc
	s_cbranch_execz .LBB2_1725
; %bb.1722:                             ;   in Loop: Header=BB2_1668 Depth=4
	v_bfe_u32 v5, v8, 16, 7
	v_cmp_ne_u32_e32 vcc, s85, v5
	v_mov_b32_e32 v3, 0x7f800001
	s_and_saveexec_b64 s[36:37], vcc
	s_cbranch_execz .LBB2_1724
; %bb.1723:                             ;   in Loop: Header=BB2_1668 Depth=4
	v_and_b32_e32 v3, 7, v28
	v_lshrrev_b32_e32 v7, 3, v5
	v_cmp_gt_u32_e32 vcc, 8, v5
	v_ffbh_u32_e32 v5, v3
	v_min_u32_e32 v5, 32, v5
	v_subrev_u32_e32 v16, 28, v5
	v_lshlrev_b64 v[22:23], v16, v[28:29]
	v_sub_u32_e32 v5, 29, v5
	v_and_b32_e32 v16, 7, v22
	v_cndmask_b32_e32 v5, v7, v5, vcc
	v_cndmask_b32_e32 v3, v3, v16, vcc
	v_lshlrev_b32_e32 v7, 24, v28
	v_lshlrev_b32_e32 v3, 20, v3
	v_and_b32_e32 v7, 0x80000000, v7
	v_lshl_add_u32 v5, v5, 23, v17
	v_or3_b32 v3, v7, v5, v3
.LBB2_1724:                             ;   in Loop: Header=BB2_1668 Depth=4
	s_or_b64 exec, exec, s[36:37]
.LBB2_1725:                             ;   in Loop: Header=BB2_1668 Depth=4
	s_or_b64 exec, exec, s[34:35]
.LBB2_1726:                             ;   in Loop: Header=BB2_1668 Depth=4
	s_or_b64 exec, exec, s[40:41]
	v_mul_f32_e32 v5, v6, v3
	v_and_b32_e32 v28, 0x7f800000, v5
	v_cmp_ne_u64_e32 vcc, s[76:77], v[28:29]
                                        ; implicit-def: $vgpr31
	s_and_saveexec_b64 s[40:41], vcc
	s_xor_b64 s[34:35], exec, s[40:41]
	s_cbranch_execz .LBB2_1740
; %bb.1727:                             ;   in Loop: Header=BB2_1668 Depth=4
	v_and_b32_e32 v28, 0x7fffffff, v5
	v_cmp_gt_u64_e32 vcc, s[78:79], v[28:29]
	v_and_b32_sdwa v3, v5, s87 dst_sel:DWORD dst_unused:UNUSED_PAD src0_sel:BYTE_3 src1_sel:DWORD
                                        ; implicit-def: $vgpr31
	s_and_saveexec_b64 s[40:41], vcc
	s_xor_b64 s[36:37], exec, s[40:41]
	s_cbranch_execz .LBB2_1737
; %bb.1728:                             ;   in Loop: Header=BB2_1668 Depth=4
	v_mov_b32_e32 v31, 0
	v_cmp_ne_u32_e32 vcc, 0, v5
	s_and_saveexec_b64 s[38:39], vcc
	s_cbranch_execz .LBB2_1736
; %bb.1729:                             ;   in Loop: Header=BB2_1668 Depth=4
	v_and_b32_e32 v16, 0x7fffff, v5
	v_bfe_u32 v5, v5, 23, 8
	v_cmp_gt_u32_e64 s[40:41], s96, v5
	v_sub_u32_e32 v7, 0x79, v5
	v_cmp_eq_u32_e32 vcc, 0, v5
	v_cndmask_b32_e64 v7, 0, v7, s[40:41]
	v_or_b32_e32 v18, 0x800000, v16
	v_cndmask_b32_e32 v7, v7, v36, vcc
	v_cndmask_b32_e32 v28, v18, v16, vcc
	v_add_u32_e32 v16, 20, v7
	v_lshlrev_b64 v[22:23], v16, -1
	v_add_u32_e32 v16, 19, v7
	v_lshlrev_b64 v[24:25], v16, 1
	v_lshrrev_b64 v[56:57], v7, v[28:29]
	v_bfi_b32 v23, v23, 0, 0
	v_bfi_b32 v22, v22, 0, v28
	v_cmp_eq_u64_e64 s[40:41], v[22:23], v[24:25]
	v_mov_b32_e32 v58, v57
	v_mov_b32_e32 v57, v56
	s_and_saveexec_b64 s[48:49], s[40:41]
; %bb.1730:                             ;   in Loop: Header=BB2_1668 Depth=4
	v_bfe_u32 v16, v56, 20, 1
	v_add_co_u32_e64 v16, s[40:41], v56, v16
	v_add_co_u32_e64 v57, s[40:41], -1, v16
; %bb.1731:                             ;   in Loop: Header=BB2_1668 Depth=4
	s_or_b64 exec, exec, s[48:49]
	v_add_u32_e32 v5, 0xffffff81, v5
	v_cndmask_b32_e32 v5, v5, v37, vcc
	v_lshrrev_b32_e32 v16, 23, v56
	v_add3_u32 v16, v7, v5, v16
	v_add_u32_e32 v7, 6, v16
	v_and_b32_e32 v5, 0xfffff, v57
	v_add_u32_e32 v28, v5, v56
	v_cmp_ne_u32_e32 vcc, 0, v7
                                        ; implicit-def: $vgpr56_vgpr57
                                        ; implicit-def: $vgpr5
	s_and_saveexec_b64 s[40:41], vcc
	s_xor_b64 s[40:41], exec, s[40:41]
; %bb.1732:                             ;   in Loop: Header=BB2_1668 Depth=4
	v_cmp_lt_u64_e32 vcc, s[88:89], v[28:29]
	v_add_u32_e32 v5, 7, v16
	v_cndmask_b32_e32 v5, v7, v5, vcc
	v_cndmask_b32_e64 v7, 0, 1, vcc
	v_lshrrev_b64 v[56:57], v7, v[28:29]
; %bb.1733:                             ;   in Loop: Header=BB2_1668 Depth=4
	s_andn2_saveexec_b64 s[40:41], s[40:41]
; %bb.1734:                             ;   in Loop: Header=BB2_1668 Depth=4
	v_mov_b32_e32 v57, v29
	v_bfe_u32 v5, v28, 23, 1
	v_mov_b32_e32 v56, v28
; %bb.1735:                             ;   in Loop: Header=BB2_1668 Depth=4
	s_or_b64 exec, exec, s[40:41]
	v_lshrrev_b64 v[22:23], 20, v[56:57]
	v_cmp_gt_i32_e32 vcc, 16, v5
	v_cndmask_b32_e32 v23, 0, v23, vcc
	v_cndmask_b32_e32 v22, 7, v22, vcc
	v_cmp_eq_u32_e32 vcc, 0, v5
	v_min_i32_e32 v5, 15, v5
	v_cmp_eq_u64_e64 s[40:41], 0, v[22:23]
	v_lshlrev_b32_e32 v5, 3, v5
	v_and_b32_e32 v5, 0xf8, v5
	v_and_or_b32 v5, v22, 7, v5
	s_and_b64 s[40:41], vcc, s[40:41]
	v_cndmask_b32_e64 v5, v5, 0, s[40:41]
	v_or_b32_e32 v31, v5, v3
.LBB2_1736:                             ;   in Loop: Header=BB2_1668 Depth=4
	s_or_b64 exec, exec, s[38:39]
                                        ; implicit-def: $vgpr3
.LBB2_1737:                             ;   in Loop: Header=BB2_1668 Depth=4
	s_andn2_saveexec_b64 s[40:41], s[36:37]
; %bb.1738:                             ;   in Loop: Header=BB2_1668 Depth=4
	v_or_b32_e32 v31, 0x7e, v3
; %bb.1739:                             ;   in Loop: Header=BB2_1668 Depth=4
	s_or_b64 exec, exec, s[40:41]
                                        ; implicit-def: $vgpr5
.LBB2_1740:                             ;   in Loop: Header=BB2_1668 Depth=4
	s_andn2_saveexec_b64 s[40:41], s[34:35]
; %bb.1741:                             ;   in Loop: Header=BB2_1668 Depth=4
	v_or_b32_sdwa v31, v5, s85 dst_sel:DWORD dst_unused:UNUSED_PAD src0_sel:BYTE_3 src1_sel:DWORD
; %bb.1742:                             ;   in Loop: Header=BB2_1668 Depth=4
	s_or_b64 exec, exec, s[40:41]
	v_cmp_lt_u32_e32 vcc, s57, v8
	v_mov_b32_e32 v3, 0
	s_and_saveexec_b64 s[40:41], vcc
	s_cbranch_execz .LBB2_1748
; %bb.1743:                             ;   in Loop: Header=BB2_1668 Depth=4
	v_lshrrev_b32_e32 v28, 24, v8
	v_cmp_ne_u32_e32 vcc, s87, v28
	v_bfrev_b32_e32 v3, 1
	s_and_saveexec_b64 s[34:35], vcc
	s_cbranch_execz .LBB2_1747
; %bb.1744:                             ;   in Loop: Header=BB2_1668 Depth=4
	v_bfe_u32 v5, v8, 24, 7
	v_cmp_ne_u32_e32 vcc, s85, v5
	v_mov_b32_e32 v3, 0x7f800001
	s_and_saveexec_b64 s[36:37], vcc
	s_cbranch_execz .LBB2_1746
; %bb.1745:                             ;   in Loop: Header=BB2_1668 Depth=4
	v_and_b32_e32 v3, 7, v28
	v_lshrrev_b32_e32 v7, 3, v5
	v_cmp_gt_u32_e32 vcc, 8, v5
	v_ffbh_u32_e32 v5, v3
	v_min_u32_e32 v5, 32, v5
	v_subrev_u32_e32 v16, 28, v5
	v_lshlrev_b64 v[22:23], v16, v[28:29]
	v_sub_u32_e32 v5, 29, v5
	v_and_b32_e32 v16, 7, v22
	v_cndmask_b32_e32 v5, v7, v5, vcc
	v_cndmask_b32_e32 v3, v3, v16, vcc
	v_lshlrev_b32_e32 v7, 24, v28
	v_lshlrev_b32_e32 v3, 20, v3
	v_and_b32_e32 v7, 0x80000000, v7
	v_lshl_add_u32 v5, v5, 23, v17
	v_or3_b32 v3, v7, v5, v3
.LBB2_1746:                             ;   in Loop: Header=BB2_1668 Depth=4
	s_or_b64 exec, exec, s[36:37]
.LBB2_1747:                             ;   in Loop: Header=BB2_1668 Depth=4
	s_or_b64 exec, exec, s[34:35]
.LBB2_1748:                             ;   in Loop: Header=BB2_1668 Depth=4
	s_or_b64 exec, exec, s[40:41]
	v_mul_f32_e32 v5, v6, v3
	v_and_b32_e32 v28, 0x7f800000, v5
	v_cmp_ne_u64_e32 vcc, s[76:77], v[28:29]
                                        ; implicit-def: $vgpr52
	s_and_saveexec_b64 s[40:41], vcc
	s_xor_b64 s[34:35], exec, s[40:41]
	s_cbranch_execz .LBB2_1762
; %bb.1749:                             ;   in Loop: Header=BB2_1668 Depth=4
	v_and_b32_e32 v28, 0x7fffffff, v5
	v_cmp_gt_u64_e32 vcc, s[78:79], v[28:29]
	v_and_b32_sdwa v3, v5, s87 dst_sel:DWORD dst_unused:UNUSED_PAD src0_sel:BYTE_3 src1_sel:DWORD
                                        ; implicit-def: $vgpr52
	s_and_saveexec_b64 s[40:41], vcc
	s_xor_b64 s[36:37], exec, s[40:41]
	s_cbranch_execz .LBB2_1759
; %bb.1750:                             ;   in Loop: Header=BB2_1668 Depth=4
	v_mov_b32_e32 v52, 0
	v_cmp_ne_u32_e32 vcc, 0, v5
	s_and_saveexec_b64 s[38:39], vcc
	s_cbranch_execz .LBB2_1758
; %bb.1751:                             ;   in Loop: Header=BB2_1668 Depth=4
	v_and_b32_e32 v16, 0x7fffff, v5
	v_bfe_u32 v5, v5, 23, 8
	v_cmp_gt_u32_e64 s[40:41], s96, v5
	v_sub_u32_e32 v7, 0x79, v5
	v_cmp_eq_u32_e32 vcc, 0, v5
	v_cndmask_b32_e64 v7, 0, v7, s[40:41]
	v_or_b32_e32 v18, 0x800000, v16
	v_cndmask_b32_e32 v7, v7, v36, vcc
	v_cndmask_b32_e32 v28, v18, v16, vcc
	v_add_u32_e32 v16, 20, v7
	v_lshlrev_b64 v[22:23], v16, -1
	v_add_u32_e32 v16, 19, v7
	v_lshlrev_b64 v[24:25], v16, 1
	v_lshrrev_b64 v[56:57], v7, v[28:29]
	v_bfi_b32 v23, v23, 0, 0
	v_bfi_b32 v22, v22, 0, v28
	v_cmp_eq_u64_e64 s[40:41], v[22:23], v[24:25]
	v_mov_b32_e32 v58, v57
	v_mov_b32_e32 v57, v56
	s_and_saveexec_b64 s[48:49], s[40:41]
; %bb.1752:                             ;   in Loop: Header=BB2_1668 Depth=4
	v_bfe_u32 v16, v56, 20, 1
	v_add_co_u32_e64 v16, s[40:41], v56, v16
	v_add_co_u32_e64 v57, s[40:41], -1, v16
; %bb.1753:                             ;   in Loop: Header=BB2_1668 Depth=4
	s_or_b64 exec, exec, s[48:49]
	v_add_u32_e32 v5, 0xffffff81, v5
	v_cndmask_b32_e32 v5, v5, v37, vcc
	v_lshrrev_b32_e32 v16, 23, v56
	v_add3_u32 v16, v7, v5, v16
	v_add_u32_e32 v7, 6, v16
	v_and_b32_e32 v5, 0xfffff, v57
	v_add_u32_e32 v28, v5, v56
	v_cmp_ne_u32_e32 vcc, 0, v7
                                        ; implicit-def: $vgpr56_vgpr57
                                        ; implicit-def: $vgpr5
	s_and_saveexec_b64 s[40:41], vcc
	s_xor_b64 s[40:41], exec, s[40:41]
; %bb.1754:                             ;   in Loop: Header=BB2_1668 Depth=4
	v_cmp_lt_u64_e32 vcc, s[88:89], v[28:29]
	v_add_u32_e32 v5, 7, v16
	v_cndmask_b32_e32 v5, v7, v5, vcc
	v_cndmask_b32_e64 v7, 0, 1, vcc
	v_lshrrev_b64 v[56:57], v7, v[28:29]
; %bb.1755:                             ;   in Loop: Header=BB2_1668 Depth=4
	s_andn2_saveexec_b64 s[40:41], s[40:41]
; %bb.1756:                             ;   in Loop: Header=BB2_1668 Depth=4
	v_mov_b32_e32 v57, v29
	v_bfe_u32 v5, v28, 23, 1
	v_mov_b32_e32 v56, v28
; %bb.1757:                             ;   in Loop: Header=BB2_1668 Depth=4
	s_or_b64 exec, exec, s[40:41]
	v_lshrrev_b64 v[22:23], 20, v[56:57]
	v_cmp_gt_i32_e32 vcc, 16, v5
	v_cndmask_b32_e32 v23, 0, v23, vcc
	v_cndmask_b32_e32 v22, 7, v22, vcc
	v_cmp_eq_u32_e32 vcc, 0, v5
	v_min_i32_e32 v5, 15, v5
	v_cmp_eq_u64_e64 s[40:41], 0, v[22:23]
	v_lshlrev_b32_e32 v5, 3, v5
	v_and_b32_e32 v5, 0xf8, v5
	v_and_or_b32 v5, v22, 7, v5
	s_and_b64 s[40:41], vcc, s[40:41]
	v_cndmask_b32_e64 v5, v5, 0, s[40:41]
	v_or_b32_e32 v52, v5, v3
.LBB2_1758:                             ;   in Loop: Header=BB2_1668 Depth=4
	s_or_b64 exec, exec, s[38:39]
                                        ; implicit-def: $vgpr3
.LBB2_1759:                             ;   in Loop: Header=BB2_1668 Depth=4
	s_andn2_saveexec_b64 s[40:41], s[36:37]
; %bb.1760:                             ;   in Loop: Header=BB2_1668 Depth=4
	v_or_b32_e32 v52, 0x7e, v3
; %bb.1761:                             ;   in Loop: Header=BB2_1668 Depth=4
	s_or_b64 exec, exec, s[40:41]
                                        ; implicit-def: $vgpr5
.LBB2_1762:                             ;   in Loop: Header=BB2_1668 Depth=4
	s_andn2_saveexec_b64 s[40:41], s[34:35]
; %bb.1763:                             ;   in Loop: Header=BB2_1668 Depth=4
	v_or_b32_sdwa v52, v5, s85 dst_sel:DWORD dst_unused:UNUSED_PAD src0_sel:BYTE_3 src1_sel:DWORD
; %bb.1764:                             ;   in Loop: Header=BB2_1668 Depth=4
	s_or_b64 exec, exec, s[40:41]
	v_mov_b32_e32 v28, v9
	v_cmp_ne_u16_sdwa vcc, v9, v29 src0_sel:BYTE_0 src1_sel:DWORD
	v_mov_b32_e32 v3, 0
	s_and_saveexec_b64 s[40:41], vcc
	s_cbranch_execz .LBB2_1770
; %bb.1765:                             ;   in Loop: Header=BB2_1668 Depth=4
	v_cmp_ne_u16_sdwa vcc, v9, s87 src0_sel:BYTE_0 src1_sel:DWORD
	v_bfrev_b32_e32 v3, 1
	s_and_saveexec_b64 s[34:35], vcc
	s_cbranch_execz .LBB2_1769
; %bb.1766:                             ;   in Loop: Header=BB2_1668 Depth=4
	v_and_b32_e32 v5, 0x7f, v9
	v_cmp_ne_u32_e32 vcc, s85, v5
	v_mov_b32_e32 v3, 0x7f800001
	s_and_saveexec_b64 s[36:37], vcc
	s_cbranch_execz .LBB2_1768
; %bb.1767:                             ;   in Loop: Header=BB2_1668 Depth=4
	v_and_b32_e32 v3, 7, v9
	v_ffbh_u32_e32 v3, v3
	v_min_u32_e32 v3, 32, v3
	v_lshrrev_b32_e32 v7, 3, v5
	v_cmp_gt_u32_e32 vcc, 8, v5
	v_subrev_u32_e32 v5, 28, v3
	v_cndmask_b32_e32 v5, 0, v5, vcc
	v_lshlrev_b64 v[22:23], v5, v[28:29]
	v_sub_u32_e32 v3, 29, v3
	v_cndmask_b32_e32 v3, v7, v3, vcc
	v_lshlrev_b32_e32 v5, 20, v22
	v_lshlrev_b32_e32 v7, 24, v28
	v_and_b32_e32 v5, 0x700000, v5
	v_and_b32_e32 v7, 0x80000000, v7
	v_lshl_add_u32 v3, v3, 23, v17
	v_or3_b32 v3, v7, v3, v5
.LBB2_1768:                             ;   in Loop: Header=BB2_1668 Depth=4
	s_or_b64 exec, exec, s[36:37]
.LBB2_1769:                             ;   in Loop: Header=BB2_1668 Depth=4
	s_or_b64 exec, exec, s[34:35]
.LBB2_1770:                             ;   in Loop: Header=BB2_1668 Depth=4
	s_or_b64 exec, exec, s[40:41]
	v_mul_f32_e32 v5, v6, v3
	v_and_b32_e32 v22, 0x7f800000, v5
	v_mov_b32_e32 v23, v29
	v_cmp_ne_u64_e32 vcc, s[76:77], v[22:23]
                                        ; implicit-def: $vgpr25
	s_and_saveexec_b64 s[40:41], vcc
	s_xor_b64 s[34:35], exec, s[40:41]
	s_cbranch_execz .LBB2_1784
; %bb.1771:                             ;   in Loop: Header=BB2_1668 Depth=4
	v_and_b32_e32 v22, 0x7fffffff, v5
	v_mov_b32_e32 v23, v29
	v_cmp_gt_u64_e32 vcc, s[78:79], v[22:23]
	v_and_b32_sdwa v3, v5, s87 dst_sel:DWORD dst_unused:UNUSED_PAD src0_sel:BYTE_3 src1_sel:DWORD
                                        ; implicit-def: $vgpr25
	s_and_saveexec_b64 s[40:41], vcc
	s_xor_b64 s[36:37], exec, s[40:41]
	s_cbranch_execz .LBB2_1781
; %bb.1772:                             ;   in Loop: Header=BB2_1668 Depth=4
	v_mov_b32_e32 v25, 0
	v_cmp_ne_u32_e32 vcc, 0, v5
	s_and_saveexec_b64 s[38:39], vcc
	s_cbranch_execz .LBB2_1780
; %bb.1773:                             ;   in Loop: Header=BB2_1668 Depth=4
	v_and_b32_e32 v16, 0x7fffff, v5
	v_bfe_u32 v5, v5, 23, 8
	v_cmp_gt_u32_e64 s[40:41], s96, v5
	v_sub_u32_e32 v7, 0x79, v5
	v_cmp_eq_u32_e32 vcc, 0, v5
	v_cndmask_b32_e64 v7, 0, v7, s[40:41]
	v_or_b32_e32 v18, 0x800000, v16
	v_cndmask_b32_e32 v7, v7, v36, vcc
	v_cndmask_b32_e32 v22, v18, v16, vcc
	v_add_u32_e32 v16, 20, v7
	v_mov_b32_e32 v23, v29
	v_lshlrev_b64 v[24:25], v16, -1
	v_add_u32_e32 v16, 19, v7
	v_lshlrev_b64 v[33:34], v16, 1
	v_lshrrev_b64 v[56:57], v7, v[22:23]
	v_bfi_b32 v25, v25, 0, 0
	v_bfi_b32 v24, v24, 0, v22
	v_cmp_eq_u64_e64 s[40:41], v[24:25], v[33:34]
	v_mov_b32_e32 v58, v57
	v_mov_b32_e32 v57, v56
	s_and_saveexec_b64 s[48:49], s[40:41]
; %bb.1774:                             ;   in Loop: Header=BB2_1668 Depth=4
	v_bfe_u32 v16, v56, 20, 1
	v_add_co_u32_e64 v16, s[40:41], v56, v16
	v_add_co_u32_e64 v57, s[40:41], -1, v16
; %bb.1775:                             ;   in Loop: Header=BB2_1668 Depth=4
	s_or_b64 exec, exec, s[48:49]
	v_add_u32_e32 v5, 0xffffff81, v5
	v_cndmask_b32_e32 v5, v5, v37, vcc
	v_lshrrev_b32_e32 v16, 23, v56
	v_add3_u32 v16, v7, v5, v16
	v_add_u32_e32 v7, 6, v16
	v_and_b32_e32 v5, 0xfffff, v57
	v_add_u32_e32 v56, v5, v56
	v_mov_b32_e32 v57, v29
	v_cmp_ne_u32_e32 vcc, 0, v7
                                        ; implicit-def: $vgpr5
	s_and_saveexec_b64 s[40:41], vcc
	s_xor_b64 s[40:41], exec, s[40:41]
; %bb.1776:                             ;   in Loop: Header=BB2_1668 Depth=4
	v_cmp_lt_u64_e32 vcc, s[88:89], v[56:57]
	v_add_u32_e32 v5, 7, v16
	v_cndmask_b32_e32 v5, v7, v5, vcc
	v_cndmask_b32_e64 v7, 0, 1, vcc
	v_lshrrev_b64 v[56:57], v7, v[56:57]
; %bb.1777:                             ;   in Loop: Header=BB2_1668 Depth=4
	s_andn2_saveexec_b64 s[40:41], s[40:41]
; %bb.1778:                             ;   in Loop: Header=BB2_1668 Depth=4
	v_bfe_u32 v5, v56, 23, 1
; %bb.1779:                             ;   in Loop: Header=BB2_1668 Depth=4
	s_or_b64 exec, exec, s[40:41]
	v_lshrrev_b64 v[22:23], 20, v[56:57]
	v_cmp_gt_i32_e32 vcc, 16, v5
	v_cndmask_b32_e32 v23, 0, v23, vcc
	v_cndmask_b32_e32 v22, 7, v22, vcc
	v_cmp_eq_u32_e32 vcc, 0, v5
	v_min_i32_e32 v5, 15, v5
	v_cmp_eq_u64_e64 s[40:41], 0, v[22:23]
	v_lshlrev_b32_e32 v5, 3, v5
	v_and_b32_e32 v5, 0xf8, v5
	v_and_or_b32 v5, v22, 7, v5
	s_and_b64 s[40:41], vcc, s[40:41]
	v_cndmask_b32_e64 v5, v5, 0, s[40:41]
	v_or_b32_e32 v25, v5, v3
.LBB2_1780:                             ;   in Loop: Header=BB2_1668 Depth=4
	s_or_b64 exec, exec, s[38:39]
                                        ; implicit-def: $vgpr3
.LBB2_1781:                             ;   in Loop: Header=BB2_1668 Depth=4
	s_andn2_saveexec_b64 s[40:41], s[36:37]
; %bb.1782:                             ;   in Loop: Header=BB2_1668 Depth=4
	v_or_b32_e32 v25, 0x7e, v3
; %bb.1783:                             ;   in Loop: Header=BB2_1668 Depth=4
	s_or_b64 exec, exec, s[40:41]
                                        ; implicit-def: $vgpr5
.LBB2_1784:                             ;   in Loop: Header=BB2_1668 Depth=4
	s_andn2_saveexec_b64 s[40:41], s[34:35]
; %bb.1785:                             ;   in Loop: Header=BB2_1668 Depth=4
	v_or_b32_sdwa v25, v5, s85 dst_sel:DWORD dst_unused:UNUSED_PAD src0_sel:BYTE_3 src1_sel:DWORD
; %bb.1786:                             ;   in Loop: Header=BB2_1668 Depth=4
	s_or_b64 exec, exec, s[40:41]
	v_lshrrev_b16_e32 v30, 8, v28
	v_cmp_ne_u16_e32 vcc, 0, v30
	v_mov_b32_e32 v3, 0
	s_and_saveexec_b64 s[40:41], vcc
	s_cbranch_execz .LBB2_1792
; %bb.1787:                             ;   in Loop: Header=BB2_1668 Depth=4
	v_cmp_ne_u16_e32 vcc, s87, v30
	v_bfrev_b32_e32 v3, 1
	s_and_saveexec_b64 s[34:35], vcc
	s_cbranch_execz .LBB2_1791
; %bb.1788:                             ;   in Loop: Header=BB2_1668 Depth=4
	v_and_b32_e32 v5, 0x7f, v30
	v_cmp_ne_u32_e32 vcc, s85, v5
	v_mov_b32_e32 v3, 0x7f800001
	s_and_saveexec_b64 s[36:37], vcc
	s_cbranch_execz .LBB2_1790
; %bb.1789:                             ;   in Loop: Header=BB2_1668 Depth=4
	v_and_b32_e32 v3, 7, v30
	v_lshrrev_b32_e32 v7, 3, v5
	v_cmp_gt_u32_e32 vcc, 8, v5
	v_ffbh_u32_e32 v5, v3
	v_min_u32_e32 v5, 32, v5
	v_subrev_u32_e32 v16, 28, v5
	v_lshlrev_b64 v[22:23], v16, v[30:31]
	v_sub_u32_e32 v5, 29, v5
	v_and_b32_e32 v16, 7, v22
	v_cndmask_b32_e32 v5, v7, v5, vcc
	v_cndmask_b32_e32 v3, v3, v16, vcc
	v_lshlrev_b32_e32 v7, 16, v28
	v_lshlrev_b32_e32 v3, 20, v3
	v_and_b32_e32 v7, 0x80000000, v7
	v_lshl_add_u32 v5, v5, 23, v17
	v_or3_b32 v3, v7, v5, v3
.LBB2_1790:                             ;   in Loop: Header=BB2_1668 Depth=4
	s_or_b64 exec, exec, s[36:37]
.LBB2_1791:                             ;   in Loop: Header=BB2_1668 Depth=4
	s_or_b64 exec, exec, s[34:35]
.LBB2_1792:                             ;   in Loop: Header=BB2_1668 Depth=4
	s_or_b64 exec, exec, s[40:41]
	v_mul_f32_e32 v5, v6, v3
	v_and_b32_e32 v28, 0x7f800000, v5
	v_cmp_ne_u64_e32 vcc, s[76:77], v[28:29]
                                        ; implicit-def: $vgpr59
	s_and_saveexec_b64 s[40:41], vcc
	s_xor_b64 s[34:35], exec, s[40:41]
	s_cbranch_execz .LBB2_1806
; %bb.1793:                             ;   in Loop: Header=BB2_1668 Depth=4
	v_and_b32_e32 v28, 0x7fffffff, v5
	v_cmp_gt_u64_e32 vcc, s[78:79], v[28:29]
	v_and_b32_sdwa v3, v5, s87 dst_sel:DWORD dst_unused:UNUSED_PAD src0_sel:BYTE_3 src1_sel:DWORD
                                        ; implicit-def: $vgpr59
	s_and_saveexec_b64 s[40:41], vcc
	s_xor_b64 s[36:37], exec, s[40:41]
	s_cbranch_execz .LBB2_1803
; %bb.1794:                             ;   in Loop: Header=BB2_1668 Depth=4
	v_mov_b32_e32 v59, 0
	v_cmp_ne_u32_e32 vcc, 0, v5
	s_and_saveexec_b64 s[38:39], vcc
	s_cbranch_execz .LBB2_1802
; %bb.1795:                             ;   in Loop: Header=BB2_1668 Depth=4
	v_and_b32_e32 v16, 0x7fffff, v5
	v_bfe_u32 v5, v5, 23, 8
	v_cmp_gt_u32_e64 s[40:41], s96, v5
	v_sub_u32_e32 v7, 0x79, v5
	v_cmp_eq_u32_e32 vcc, 0, v5
	v_cndmask_b32_e64 v7, 0, v7, s[40:41]
	v_or_b32_e32 v18, 0x800000, v16
	v_cndmask_b32_e32 v7, v7, v36, vcc
	v_cndmask_b32_e32 v28, v18, v16, vcc
	v_add_u32_e32 v16, 20, v7
	v_lshlrev_b64 v[22:23], v16, -1
	v_add_u32_e32 v16, 19, v7
	v_lshlrev_b64 v[33:34], v16, 1
	v_lshrrev_b64 v[56:57], v7, v[28:29]
	v_bfi_b32 v23, v23, 0, 0
	v_bfi_b32 v22, v22, 0, v28
	v_cmp_eq_u64_e64 s[40:41], v[22:23], v[33:34]
	v_mov_b32_e32 v58, v57
	v_mov_b32_e32 v57, v56
	s_and_saveexec_b64 s[48:49], s[40:41]
; %bb.1796:                             ;   in Loop: Header=BB2_1668 Depth=4
	v_bfe_u32 v16, v56, 20, 1
	v_add_co_u32_e64 v16, s[40:41], v56, v16
	v_add_co_u32_e64 v57, s[40:41], -1, v16
; %bb.1797:                             ;   in Loop: Header=BB2_1668 Depth=4
	s_or_b64 exec, exec, s[48:49]
	v_add_u32_e32 v5, 0xffffff81, v5
	v_cndmask_b32_e32 v5, v5, v37, vcc
	v_lshrrev_b32_e32 v16, 23, v56
	v_add3_u32 v16, v7, v5, v16
	v_add_u32_e32 v7, 6, v16
	v_and_b32_e32 v5, 0xfffff, v57
	v_add_u32_e32 v28, v5, v56
	v_cmp_ne_u32_e32 vcc, 0, v7
                                        ; implicit-def: $vgpr56_vgpr57
                                        ; implicit-def: $vgpr5
	s_and_saveexec_b64 s[40:41], vcc
	s_xor_b64 s[40:41], exec, s[40:41]
; %bb.1798:                             ;   in Loop: Header=BB2_1668 Depth=4
	v_cmp_lt_u64_e32 vcc, s[88:89], v[28:29]
	v_add_u32_e32 v5, 7, v16
	v_cndmask_b32_e32 v5, v7, v5, vcc
	v_cndmask_b32_e64 v7, 0, 1, vcc
	v_lshrrev_b64 v[56:57], v7, v[28:29]
; %bb.1799:                             ;   in Loop: Header=BB2_1668 Depth=4
	s_andn2_saveexec_b64 s[40:41], s[40:41]
; %bb.1800:                             ;   in Loop: Header=BB2_1668 Depth=4
	v_mov_b32_e32 v57, v29
	v_bfe_u32 v5, v28, 23, 1
	v_mov_b32_e32 v56, v28
; %bb.1801:                             ;   in Loop: Header=BB2_1668 Depth=4
	s_or_b64 exec, exec, s[40:41]
	v_lshrrev_b64 v[22:23], 20, v[56:57]
	v_cmp_gt_i32_e32 vcc, 16, v5
	v_cndmask_b32_e32 v23, 0, v23, vcc
	v_cndmask_b32_e32 v22, 7, v22, vcc
	v_cmp_eq_u32_e32 vcc, 0, v5
	v_min_i32_e32 v5, 15, v5
	v_cmp_eq_u64_e64 s[40:41], 0, v[22:23]
	v_lshlrev_b32_e32 v5, 3, v5
	v_and_b32_e32 v5, 0xf8, v5
	v_and_or_b32 v5, v22, 7, v5
	s_and_b64 s[40:41], vcc, s[40:41]
	v_cndmask_b32_e64 v5, v5, 0, s[40:41]
	v_or_b32_e32 v59, v5, v3
.LBB2_1802:                             ;   in Loop: Header=BB2_1668 Depth=4
	s_or_b64 exec, exec, s[38:39]
                                        ; implicit-def: $vgpr3
.LBB2_1803:                             ;   in Loop: Header=BB2_1668 Depth=4
	s_andn2_saveexec_b64 s[40:41], s[36:37]
; %bb.1804:                             ;   in Loop: Header=BB2_1668 Depth=4
	v_or_b32_e32 v59, 0x7e, v3
; %bb.1805:                             ;   in Loop: Header=BB2_1668 Depth=4
	s_or_b64 exec, exec, s[40:41]
                                        ; implicit-def: $vgpr5
.LBB2_1806:                             ;   in Loop: Header=BB2_1668 Depth=4
	s_andn2_saveexec_b64 s[40:41], s[34:35]
; %bb.1807:                             ;   in Loop: Header=BB2_1668 Depth=4
	v_or_b32_sdwa v59, v5, s85 dst_sel:DWORD dst_unused:UNUSED_PAD src0_sel:BYTE_3 src1_sel:DWORD
; %bb.1808:                             ;   in Loop: Header=BB2_1668 Depth=4
	s_or_b64 exec, exec, s[40:41]
	v_lshrrev_b32_e32 v28, 16, v9
	v_cmp_ne_u16_sdwa vcc, v28, v29 src0_sel:BYTE_0 src1_sel:DWORD
	v_mov_b32_e32 v3, 0
	s_and_saveexec_b64 s[40:41], vcc
	s_cbranch_execz .LBB2_1814
; %bb.1809:                             ;   in Loop: Header=BB2_1668 Depth=4
	v_cmp_ne_u16_sdwa vcc, v28, s87 src0_sel:BYTE_0 src1_sel:DWORD
	v_bfrev_b32_e32 v3, 1
	s_and_saveexec_b64 s[34:35], vcc
	s_cbranch_execz .LBB2_1813
; %bb.1810:                             ;   in Loop: Header=BB2_1668 Depth=4
	v_bfe_u32 v5, v9, 16, 7
	v_cmp_ne_u32_e32 vcc, s85, v5
	v_mov_b32_e32 v3, 0x7f800001
	s_and_saveexec_b64 s[36:37], vcc
	s_cbranch_execz .LBB2_1812
; %bb.1811:                             ;   in Loop: Header=BB2_1668 Depth=4
	v_and_b32_e32 v3, 7, v28
	v_lshrrev_b32_e32 v7, 3, v5
	v_cmp_gt_u32_e32 vcc, 8, v5
	v_ffbh_u32_e32 v5, v3
	v_min_u32_e32 v5, 32, v5
	v_subrev_u32_e32 v16, 28, v5
	v_lshlrev_b64 v[22:23], v16, v[28:29]
	v_sub_u32_e32 v5, 29, v5
	v_and_b32_e32 v16, 7, v22
	v_cndmask_b32_e32 v5, v7, v5, vcc
	v_cndmask_b32_e32 v3, v3, v16, vcc
	v_lshlrev_b32_e32 v7, 24, v28
	v_lshlrev_b32_e32 v3, 20, v3
	v_and_b32_e32 v7, 0x80000000, v7
	v_lshl_add_u32 v5, v5, 23, v17
	v_or3_b32 v3, v7, v5, v3
.LBB2_1812:                             ;   in Loop: Header=BB2_1668 Depth=4
	s_or_b64 exec, exec, s[36:37]
.LBB2_1813:                             ;   in Loop: Header=BB2_1668 Depth=4
	s_or_b64 exec, exec, s[34:35]
.LBB2_1814:                             ;   in Loop: Header=BB2_1668 Depth=4
	s_or_b64 exec, exec, s[40:41]
	v_mul_f32_e32 v5, v6, v3
	v_and_b32_e32 v28, 0x7f800000, v5
	v_cmp_ne_u64_e32 vcc, s[76:77], v[28:29]
                                        ; implicit-def: $vgpr23
	s_and_saveexec_b64 s[40:41], vcc
	s_xor_b64 s[34:35], exec, s[40:41]
	s_cbranch_execz .LBB2_1828
; %bb.1815:                             ;   in Loop: Header=BB2_1668 Depth=4
	v_and_b32_e32 v28, 0x7fffffff, v5
	v_cmp_gt_u64_e32 vcc, s[78:79], v[28:29]
	v_and_b32_sdwa v3, v5, s87 dst_sel:DWORD dst_unused:UNUSED_PAD src0_sel:BYTE_3 src1_sel:DWORD
                                        ; implicit-def: $vgpr23
	s_and_saveexec_b64 s[40:41], vcc
	s_xor_b64 s[36:37], exec, s[40:41]
	s_cbranch_execz .LBB2_1825
; %bb.1816:                             ;   in Loop: Header=BB2_1668 Depth=4
	v_mov_b32_e32 v23, 0
	v_cmp_ne_u32_e32 vcc, 0, v5
	s_and_saveexec_b64 s[38:39], vcc
	s_cbranch_execz .LBB2_1824
; %bb.1817:                             ;   in Loop: Header=BB2_1668 Depth=4
	v_and_b32_e32 v16, 0x7fffff, v5
	v_bfe_u32 v5, v5, 23, 8
	v_cmp_gt_u32_e64 s[40:41], s96, v5
	v_sub_u32_e32 v7, 0x79, v5
	v_cmp_eq_u32_e32 vcc, 0, v5
	v_cndmask_b32_e64 v7, 0, v7, s[40:41]
	v_or_b32_e32 v18, 0x800000, v16
	v_cndmask_b32_e32 v7, v7, v36, vcc
	v_cndmask_b32_e32 v28, v18, v16, vcc
	v_add_u32_e32 v16, 20, v7
	v_lshlrev_b64 v[22:23], v16, -1
	v_add_u32_e32 v16, 19, v7
	v_lshlrev_b64 v[33:34], v16, 1
	v_lshrrev_b64 v[56:57], v7, v[28:29]
	v_bfi_b32 v23, v23, 0, 0
	v_bfi_b32 v22, v22, 0, v28
	v_cmp_eq_u64_e64 s[40:41], v[22:23], v[33:34]
	v_mov_b32_e32 v58, v57
	v_mov_b32_e32 v57, v56
	s_and_saveexec_b64 s[48:49], s[40:41]
; %bb.1818:                             ;   in Loop: Header=BB2_1668 Depth=4
	v_bfe_u32 v16, v56, 20, 1
	v_add_co_u32_e64 v16, s[40:41], v56, v16
	v_add_co_u32_e64 v57, s[40:41], -1, v16
; %bb.1819:                             ;   in Loop: Header=BB2_1668 Depth=4
	s_or_b64 exec, exec, s[48:49]
	v_add_u32_e32 v5, 0xffffff81, v5
	v_cndmask_b32_e32 v5, v5, v37, vcc
	v_lshrrev_b32_e32 v16, 23, v56
	v_add3_u32 v16, v7, v5, v16
	v_add_u32_e32 v7, 6, v16
	v_and_b32_e32 v5, 0xfffff, v57
	v_add_u32_e32 v28, v5, v56
	v_cmp_ne_u32_e32 vcc, 0, v7
                                        ; implicit-def: $vgpr56_vgpr57
                                        ; implicit-def: $vgpr5
	s_and_saveexec_b64 s[40:41], vcc
	s_xor_b64 s[40:41], exec, s[40:41]
; %bb.1820:                             ;   in Loop: Header=BB2_1668 Depth=4
	v_cmp_lt_u64_e32 vcc, s[88:89], v[28:29]
	v_add_u32_e32 v5, 7, v16
	v_cndmask_b32_e32 v5, v7, v5, vcc
	v_cndmask_b32_e64 v7, 0, 1, vcc
	v_lshrrev_b64 v[56:57], v7, v[28:29]
; %bb.1821:                             ;   in Loop: Header=BB2_1668 Depth=4
	s_andn2_saveexec_b64 s[40:41], s[40:41]
; %bb.1822:                             ;   in Loop: Header=BB2_1668 Depth=4
	v_mov_b32_e32 v57, v29
	v_bfe_u32 v5, v28, 23, 1
	v_mov_b32_e32 v56, v28
; %bb.1823:                             ;   in Loop: Header=BB2_1668 Depth=4
	s_or_b64 exec, exec, s[40:41]
	v_lshrrev_b64 v[22:23], 20, v[56:57]
	v_cmp_gt_i32_e32 vcc, 16, v5
	v_cndmask_b32_e32 v23, 0, v23, vcc
	v_cndmask_b32_e32 v22, 7, v22, vcc
	v_cmp_eq_u32_e32 vcc, 0, v5
	v_min_i32_e32 v5, 15, v5
	v_cmp_eq_u64_e64 s[40:41], 0, v[22:23]
	v_lshlrev_b32_e32 v5, 3, v5
	v_and_b32_e32 v5, 0xf8, v5
	v_and_or_b32 v5, v22, 7, v5
	s_and_b64 s[40:41], vcc, s[40:41]
	v_cndmask_b32_e64 v5, v5, 0, s[40:41]
	v_or_b32_e32 v23, v5, v3
.LBB2_1824:                             ;   in Loop: Header=BB2_1668 Depth=4
	s_or_b64 exec, exec, s[38:39]
                                        ; implicit-def: $vgpr3
.LBB2_1825:                             ;   in Loop: Header=BB2_1668 Depth=4
	s_andn2_saveexec_b64 s[40:41], s[36:37]
; %bb.1826:                             ;   in Loop: Header=BB2_1668 Depth=4
	v_or_b32_e32 v23, 0x7e, v3
; %bb.1827:                             ;   in Loop: Header=BB2_1668 Depth=4
	s_or_b64 exec, exec, s[40:41]
                                        ; implicit-def: $vgpr5
.LBB2_1828:                             ;   in Loop: Header=BB2_1668 Depth=4
	s_andn2_saveexec_b64 s[40:41], s[34:35]
; %bb.1829:                             ;   in Loop: Header=BB2_1668 Depth=4
	v_or_b32_sdwa v23, v5, s85 dst_sel:DWORD dst_unused:UNUSED_PAD src0_sel:BYTE_3 src1_sel:DWORD
; %bb.1830:                             ;   in Loop: Header=BB2_1668 Depth=4
	s_or_b64 exec, exec, s[40:41]
	v_cmp_lt_u64_e32 vcc, s[56:57], v[8:9]
	v_mov_b32_e32 v3, 0
	s_and_saveexec_b64 s[40:41], vcc
	s_cbranch_execz .LBB2_1836
; %bb.1831:                             ;   in Loop: Header=BB2_1668 Depth=4
	v_lshrrev_b32_e32 v8, 24, v9
	v_cmp_ne_u32_e32 vcc, s87, v8
	v_bfrev_b32_e32 v3, 1
	s_and_saveexec_b64 s[34:35], vcc
	s_cbranch_execz .LBB2_1835
; %bb.1832:                             ;   in Loop: Header=BB2_1668 Depth=4
	v_bfe_u32 v5, v9, 24, 7
	v_cmp_ne_u32_e32 vcc, s85, v5
	v_mov_b32_e32 v3, 0x7f800001
	s_and_saveexec_b64 s[36:37], vcc
	s_cbranch_execz .LBB2_1834
; %bb.1833:                             ;   in Loop: Header=BB2_1668 Depth=4
	v_and_b32_e32 v3, 7, v8
	v_lshrrev_b32_e32 v7, 3, v5
	v_cmp_gt_u32_e32 vcc, 8, v5
	v_ffbh_u32_e32 v5, v3
	v_min_u32_e32 v5, 32, v5
	v_subrev_u32_e32 v9, 28, v5
	v_lshlrev_b64 v[33:34], v9, v[8:9]
	v_sub_u32_e32 v5, 29, v5
	v_and_b32_e32 v9, 7, v33
	v_cndmask_b32_e32 v5, v7, v5, vcc
	v_cndmask_b32_e32 v3, v3, v9, vcc
	v_lshlrev_b32_e32 v7, 24, v8
	v_lshlrev_b32_e32 v3, 20, v3
	v_and_b32_e32 v7, 0x80000000, v7
	v_lshl_add_u32 v5, v5, 23, v17
	v_or3_b32 v3, v7, v5, v3
.LBB2_1834:                             ;   in Loop: Header=BB2_1668 Depth=4
	s_or_b64 exec, exec, s[36:37]
.LBB2_1835:                             ;   in Loop: Header=BB2_1668 Depth=4
	s_or_b64 exec, exec, s[34:35]
.LBB2_1836:                             ;   in Loop: Header=BB2_1668 Depth=4
	s_or_b64 exec, exec, s[40:41]
	v_mul_f32_e32 v5, v6, v3
	v_and_b32_e32 v28, 0x7f800000, v5
	v_cmp_ne_u64_e32 vcc, s[76:77], v[28:29]
                                        ; implicit-def: $vgpr33
	s_and_saveexec_b64 s[40:41], vcc
	s_xor_b64 s[34:35], exec, s[40:41]
	s_cbranch_execz .LBB2_1850
; %bb.1837:                             ;   in Loop: Header=BB2_1668 Depth=4
	v_and_b32_e32 v28, 0x7fffffff, v5
	v_cmp_gt_u64_e32 vcc, s[78:79], v[28:29]
	v_and_b32_sdwa v3, v5, s87 dst_sel:DWORD dst_unused:UNUSED_PAD src0_sel:BYTE_3 src1_sel:DWORD
                                        ; implicit-def: $vgpr33
	s_and_saveexec_b64 s[40:41], vcc
	s_xor_b64 s[36:37], exec, s[40:41]
	s_cbranch_execz .LBB2_1847
; %bb.1838:                             ;   in Loop: Header=BB2_1668 Depth=4
	v_mov_b32_e32 v33, 0
	v_cmp_ne_u32_e32 vcc, 0, v5
	s_and_saveexec_b64 s[38:39], vcc
	s_cbranch_execz .LBB2_1846
; %bb.1839:                             ;   in Loop: Header=BB2_1668 Depth=4
	v_and_b32_e32 v8, 0x7fffff, v5
	v_bfe_u32 v5, v5, 23, 8
	v_cmp_gt_u32_e64 s[40:41], s96, v5
	v_sub_u32_e32 v7, 0x79, v5
	v_cmp_eq_u32_e32 vcc, 0, v5
	v_cndmask_b32_e64 v7, 0, v7, s[40:41]
	v_or_b32_e32 v9, 0x800000, v8
	v_cndmask_b32_e32 v7, v7, v36, vcc
	v_cndmask_b32_e32 v28, v9, v8, vcc
	v_add_u32_e32 v8, 20, v7
	v_lshlrev_b64 v[8:9], v8, -1
	v_add_u32_e32 v16, 19, v7
	v_lshlrev_b64 v[33:34], v16, 1
	v_bfi_b32 v9, v9, 0, 0
	v_bfi_b32 v8, v8, 0, v28
	v_cmp_eq_u64_e64 s[40:41], v[8:9], v[33:34]
	v_lshrrev_b64 v[8:9], v7, v[28:29]
	v_mov_b32_e32 v57, v9
	v_mov_b32_e32 v56, v8
	s_and_saveexec_b64 s[48:49], s[40:41]
; %bb.1840:                             ;   in Loop: Header=BB2_1668 Depth=4
	v_bfe_u32 v9, v8, 20, 1
	v_add_co_u32_e64 v9, s[40:41], v8, v9
	v_add_co_u32_e64 v56, s[40:41], -1, v9
; %bb.1841:                             ;   in Loop: Header=BB2_1668 Depth=4
	s_or_b64 exec, exec, s[48:49]
	v_add_u32_e32 v5, 0xffffff81, v5
	v_cndmask_b32_e32 v5, v5, v37, vcc
	v_lshrrev_b32_e32 v9, 23, v8
	v_add3_u32 v16, v7, v5, v9
	v_add_u32_e32 v7, 6, v16
	v_and_b32_e32 v5, 0xfffff, v56
	v_add_u32_e32 v28, v5, v8
	v_cmp_ne_u32_e32 vcc, 0, v7
                                        ; implicit-def: $vgpr8_vgpr9
                                        ; implicit-def: $vgpr5
	s_and_saveexec_b64 s[40:41], vcc
	s_xor_b64 s[40:41], exec, s[40:41]
; %bb.1842:                             ;   in Loop: Header=BB2_1668 Depth=4
	v_cmp_lt_u64_e32 vcc, s[88:89], v[28:29]
	v_add_u32_e32 v5, 7, v16
	v_cndmask_b32_e32 v5, v7, v5, vcc
	v_cndmask_b32_e64 v7, 0, 1, vcc
	v_lshrrev_b64 v[8:9], v7, v[28:29]
; %bb.1843:                             ;   in Loop: Header=BB2_1668 Depth=4
	s_andn2_saveexec_b64 s[40:41], s[40:41]
; %bb.1844:                             ;   in Loop: Header=BB2_1668 Depth=4
	v_mov_b32_e32 v8, v28
	v_bfe_u32 v5, v28, 23, 1
	v_mov_b32_e32 v9, v29
; %bb.1845:                             ;   in Loop: Header=BB2_1668 Depth=4
	s_or_b64 exec, exec, s[40:41]
	v_lshrrev_b64 v[7:8], 20, v[8:9]
	v_cmp_gt_i32_e32 vcc, 16, v5
	v_cndmask_b32_e32 v8, 0, v8, vcc
	v_cndmask_b32_e32 v7, 7, v7, vcc
	v_cmp_eq_u32_e32 vcc, 0, v5
	v_min_i32_e32 v5, 15, v5
	v_cmp_eq_u64_e64 s[40:41], 0, v[7:8]
	v_lshlrev_b32_e32 v5, 3, v5
	v_and_b32_e32 v5, 0xf8, v5
	v_and_or_b32 v5, v7, 7, v5
	s_and_b64 s[40:41], vcc, s[40:41]
	v_cndmask_b32_e64 v5, v5, 0, s[40:41]
	v_or_b32_e32 v33, v5, v3
.LBB2_1846:                             ;   in Loop: Header=BB2_1668 Depth=4
	s_or_b64 exec, exec, s[38:39]
                                        ; implicit-def: $vgpr3
.LBB2_1847:                             ;   in Loop: Header=BB2_1668 Depth=4
	s_andn2_saveexec_b64 s[40:41], s[36:37]
; %bb.1848:                             ;   in Loop: Header=BB2_1668 Depth=4
	v_or_b32_e32 v33, 0x7e, v3
; %bb.1849:                             ;   in Loop: Header=BB2_1668 Depth=4
	s_or_b64 exec, exec, s[40:41]
                                        ; implicit-def: $vgpr5
.LBB2_1850:                             ;   in Loop: Header=BB2_1668 Depth=4
	s_andn2_saveexec_b64 s[40:41], s[34:35]
; %bb.1851:                             ;   in Loop: Header=BB2_1668 Depth=4
	v_or_b32_sdwa v33, v5, s85 dst_sel:DWORD dst_unused:UNUSED_PAD src0_sel:BYTE_3 src1_sel:DWORD
; %bb.1852:                             ;   in Loop: Header=BB2_1668 Depth=4
	s_or_b64 exec, exec, s[40:41]
	v_cmp_ne_u16_sdwa vcc, v10, v29 src0_sel:BYTE_0 src1_sel:DWORD
	v_mov_b32_e32 v3, 0
	s_and_saveexec_b64 s[40:41], vcc
	s_cbranch_execz .LBB2_1858
; %bb.1853:                             ;   in Loop: Header=BB2_1668 Depth=4
	v_cmp_ne_u16_sdwa vcc, v10, s87 src0_sel:BYTE_0 src1_sel:DWORD
	v_bfrev_b32_e32 v3, 1
	s_and_saveexec_b64 s[34:35], vcc
	s_cbranch_execz .LBB2_1857
; %bb.1854:                             ;   in Loop: Header=BB2_1668 Depth=4
	v_and_b32_e32 v5, 0x7f, v10
	v_cmp_ne_u32_e32 vcc, s85, v5
	v_mov_b32_e32 v3, 0x7f800001
	s_and_saveexec_b64 s[36:37], vcc
	s_cbranch_execz .LBB2_1856
; %bb.1855:                             ;   in Loop: Header=BB2_1668 Depth=4
	v_and_b32_e32 v3, 7, v10
	v_ffbh_u32_e32 v3, v3
	v_min_u32_e32 v3, 32, v3
	v_lshrrev_b32_e32 v7, 3, v5
	v_cmp_gt_u32_e32 vcc, 8, v5
	v_subrev_u32_e32 v5, 28, v3
	v_sub_u32_e32 v3, 29, v3
	v_cndmask_b32_e32 v5, 0, v5, vcc
	v_cndmask_b32_e32 v3, v7, v3, vcc
	v_lshlrev_b64 v[7:8], v5, v[10:11]
	v_lshl_add_u32 v3, v3, 23, v17
	v_lshlrev_b32_e32 v5, 20, v7
	v_lshlrev_b32_e32 v7, 24, v10
	v_and_b32_e32 v5, 0x700000, v5
	v_and_b32_e32 v7, 0x80000000, v7
	v_or3_b32 v3, v7, v3, v5
.LBB2_1856:                             ;   in Loop: Header=BB2_1668 Depth=4
	s_or_b64 exec, exec, s[36:37]
.LBB2_1857:                             ;   in Loop: Header=BB2_1668 Depth=4
	s_or_b64 exec, exec, s[34:35]
.LBB2_1858:                             ;   in Loop: Header=BB2_1668 Depth=4
	s_or_b64 exec, exec, s[40:41]
	v_mul_f32_e32 v5, v6, v3
	v_and_b32_e32 v28, 0x7f800000, v5
	v_cmp_ne_u64_e32 vcc, s[76:77], v[28:29]
                                        ; implicit-def: $vgpr7
	s_and_saveexec_b64 s[40:41], vcc
	s_xor_b64 s[34:35], exec, s[40:41]
	s_cbranch_execz .LBB2_1872
; %bb.1859:                             ;   in Loop: Header=BB2_1668 Depth=4
	v_and_b32_e32 v28, 0x7fffffff, v5
	v_cmp_gt_u64_e32 vcc, s[78:79], v[28:29]
	v_and_b32_sdwa v3, v5, s87 dst_sel:DWORD dst_unused:UNUSED_PAD src0_sel:BYTE_3 src1_sel:DWORD
                                        ; implicit-def: $vgpr7
	s_and_saveexec_b64 s[40:41], vcc
	s_xor_b64 s[36:37], exec, s[40:41]
	s_cbranch_execz .LBB2_1869
; %bb.1860:                             ;   in Loop: Header=BB2_1668 Depth=4
	v_mov_b32_e32 v7, 0
	v_cmp_ne_u32_e32 vcc, 0, v5
	s_and_saveexec_b64 s[38:39], vcc
	s_cbranch_execz .LBB2_1868
; %bb.1861:                             ;   in Loop: Header=BB2_1668 Depth=4
	v_and_b32_e32 v8, 0x7fffff, v5
	v_bfe_u32 v5, v5, 23, 8
	v_cmp_gt_u32_e64 s[40:41], s96, v5
	v_sub_u32_e32 v7, 0x79, v5
	v_cmp_eq_u32_e32 vcc, 0, v5
	v_cndmask_b32_e64 v7, 0, v7, s[40:41]
	v_or_b32_e32 v9, 0x800000, v8
	v_cndmask_b32_e32 v7, v7, v36, vcc
	v_cndmask_b32_e32 v28, v9, v8, vcc
	v_add_u32_e32 v8, 20, v7
	v_lshlrev_b64 v[8:9], v8, -1
	v_add_u32_e32 v16, 19, v7
	v_lshlrev_b64 v[56:57], v16, 1
	v_bfi_b32 v9, v9, 0, 0
	v_bfi_b32 v8, v8, 0, v28
	v_cmp_eq_u64_e64 s[40:41], v[8:9], v[56:57]
	v_lshrrev_b64 v[8:9], v7, v[28:29]
	v_mov_b32_e32 v57, v9
	v_mov_b32_e32 v56, v8
	s_and_saveexec_b64 s[48:49], s[40:41]
; %bb.1862:                             ;   in Loop: Header=BB2_1668 Depth=4
	v_bfe_u32 v9, v8, 20, 1
	v_add_co_u32_e64 v9, s[40:41], v8, v9
	v_add_co_u32_e64 v56, s[40:41], -1, v9
; %bb.1863:                             ;   in Loop: Header=BB2_1668 Depth=4
	s_or_b64 exec, exec, s[48:49]
	v_add_u32_e32 v5, 0xffffff81, v5
	v_cndmask_b32_e32 v5, v5, v37, vcc
	v_lshrrev_b32_e32 v9, 23, v8
	v_add3_u32 v16, v7, v5, v9
	v_add_u32_e32 v7, 6, v16
	v_and_b32_e32 v5, 0xfffff, v56
	v_add_u32_e32 v28, v5, v8
	v_cmp_ne_u32_e32 vcc, 0, v7
                                        ; implicit-def: $vgpr8_vgpr9
                                        ; implicit-def: $vgpr5
	s_and_saveexec_b64 s[40:41], vcc
	s_xor_b64 s[40:41], exec, s[40:41]
; %bb.1864:                             ;   in Loop: Header=BB2_1668 Depth=4
	v_cmp_lt_u64_e32 vcc, s[88:89], v[28:29]
	v_add_u32_e32 v5, 7, v16
	v_cndmask_b32_e32 v5, v7, v5, vcc
	v_cndmask_b32_e64 v7, 0, 1, vcc
	v_lshrrev_b64 v[8:9], v7, v[28:29]
; %bb.1865:                             ;   in Loop: Header=BB2_1668 Depth=4
	s_andn2_saveexec_b64 s[40:41], s[40:41]
; %bb.1866:                             ;   in Loop: Header=BB2_1668 Depth=4
	v_mov_b32_e32 v8, v28
	v_bfe_u32 v5, v28, 23, 1
	v_mov_b32_e32 v9, v29
; %bb.1867:                             ;   in Loop: Header=BB2_1668 Depth=4
	s_or_b64 exec, exec, s[40:41]
	v_lshrrev_b64 v[7:8], 20, v[8:9]
	v_cmp_gt_i32_e32 vcc, 16, v5
	v_cndmask_b32_e32 v8, 0, v8, vcc
	v_cndmask_b32_e32 v7, 7, v7, vcc
	v_cmp_eq_u32_e32 vcc, 0, v5
	v_min_i32_e32 v5, 15, v5
	v_cmp_eq_u64_e64 s[40:41], 0, v[7:8]
	v_lshlrev_b32_e32 v5, 3, v5
	v_and_b32_e32 v5, 0xf8, v5
	v_and_or_b32 v5, v7, 7, v5
	s_and_b64 s[40:41], vcc, s[40:41]
	v_cndmask_b32_e64 v5, v5, 0, s[40:41]
	v_or_b32_e32 v7, v5, v3
.LBB2_1868:                             ;   in Loop: Header=BB2_1668 Depth=4
	s_or_b64 exec, exec, s[38:39]
                                        ; implicit-def: $vgpr3
.LBB2_1869:                             ;   in Loop: Header=BB2_1668 Depth=4
	s_andn2_saveexec_b64 s[40:41], s[36:37]
; %bb.1870:                             ;   in Loop: Header=BB2_1668 Depth=4
	v_or_b32_e32 v7, 0x7e, v3
; %bb.1871:                             ;   in Loop: Header=BB2_1668 Depth=4
	s_or_b64 exec, exec, s[40:41]
                                        ; implicit-def: $vgpr5
.LBB2_1872:                             ;   in Loop: Header=BB2_1668 Depth=4
	s_andn2_saveexec_b64 s[40:41], s[34:35]
; %bb.1873:                             ;   in Loop: Header=BB2_1668 Depth=4
	v_or_b32_sdwa v7, v5, s85 dst_sel:DWORD dst_unused:UNUSED_PAD src0_sel:BYTE_3 src1_sel:DWORD
; %bb.1874:                             ;   in Loop: Header=BB2_1668 Depth=4
	s_or_b64 exec, exec, s[40:41]
	v_lshrrev_b16_e32 v8, 8, v10
	v_cmp_ne_u16_e32 vcc, 0, v8
	v_mov_b32_e32 v3, 0
	s_and_saveexec_b64 s[40:41], vcc
	s_cbranch_execz .LBB2_1880
; %bb.1875:                             ;   in Loop: Header=BB2_1668 Depth=4
	v_cmp_ne_u16_e32 vcc, s87, v8
	v_bfrev_b32_e32 v3, 1
	s_and_saveexec_b64 s[34:35], vcc
	s_cbranch_execz .LBB2_1879
; %bb.1876:                             ;   in Loop: Header=BB2_1668 Depth=4
	v_and_b32_e32 v5, 0x7f, v8
	v_cmp_ne_u32_e32 vcc, s85, v5
	v_mov_b32_e32 v3, 0x7f800001
	s_and_saveexec_b64 s[36:37], vcc
	s_cbranch_execz .LBB2_1878
; %bb.1877:                             ;   in Loop: Header=BB2_1668 Depth=4
	v_and_b32_e32 v3, 7, v8
	v_lshrrev_b32_e32 v16, 3, v5
	v_cmp_gt_u32_e32 vcc, 8, v5
	v_ffbh_u32_e32 v5, v3
	v_min_u32_e32 v5, 32, v5
	v_subrev_u32_e32 v9, 28, v5
	v_lshlrev_b64 v[8:9], v9, v[8:9]
	v_sub_u32_e32 v5, 29, v5
	v_and_b32_e32 v8, 7, v8
	v_cndmask_b32_e32 v5, v16, v5, vcc
	v_cndmask_b32_e32 v3, v3, v8, vcc
	v_lshlrev_b32_e32 v8, 16, v10
	v_lshlrev_b32_e32 v3, 20, v3
	v_and_b32_e32 v8, 0x80000000, v8
	v_lshl_add_u32 v5, v5, 23, v17
	v_or3_b32 v3, v8, v5, v3
.LBB2_1878:                             ;   in Loop: Header=BB2_1668 Depth=4
	s_or_b64 exec, exec, s[36:37]
.LBB2_1879:                             ;   in Loop: Header=BB2_1668 Depth=4
	s_or_b64 exec, exec, s[34:35]
.LBB2_1880:                             ;   in Loop: Header=BB2_1668 Depth=4
	s_or_b64 exec, exec, s[40:41]
	v_mul_f32_e32 v8, v6, v3
	v_and_b32_e32 v28, 0x7f800000, v8
	v_cmp_ne_u64_e32 vcc, s[76:77], v[28:29]
                                        ; implicit-def: $vgpr3
	s_and_saveexec_b64 s[40:41], vcc
	s_xor_b64 s[34:35], exec, s[40:41]
	s_cbranch_execz .LBB2_1894
; %bb.1881:                             ;   in Loop: Header=BB2_1668 Depth=4
	v_and_b32_e32 v28, 0x7fffffff, v8
	v_cmp_gt_u64_e32 vcc, s[78:79], v[28:29]
	v_and_b32_sdwa v5, v8, s87 dst_sel:DWORD dst_unused:UNUSED_PAD src0_sel:BYTE_3 src1_sel:DWORD
                                        ; implicit-def: $vgpr3
	s_and_saveexec_b64 s[40:41], vcc
	s_xor_b64 s[36:37], exec, s[40:41]
	s_cbranch_execz .LBB2_1891
; %bb.1882:                             ;   in Loop: Header=BB2_1668 Depth=4
	v_mov_b32_e32 v3, 0
	v_cmp_ne_u32_e32 vcc, 0, v8
	s_and_saveexec_b64 s[38:39], vcc
	s_cbranch_execz .LBB2_1890
; %bb.1883:                             ;   in Loop: Header=BB2_1668 Depth=4
	v_bfe_u32 v3, v8, 23, 8
	v_and_b32_e32 v9, 0x7fffff, v8
	v_cmp_gt_u32_e64 s[40:41], s96, v3
	v_sub_u32_e32 v8, 0x79, v3
	v_cmp_eq_u32_e32 vcc, 0, v3
	v_cndmask_b32_e64 v8, 0, v8, s[40:41]
	v_cndmask_b32_e32 v16, v8, v36, vcc
	v_or_b32_e32 v18, 0x800000, v9
	v_add_u32_e32 v8, 20, v16
	v_cndmask_b32_e32 v28, v18, v9, vcc
	v_lshlrev_b64 v[8:9], v8, -1
	v_add_u32_e32 v18, 19, v16
	v_lshlrev_b64 v[56:57], v18, 1
	v_bfi_b32 v9, v9, 0, 0
	v_bfi_b32 v8, v8, 0, v28
	v_cmp_eq_u64_e64 s[40:41], v[8:9], v[56:57]
	v_lshrrev_b64 v[8:9], v16, v[28:29]
	v_mov_b32_e32 v57, v9
	v_mov_b32_e32 v56, v8
	s_and_saveexec_b64 s[48:49], s[40:41]
; %bb.1884:                             ;   in Loop: Header=BB2_1668 Depth=4
	v_bfe_u32 v9, v8, 20, 1
	v_add_co_u32_e64 v9, s[40:41], v8, v9
	v_add_co_u32_e64 v56, s[40:41], -1, v9
; %bb.1885:                             ;   in Loop: Header=BB2_1668 Depth=4
	s_or_b64 exec, exec, s[48:49]
	v_add_u32_e32 v3, 0xffffff81, v3
	v_cndmask_b32_e32 v3, v3, v37, vcc
	v_lshrrev_b32_e32 v9, 23, v8
	v_add3_u32 v18, v16, v3, v9
	v_add_u32_e32 v16, 6, v18
	v_and_b32_e32 v3, 0xfffff, v56
	v_add_u32_e32 v28, v3, v8
	v_cmp_ne_u32_e32 vcc, 0, v16
                                        ; implicit-def: $vgpr8_vgpr9
                                        ; implicit-def: $vgpr3
	s_and_saveexec_b64 s[40:41], vcc
	s_xor_b64 s[40:41], exec, s[40:41]
; %bb.1886:                             ;   in Loop: Header=BB2_1668 Depth=4
	v_cmp_lt_u64_e32 vcc, s[88:89], v[28:29]
	v_add_u32_e32 v3, 7, v18
	v_cndmask_b32_e64 v8, 0, 1, vcc
	v_cndmask_b32_e32 v3, v16, v3, vcc
	v_lshrrev_b64 v[8:9], v8, v[28:29]
; %bb.1887:                             ;   in Loop: Header=BB2_1668 Depth=4
	s_andn2_saveexec_b64 s[40:41], s[40:41]
; %bb.1888:                             ;   in Loop: Header=BB2_1668 Depth=4
	v_mov_b32_e32 v8, v28
	v_bfe_u32 v3, v28, 23, 1
	v_mov_b32_e32 v9, v29
; %bb.1889:                             ;   in Loop: Header=BB2_1668 Depth=4
	s_or_b64 exec, exec, s[40:41]
	v_lshrrev_b64 v[8:9], 20, v[8:9]
	v_cmp_gt_i32_e32 vcc, 16, v3
	v_cndmask_b32_e32 v9, 0, v9, vcc
	v_cndmask_b32_e32 v8, 7, v8, vcc
	v_cmp_eq_u32_e32 vcc, 0, v3
	v_min_i32_e32 v3, 15, v3
	v_cmp_eq_u64_e64 s[40:41], 0, v[8:9]
	v_lshlrev_b32_e32 v3, 3, v3
	v_and_b32_e32 v3, 0xf8, v3
	v_and_or_b32 v3, v8, 7, v3
	s_and_b64 s[40:41], vcc, s[40:41]
	v_cndmask_b32_e64 v3, v3, 0, s[40:41]
	v_or_b32_e32 v3, v3, v5
.LBB2_1890:                             ;   in Loop: Header=BB2_1668 Depth=4
	s_or_b64 exec, exec, s[38:39]
                                        ; implicit-def: $vgpr5
.LBB2_1891:                             ;   in Loop: Header=BB2_1668 Depth=4
	s_andn2_saveexec_b64 s[40:41], s[36:37]
; %bb.1892:                             ;   in Loop: Header=BB2_1668 Depth=4
	v_or_b32_e32 v3, 0x7e, v5
; %bb.1893:                             ;   in Loop: Header=BB2_1668 Depth=4
	s_or_b64 exec, exec, s[40:41]
                                        ; implicit-def: $vgpr8
.LBB2_1894:                             ;   in Loop: Header=BB2_1668 Depth=4
	s_andn2_saveexec_b64 s[40:41], s[34:35]
; %bb.1895:                             ;   in Loop: Header=BB2_1668 Depth=4
	v_or_b32_sdwa v3, v8, s85 dst_sel:DWORD dst_unused:UNUSED_PAD src0_sel:BYTE_3 src1_sel:DWORD
; %bb.1896:                             ;   in Loop: Header=BB2_1668 Depth=4
	s_or_b64 exec, exec, s[40:41]
	v_lshrrev_b32_e32 v8, 16, v10
	v_cmp_ne_u16_sdwa vcc, v8, v29 src0_sel:BYTE_0 src1_sel:DWORD
	v_mov_b32_e32 v5, 0
	s_and_saveexec_b64 s[40:41], vcc
	s_cbranch_execz .LBB2_1902
; %bb.1897:                             ;   in Loop: Header=BB2_1668 Depth=4
	v_cmp_ne_u16_sdwa vcc, v8, s87 src0_sel:BYTE_0 src1_sel:DWORD
	v_bfrev_b32_e32 v5, 1
	s_and_saveexec_b64 s[34:35], vcc
	s_cbranch_execz .LBB2_1901
; %bb.1898:                             ;   in Loop: Header=BB2_1668 Depth=4
	v_bfe_u32 v9, v10, 16, 7
	v_cmp_ne_u32_e32 vcc, s85, v9
	v_mov_b32_e32 v5, 0x7f800001
	s_and_saveexec_b64 s[36:37], vcc
	s_cbranch_execz .LBB2_1900
; %bb.1899:                             ;   in Loop: Header=BB2_1668 Depth=4
	v_and_b32_e32 v5, 7, v8
	v_lshrrev_b32_e32 v16, 3, v9
	v_cmp_gt_u32_e32 vcc, 8, v9
	v_ffbh_u32_e32 v9, v5
	v_min_u32_e32 v9, 32, v9
	v_subrev_u32_e32 v18, 28, v9
	v_lshlrev_b64 v[56:57], v18, v[8:9]
	v_sub_u32_e32 v9, 29, v9
	v_and_b32_e32 v18, 7, v56
	v_cndmask_b32_e32 v9, v16, v9, vcc
	v_cndmask_b32_e32 v5, v5, v18, vcc
	v_lshlrev_b32_e32 v8, 24, v8
	v_lshlrev_b32_e32 v5, 20, v5
	v_and_b32_e32 v8, 0x80000000, v8
	v_lshl_add_u32 v9, v9, 23, v17
	v_or3_b32 v5, v8, v9, v5
.LBB2_1900:                             ;   in Loop: Header=BB2_1668 Depth=4
	s_or_b64 exec, exec, s[36:37]
.LBB2_1901:                             ;   in Loop: Header=BB2_1668 Depth=4
	s_or_b64 exec, exec, s[34:35]
.LBB2_1902:                             ;   in Loop: Header=BB2_1668 Depth=4
	s_or_b64 exec, exec, s[40:41]
	v_mul_f32_e32 v8, v6, v5
	v_and_b32_e32 v28, 0x7f800000, v8
	v_cmp_ne_u64_e32 vcc, s[76:77], v[28:29]
                                        ; implicit-def: $vgpr18
	s_and_saveexec_b64 s[40:41], vcc
	s_xor_b64 s[34:35], exec, s[40:41]
	s_cbranch_execz .LBB2_1916
; %bb.1903:                             ;   in Loop: Header=BB2_1668 Depth=4
	v_and_b32_e32 v28, 0x7fffffff, v8
	v_cmp_gt_u64_e32 vcc, s[78:79], v[28:29]
	v_and_b32_sdwa v5, v8, s87 dst_sel:DWORD dst_unused:UNUSED_PAD src0_sel:BYTE_3 src1_sel:DWORD
                                        ; implicit-def: $vgpr18
	s_and_saveexec_b64 s[40:41], vcc
	s_xor_b64 s[36:37], exec, s[40:41]
	s_cbranch_execz .LBB2_1913
; %bb.1904:                             ;   in Loop: Header=BB2_1668 Depth=4
	v_mov_b32_e32 v18, 0
	v_cmp_ne_u32_e32 vcc, 0, v8
	s_and_saveexec_b64 s[38:39], vcc
	s_cbranch_execz .LBB2_1912
; %bb.1905:                             ;   in Loop: Header=BB2_1668 Depth=4
	v_bfe_u32 v16, v8, 23, 8
	v_and_b32_e32 v9, 0x7fffff, v8
	v_cmp_gt_u32_e64 s[40:41], s96, v16
	v_sub_u32_e32 v8, 0x79, v16
	v_cmp_eq_u32_e32 vcc, 0, v16
	v_cndmask_b32_e64 v8, 0, v8, s[40:41]
	v_cndmask_b32_e32 v18, v8, v36, vcc
	v_or_b32_e32 v22, 0x800000, v9
	v_add_u32_e32 v8, 20, v18
	v_cndmask_b32_e32 v28, v22, v9, vcc
	v_lshlrev_b64 v[8:9], v8, -1
	v_add_u32_e32 v22, 19, v18
	v_lshlrev_b64 v[56:57], v22, 1
	v_bfi_b32 v9, v9, 0, 0
	v_bfi_b32 v8, v8, 0, v28
	v_cmp_eq_u64_e64 s[40:41], v[8:9], v[56:57]
	v_lshrrev_b64 v[8:9], v18, v[28:29]
	v_mov_b32_e32 v57, v9
	v_mov_b32_e32 v56, v8
	s_and_saveexec_b64 s[48:49], s[40:41]
; %bb.1906:                             ;   in Loop: Header=BB2_1668 Depth=4
	v_bfe_u32 v9, v8, 20, 1
	v_add_co_u32_e64 v9, s[40:41], v8, v9
	v_add_co_u32_e64 v56, s[40:41], -1, v9
; %bb.1907:                             ;   in Loop: Header=BB2_1668 Depth=4
	s_or_b64 exec, exec, s[48:49]
	v_add_u32_e32 v9, 0xffffff81, v16
	v_cndmask_b32_e32 v9, v9, v37, vcc
	v_lshrrev_b32_e32 v16, 23, v8
	v_add3_u32 v22, v18, v9, v16
	v_add_u32_e32 v18, 6, v22
	v_and_b32_e32 v9, 0xfffff, v56
	v_add_u32_e32 v28, v9, v8
	v_cmp_ne_u32_e32 vcc, 0, v18
                                        ; implicit-def: $vgpr8_vgpr9
                                        ; implicit-def: $vgpr16
	s_and_saveexec_b64 s[40:41], vcc
	s_xor_b64 s[40:41], exec, s[40:41]
; %bb.1908:                             ;   in Loop: Header=BB2_1668 Depth=4
	v_cmp_lt_u64_e32 vcc, s[88:89], v[28:29]
	v_add_u32_e32 v8, 7, v22
	v_cndmask_b32_e32 v16, v18, v8, vcc
	v_cndmask_b32_e64 v8, 0, 1, vcc
	v_lshrrev_b64 v[8:9], v8, v[28:29]
; %bb.1909:                             ;   in Loop: Header=BB2_1668 Depth=4
	s_andn2_saveexec_b64 s[40:41], s[40:41]
; %bb.1910:                             ;   in Loop: Header=BB2_1668 Depth=4
	v_mov_b32_e32 v8, v28
	v_bfe_u32 v16, v28, 23, 1
	v_mov_b32_e32 v9, v29
; %bb.1911:                             ;   in Loop: Header=BB2_1668 Depth=4
	s_or_b64 exec, exec, s[40:41]
	v_lshrrev_b64 v[8:9], 20, v[8:9]
	v_cmp_gt_i32_e32 vcc, 16, v16
	v_cndmask_b32_e32 v9, 0, v9, vcc
	v_cndmask_b32_e32 v8, 7, v8, vcc
	v_cmp_eq_u64_e64 s[40:41], 0, v[8:9]
	v_min_i32_e32 v9, 15, v16
	v_lshlrev_b32_e32 v9, 3, v9
	v_cmp_eq_u32_e32 vcc, 0, v16
	v_and_b32_e32 v9, 0xf8, v9
	v_and_or_b32 v8, v8, 7, v9
	s_and_b64 s[40:41], vcc, s[40:41]
	v_cndmask_b32_e64 v8, v8, 0, s[40:41]
	v_or_b32_e32 v18, v8, v5
.LBB2_1912:                             ;   in Loop: Header=BB2_1668 Depth=4
	s_or_b64 exec, exec, s[38:39]
                                        ; implicit-def: $vgpr5
.LBB2_1913:                             ;   in Loop: Header=BB2_1668 Depth=4
	s_andn2_saveexec_b64 s[40:41], s[36:37]
; %bb.1914:                             ;   in Loop: Header=BB2_1668 Depth=4
	v_or_b32_e32 v18, 0x7e, v5
; %bb.1915:                             ;   in Loop: Header=BB2_1668 Depth=4
	s_or_b64 exec, exec, s[40:41]
                                        ; implicit-def: $vgpr8
.LBB2_1916:                             ;   in Loop: Header=BB2_1668 Depth=4
	s_andn2_saveexec_b64 s[40:41], s[34:35]
; %bb.1917:                             ;   in Loop: Header=BB2_1668 Depth=4
	v_or_b32_sdwa v18, v8, s85 dst_sel:DWORD dst_unused:UNUSED_PAD src0_sel:BYTE_3 src1_sel:DWORD
; %bb.1918:                             ;   in Loop: Header=BB2_1668 Depth=4
	s_or_b64 exec, exec, s[40:41]
	v_cmp_lt_u32_e32 vcc, s57, v10
	v_mov_b32_e32 v5, 0
	s_and_saveexec_b64 s[40:41], vcc
	s_cbranch_execz .LBB2_1924
; %bb.1919:                             ;   in Loop: Header=BB2_1668 Depth=4
	v_lshrrev_b32_e32 v8, 24, v10
	v_cmp_ne_u32_e32 vcc, s87, v8
	v_bfrev_b32_e32 v5, 1
	s_and_saveexec_b64 s[34:35], vcc
	s_cbranch_execz .LBB2_1923
; %bb.1920:                             ;   in Loop: Header=BB2_1668 Depth=4
	v_bfe_u32 v9, v10, 24, 7
	v_cmp_ne_u32_e32 vcc, s85, v9
	v_mov_b32_e32 v5, 0x7f800001
	s_and_saveexec_b64 s[36:37], vcc
	s_cbranch_execz .LBB2_1922
; %bb.1921:                             ;   in Loop: Header=BB2_1668 Depth=4
	v_and_b32_e32 v5, 7, v8
	v_lshrrev_b32_e32 v16, 3, v9
	v_cmp_gt_u32_e32 vcc, 8, v9
	v_ffbh_u32_e32 v9, v5
	v_min_u32_e32 v9, 32, v9
	v_subrev_u32_e32 v22, 28, v9
	v_lshlrev_b64 v[56:57], v22, v[8:9]
	v_sub_u32_e32 v9, 29, v9
	v_and_b32_e32 v22, 7, v56
	v_cndmask_b32_e32 v9, v16, v9, vcc
	v_cndmask_b32_e32 v5, v5, v22, vcc
	v_lshlrev_b32_e32 v8, 24, v8
	v_lshlrev_b32_e32 v5, 20, v5
	v_and_b32_e32 v8, 0x80000000, v8
	v_lshl_add_u32 v9, v9, 23, v17
	v_or3_b32 v5, v8, v9, v5
.LBB2_1922:                             ;   in Loop: Header=BB2_1668 Depth=4
	s_or_b64 exec, exec, s[36:37]
.LBB2_1923:                             ;   in Loop: Header=BB2_1668 Depth=4
	s_or_b64 exec, exec, s[34:35]
.LBB2_1924:                             ;   in Loop: Header=BB2_1668 Depth=4
	s_or_b64 exec, exec, s[40:41]
	v_mul_f32_e32 v8, v6, v5
	v_and_b32_e32 v28, 0x7f800000, v8
	v_cmp_ne_u64_e32 vcc, s[76:77], v[28:29]
                                        ; implicit-def: $vgpr22
	s_and_saveexec_b64 s[40:41], vcc
	s_xor_b64 s[34:35], exec, s[40:41]
	s_cbranch_execz .LBB2_1938
; %bb.1925:                             ;   in Loop: Header=BB2_1668 Depth=4
	v_and_b32_e32 v28, 0x7fffffff, v8
	v_cmp_gt_u64_e32 vcc, s[78:79], v[28:29]
	v_and_b32_sdwa v5, v8, s87 dst_sel:DWORD dst_unused:UNUSED_PAD src0_sel:BYTE_3 src1_sel:DWORD
                                        ; implicit-def: $vgpr22
	s_and_saveexec_b64 s[40:41], vcc
	s_xor_b64 s[36:37], exec, s[40:41]
	s_cbranch_execz .LBB2_1935
; %bb.1926:                             ;   in Loop: Header=BB2_1668 Depth=4
	v_mov_b32_e32 v22, 0
	v_cmp_ne_u32_e32 vcc, 0, v8
	s_and_saveexec_b64 s[38:39], vcc
	s_cbranch_execz .LBB2_1934
; %bb.1927:                             ;   in Loop: Header=BB2_1668 Depth=4
	v_bfe_u32 v16, v8, 23, 8
	v_and_b32_e32 v9, 0x7fffff, v8
	v_cmp_gt_u32_e64 s[40:41], s96, v16
	v_sub_u32_e32 v8, 0x79, v16
	v_cmp_eq_u32_e32 vcc, 0, v16
	v_cndmask_b32_e64 v8, 0, v8, s[40:41]
	v_cndmask_b32_e32 v22, v8, v36, vcc
	v_or_b32_e32 v24, 0x800000, v9
	v_add_u32_e32 v8, 20, v22
	v_cndmask_b32_e32 v28, v24, v9, vcc
	v_lshlrev_b64 v[8:9], v8, -1
	v_add_u32_e32 v24, 19, v22
	v_lshlrev_b64 v[56:57], v24, 1
	v_bfi_b32 v9, v9, 0, 0
	v_bfi_b32 v8, v8, 0, v28
	v_cmp_eq_u64_e64 s[40:41], v[8:9], v[56:57]
	v_lshrrev_b64 v[8:9], v22, v[28:29]
	v_mov_b32_e32 v57, v9
	v_mov_b32_e32 v56, v8
	s_and_saveexec_b64 s[48:49], s[40:41]
; %bb.1928:                             ;   in Loop: Header=BB2_1668 Depth=4
	v_bfe_u32 v9, v8, 20, 1
	v_add_co_u32_e64 v9, s[40:41], v8, v9
	v_add_co_u32_e64 v56, s[40:41], -1, v9
; %bb.1929:                             ;   in Loop: Header=BB2_1668 Depth=4
	s_or_b64 exec, exec, s[48:49]
	v_add_u32_e32 v9, 0xffffff81, v16
	v_cndmask_b32_e32 v9, v9, v37, vcc
	v_lshrrev_b32_e32 v16, 23, v8
	v_add3_u32 v24, v22, v9, v16
	v_add_u32_e32 v22, 6, v24
	v_and_b32_e32 v9, 0xfffff, v56
	v_add_u32_e32 v28, v9, v8
	v_cmp_ne_u32_e32 vcc, 0, v22
                                        ; implicit-def: $vgpr8_vgpr9
                                        ; implicit-def: $vgpr16
	s_and_saveexec_b64 s[40:41], vcc
	s_xor_b64 s[40:41], exec, s[40:41]
; %bb.1930:                             ;   in Loop: Header=BB2_1668 Depth=4
	v_cmp_lt_u64_e32 vcc, s[88:89], v[28:29]
	v_add_u32_e32 v8, 7, v24
	v_cndmask_b32_e32 v16, v22, v8, vcc
	v_cndmask_b32_e64 v8, 0, 1, vcc
	v_lshrrev_b64 v[8:9], v8, v[28:29]
; %bb.1931:                             ;   in Loop: Header=BB2_1668 Depth=4
	s_andn2_saveexec_b64 s[40:41], s[40:41]
; %bb.1932:                             ;   in Loop: Header=BB2_1668 Depth=4
	v_mov_b32_e32 v8, v28
	v_bfe_u32 v16, v28, 23, 1
	v_mov_b32_e32 v9, v29
; %bb.1933:                             ;   in Loop: Header=BB2_1668 Depth=4
	s_or_b64 exec, exec, s[40:41]
	v_lshrrev_b64 v[8:9], 20, v[8:9]
	v_cmp_gt_i32_e32 vcc, 16, v16
	v_cndmask_b32_e32 v9, 0, v9, vcc
	v_cndmask_b32_e32 v8, 7, v8, vcc
	v_cmp_eq_u64_e64 s[40:41], 0, v[8:9]
	v_min_i32_e32 v9, 15, v16
	v_lshlrev_b32_e32 v9, 3, v9
	v_cmp_eq_u32_e32 vcc, 0, v16
	v_and_b32_e32 v9, 0xf8, v9
	v_and_or_b32 v8, v8, 7, v9
	s_and_b64 s[40:41], vcc, s[40:41]
	v_cndmask_b32_e64 v8, v8, 0, s[40:41]
	v_or_b32_e32 v22, v8, v5
.LBB2_1934:                             ;   in Loop: Header=BB2_1668 Depth=4
	s_or_b64 exec, exec, s[38:39]
                                        ; implicit-def: $vgpr5
.LBB2_1935:                             ;   in Loop: Header=BB2_1668 Depth=4
	s_andn2_saveexec_b64 s[40:41], s[36:37]
; %bb.1936:                             ;   in Loop: Header=BB2_1668 Depth=4
	v_or_b32_e32 v22, 0x7e, v5
; %bb.1937:                             ;   in Loop: Header=BB2_1668 Depth=4
	s_or_b64 exec, exec, s[40:41]
                                        ; implicit-def: $vgpr8
.LBB2_1938:                             ;   in Loop: Header=BB2_1668 Depth=4
	s_andn2_saveexec_b64 s[40:41], s[34:35]
; %bb.1939:                             ;   in Loop: Header=BB2_1668 Depth=4
	v_or_b32_sdwa v22, v8, s85 dst_sel:DWORD dst_unused:UNUSED_PAD src0_sel:BYTE_3 src1_sel:DWORD
; %bb.1940:                             ;   in Loop: Header=BB2_1668 Depth=4
	s_or_b64 exec, exec, s[40:41]
	v_mov_b32_e32 v28, v11
	v_cmp_ne_u16_sdwa vcc, v11, v29 src0_sel:BYTE_0 src1_sel:DWORD
	v_mov_b32_e32 v5, 0
	s_and_saveexec_b64 s[40:41], vcc
	s_cbranch_execz .LBB2_1946
; %bb.1941:                             ;   in Loop: Header=BB2_1668 Depth=4
	v_cmp_ne_u16_sdwa vcc, v11, s87 src0_sel:BYTE_0 src1_sel:DWORD
	v_bfrev_b32_e32 v5, 1
	s_and_saveexec_b64 s[34:35], vcc
	s_cbranch_execz .LBB2_1945
; %bb.1942:                             ;   in Loop: Header=BB2_1668 Depth=4
	v_and_b32_e32 v8, 0x7f, v11
	v_cmp_ne_u32_e32 vcc, s85, v8
	v_mov_b32_e32 v5, 0x7f800001
	s_and_saveexec_b64 s[36:37], vcc
	s_cbranch_execz .LBB2_1944
; %bb.1943:                             ;   in Loop: Header=BB2_1668 Depth=4
	v_and_b32_e32 v5, 7, v11
	v_ffbh_u32_e32 v5, v5
	v_min_u32_e32 v5, 32, v5
	v_lshrrev_b32_e32 v9, 3, v8
	v_cmp_gt_u32_e32 vcc, 8, v8
	v_subrev_u32_e32 v8, 28, v5
	v_sub_u32_e32 v5, 29, v5
	v_cndmask_b32_e32 v8, 0, v8, vcc
	v_cndmask_b32_e32 v5, v9, v5, vcc
	v_lshlrev_b64 v[8:9], v8, v[28:29]
	v_lshlrev_b32_e32 v9, 24, v28
	v_lshlrev_b32_e32 v8, 20, v8
	v_and_b32_e32 v8, 0x700000, v8
	v_and_b32_e32 v9, 0x80000000, v9
	v_lshl_add_u32 v5, v5, 23, v17
	v_or3_b32 v5, v9, v5, v8
.LBB2_1944:                             ;   in Loop: Header=BB2_1668 Depth=4
	s_or_b64 exec, exec, s[36:37]
.LBB2_1945:                             ;   in Loop: Header=BB2_1668 Depth=4
	s_or_b64 exec, exec, s[34:35]
.LBB2_1946:                             ;   in Loop: Header=BB2_1668 Depth=4
	s_or_b64 exec, exec, s[40:41]
	v_mul_f32_e32 v8, v6, v5
	v_and_b32_e32 v56, 0x7f800000, v8
	v_mov_b32_e32 v57, v29
	v_cmp_ne_u64_e32 vcc, s[76:77], v[56:57]
                                        ; implicit-def: $vgpr24
	s_and_saveexec_b64 s[40:41], vcc
	s_xor_b64 s[34:35], exec, s[40:41]
	s_cbranch_execz .LBB2_1960
; %bb.1947:                             ;   in Loop: Header=BB2_1668 Depth=4
	v_and_b32_e32 v56, 0x7fffffff, v8
	v_mov_b32_e32 v57, v29
	v_cmp_gt_u64_e32 vcc, s[78:79], v[56:57]
	v_and_b32_sdwa v5, v8, s87 dst_sel:DWORD dst_unused:UNUSED_PAD src0_sel:BYTE_3 src1_sel:DWORD
                                        ; implicit-def: $vgpr24
	s_and_saveexec_b64 s[40:41], vcc
	s_xor_b64 s[36:37], exec, s[40:41]
	s_cbranch_execz .LBB2_1957
; %bb.1948:                             ;   in Loop: Header=BB2_1668 Depth=4
	v_mov_b32_e32 v24, 0
	v_cmp_ne_u32_e32 vcc, 0, v8
	s_and_saveexec_b64 s[38:39], vcc
	s_cbranch_execz .LBB2_1956
; %bb.1949:                             ;   in Loop: Header=BB2_1668 Depth=4
	v_bfe_u32 v16, v8, 23, 8
	v_and_b32_e32 v9, 0x7fffff, v8
	v_cmp_gt_u32_e64 s[40:41], s96, v16
	v_sub_u32_e32 v8, 0x79, v16
	v_cmp_eq_u32_e32 vcc, 0, v16
	v_cndmask_b32_e64 v8, 0, v8, s[40:41]
	v_or_b32_e32 v30, 0x800000, v9
	v_cndmask_b32_e32 v24, v8, v36, vcc
	v_cndmask_b32_e32 v8, v30, v9, vcc
	v_add_u32_e32 v30, 20, v24
	v_lshlrev_b64 v[56:57], v30, -1
	v_mov_b32_e32 v9, v29
	v_add_u32_e32 v30, 19, v24
	v_bfi_b32 v56, v56, 0, v8
	v_lshlrev_b64 v[53:54], v30, 1
	v_lshrrev_b64 v[8:9], v24, v[8:9]
	v_bfi_b32 v57, v57, 0, 0
	v_cmp_eq_u64_e64 s[40:41], v[56:57], v[53:54]
	v_mov_b32_e32 v57, v9
	v_mov_b32_e32 v56, v8
	s_and_saveexec_b64 s[48:49], s[40:41]
; %bb.1950:                             ;   in Loop: Header=BB2_1668 Depth=4
	v_bfe_u32 v9, v8, 20, 1
	v_add_co_u32_e64 v9, s[40:41], v8, v9
	v_add_co_u32_e64 v56, s[40:41], -1, v9
; %bb.1951:                             ;   in Loop: Header=BB2_1668 Depth=4
	s_or_b64 exec, exec, s[48:49]
	v_add_u32_e32 v9, 0xffffff81, v16
	v_cndmask_b32_e32 v9, v9, v37, vcc
	v_lshrrev_b32_e32 v16, 23, v8
	v_add3_u32 v30, v24, v9, v16
	v_add_u32_e32 v24, 6, v30
	v_and_b32_e32 v9, 0xfffff, v56
	v_add_u32_e32 v8, v9, v8
	v_mov_b32_e32 v9, v29
	v_cmp_ne_u32_e32 vcc, 0, v24
                                        ; implicit-def: $vgpr16
	s_and_saveexec_b64 s[40:41], vcc
	s_xor_b64 s[40:41], exec, s[40:41]
; %bb.1952:                             ;   in Loop: Header=BB2_1668 Depth=4
	v_cmp_lt_u64_e32 vcc, s[88:89], v[8:9]
	v_add_u32_e32 v16, 7, v30
	v_cndmask_b32_e32 v16, v24, v16, vcc
	v_cndmask_b32_e64 v24, 0, 1, vcc
	v_lshrrev_b64 v[8:9], v24, v[8:9]
; %bb.1953:                             ;   in Loop: Header=BB2_1668 Depth=4
	s_andn2_saveexec_b64 s[40:41], s[40:41]
; %bb.1954:                             ;   in Loop: Header=BB2_1668 Depth=4
	v_bfe_u32 v16, v8, 23, 1
; %bb.1955:                             ;   in Loop: Header=BB2_1668 Depth=4
	s_or_b64 exec, exec, s[40:41]
	v_lshrrev_b64 v[8:9], 20, v[8:9]
	v_cmp_gt_i32_e32 vcc, 16, v16
	v_cndmask_b32_e32 v9, 0, v9, vcc
	v_cndmask_b32_e32 v8, 7, v8, vcc
	v_cmp_eq_u64_e64 s[40:41], 0, v[8:9]
	v_min_i32_e32 v9, 15, v16
	v_lshlrev_b32_e32 v9, 3, v9
	v_cmp_eq_u32_e32 vcc, 0, v16
	v_and_b32_e32 v9, 0xf8, v9
	v_and_or_b32 v8, v8, 7, v9
	s_and_b64 s[40:41], vcc, s[40:41]
	v_cndmask_b32_e64 v8, v8, 0, s[40:41]
	v_or_b32_e32 v24, v8, v5
.LBB2_1956:                             ;   in Loop: Header=BB2_1668 Depth=4
	s_or_b64 exec, exec, s[38:39]
                                        ; implicit-def: $vgpr5
.LBB2_1957:                             ;   in Loop: Header=BB2_1668 Depth=4
	s_andn2_saveexec_b64 s[40:41], s[36:37]
; %bb.1958:                             ;   in Loop: Header=BB2_1668 Depth=4
	v_or_b32_e32 v24, 0x7e, v5
; %bb.1959:                             ;   in Loop: Header=BB2_1668 Depth=4
	s_or_b64 exec, exec, s[40:41]
                                        ; implicit-def: $vgpr8
.LBB2_1960:                             ;   in Loop: Header=BB2_1668 Depth=4
	s_andn2_saveexec_b64 s[40:41], s[34:35]
; %bb.1961:                             ;   in Loop: Header=BB2_1668 Depth=4
	v_or_b32_sdwa v24, v8, s85 dst_sel:DWORD dst_unused:UNUSED_PAD src0_sel:BYTE_3 src1_sel:DWORD
; %bb.1962:                             ;   in Loop: Header=BB2_1668 Depth=4
	s_or_b64 exec, exec, s[40:41]
	v_lshrrev_b16_e32 v8, 8, v28
	v_cmp_ne_u16_e32 vcc, 0, v8
	v_mov_b32_e32 v5, 0
	s_and_saveexec_b64 s[40:41], vcc
	s_cbranch_execz .LBB2_1968
; %bb.1963:                             ;   in Loop: Header=BB2_1668 Depth=4
	v_cmp_ne_u16_e32 vcc, s87, v8
	v_bfrev_b32_e32 v5, 1
	s_and_saveexec_b64 s[34:35], vcc
	s_cbranch_execz .LBB2_1967
; %bb.1964:                             ;   in Loop: Header=BB2_1668 Depth=4
	v_and_b32_e32 v9, 0x7f, v8
	v_cmp_ne_u32_e32 vcc, s85, v9
	v_mov_b32_e32 v5, 0x7f800001
	s_and_saveexec_b64 s[36:37], vcc
	s_cbranch_execz .LBB2_1966
; %bb.1965:                             ;   in Loop: Header=BB2_1668 Depth=4
	v_and_b32_e32 v5, 7, v8
	v_lshrrev_b32_e32 v16, 3, v9
	v_cmp_gt_u32_e32 vcc, 8, v9
	v_ffbh_u32_e32 v9, v5
	v_min_u32_e32 v30, 32, v9
	v_subrev_u32_e32 v9, 28, v30
	v_lshlrev_b64 v[8:9], v9, v[8:9]
	v_sub_u32_e32 v9, 29, v30
	v_and_b32_e32 v8, 7, v8
	v_cndmask_b32_e32 v9, v16, v9, vcc
	v_cndmask_b32_e32 v5, v5, v8, vcc
	v_lshlrev_b32_e32 v8, 16, v28
	v_lshlrev_b32_e32 v5, 20, v5
	v_and_b32_e32 v8, 0x80000000, v8
	v_lshl_add_u32 v9, v9, 23, v17
	v_or3_b32 v5, v8, v9, v5
.LBB2_1966:                             ;   in Loop: Header=BB2_1668 Depth=4
	s_or_b64 exec, exec, s[36:37]
.LBB2_1967:                             ;   in Loop: Header=BB2_1668 Depth=4
	s_or_b64 exec, exec, s[34:35]
.LBB2_1968:                             ;   in Loop: Header=BB2_1668 Depth=4
	s_or_b64 exec, exec, s[40:41]
	v_mul_f32_e32 v8, v6, v5
	v_and_b32_e32 v28, 0x7f800000, v8
	v_cmp_ne_u64_e32 vcc, s[76:77], v[28:29]
                                        ; implicit-def: $vgpr16
	s_and_saveexec_b64 s[40:41], vcc
	s_xor_b64 s[34:35], exec, s[40:41]
	s_cbranch_execz .LBB2_1982
; %bb.1969:                             ;   in Loop: Header=BB2_1668 Depth=4
	v_and_b32_e32 v28, 0x7fffffff, v8
	v_cmp_gt_u64_e32 vcc, s[78:79], v[28:29]
	v_and_b32_sdwa v5, v8, s87 dst_sel:DWORD dst_unused:UNUSED_PAD src0_sel:BYTE_3 src1_sel:DWORD
                                        ; implicit-def: $vgpr16
	s_and_saveexec_b64 s[40:41], vcc
	s_xor_b64 s[36:37], exec, s[40:41]
	s_cbranch_execz .LBB2_1979
; %bb.1970:                             ;   in Loop: Header=BB2_1668 Depth=4
	v_mov_b32_e32 v16, 0
	v_cmp_ne_u32_e32 vcc, 0, v8
	s_and_saveexec_b64 s[38:39], vcc
	s_cbranch_execz .LBB2_1978
; %bb.1971:                             ;   in Loop: Header=BB2_1668 Depth=4
	v_bfe_u32 v16, v8, 23, 8
	v_and_b32_e32 v9, 0x7fffff, v8
	v_cmp_gt_u32_e64 s[40:41], s96, v16
	v_sub_u32_e32 v8, 0x79, v16
	v_cmp_eq_u32_e32 vcc, 0, v16
	v_cndmask_b32_e64 v8, 0, v8, s[40:41]
	v_cndmask_b32_e32 v30, v8, v36, vcc
	v_or_b32_e32 v28, 0x800000, v9
	v_add_u32_e32 v8, 20, v30
	v_cndmask_b32_e32 v28, v28, v9, vcc
	v_lshlrev_b64 v[8:9], v8, -1
	v_add_u32_e32 v34, 19, v30
	v_lshlrev_b64 v[53:54], v34, 1
	v_bfi_b32 v9, v9, 0, 0
	v_bfi_b32 v8, v8, 0, v28
	v_cmp_eq_u64_e64 s[40:41], v[8:9], v[53:54]
	v_lshrrev_b64 v[8:9], v30, v[28:29]
	v_mov_b32_e32 v57, v9
	v_mov_b32_e32 v56, v8
	s_and_saveexec_b64 s[48:49], s[40:41]
; %bb.1972:                             ;   in Loop: Header=BB2_1668 Depth=4
	v_bfe_u32 v9, v8, 20, 1
	v_add_co_u32_e64 v9, s[40:41], v8, v9
	v_add_co_u32_e64 v56, s[40:41], -1, v9
; %bb.1973:                             ;   in Loop: Header=BB2_1668 Depth=4
	s_or_b64 exec, exec, s[48:49]
	v_add_u32_e32 v9, 0xffffff81, v16
	v_cndmask_b32_e32 v9, v9, v37, vcc
	v_lshrrev_b32_e32 v16, 23, v8
	v_add3_u32 v34, v30, v9, v16
	v_add_u32_e32 v30, 6, v34
	v_and_b32_e32 v9, 0xfffff, v56
	v_add_u32_e32 v28, v9, v8
	v_cmp_ne_u32_e32 vcc, 0, v30
                                        ; implicit-def: $vgpr8_vgpr9
                                        ; implicit-def: $vgpr16
	s_and_saveexec_b64 s[40:41], vcc
	s_xor_b64 s[40:41], exec, s[40:41]
; %bb.1974:                             ;   in Loop: Header=BB2_1668 Depth=4
	v_cmp_lt_u64_e32 vcc, s[88:89], v[28:29]
	v_add_u32_e32 v8, 7, v34
	v_cndmask_b32_e32 v16, v30, v8, vcc
	v_cndmask_b32_e64 v8, 0, 1, vcc
	v_lshrrev_b64 v[8:9], v8, v[28:29]
; %bb.1975:                             ;   in Loop: Header=BB2_1668 Depth=4
	s_andn2_saveexec_b64 s[40:41], s[40:41]
; %bb.1976:                             ;   in Loop: Header=BB2_1668 Depth=4
	v_mov_b32_e32 v8, v28
	v_bfe_u32 v16, v28, 23, 1
	v_mov_b32_e32 v9, v29
; %bb.1977:                             ;   in Loop: Header=BB2_1668 Depth=4
	s_or_b64 exec, exec, s[40:41]
	v_lshrrev_b64 v[8:9], 20, v[8:9]
	v_cmp_gt_i32_e32 vcc, 16, v16
	v_cndmask_b32_e32 v9, 0, v9, vcc
	v_cndmask_b32_e32 v8, 7, v8, vcc
	v_cmp_eq_u64_e64 s[40:41], 0, v[8:9]
	v_min_i32_e32 v9, 15, v16
	v_lshlrev_b32_e32 v9, 3, v9
	v_cmp_eq_u32_e32 vcc, 0, v16
	v_and_b32_e32 v9, 0xf8, v9
	v_and_or_b32 v8, v8, 7, v9
	s_and_b64 s[40:41], vcc, s[40:41]
	v_cndmask_b32_e64 v8, v8, 0, s[40:41]
	v_or_b32_e32 v16, v8, v5
.LBB2_1978:                             ;   in Loop: Header=BB2_1668 Depth=4
	s_or_b64 exec, exec, s[38:39]
                                        ; implicit-def: $vgpr5
.LBB2_1979:                             ;   in Loop: Header=BB2_1668 Depth=4
	s_andn2_saveexec_b64 s[40:41], s[36:37]
; %bb.1980:                             ;   in Loop: Header=BB2_1668 Depth=4
	v_or_b32_e32 v16, 0x7e, v5
; %bb.1981:                             ;   in Loop: Header=BB2_1668 Depth=4
	s_or_b64 exec, exec, s[40:41]
                                        ; implicit-def: $vgpr8
.LBB2_1982:                             ;   in Loop: Header=BB2_1668 Depth=4
	s_andn2_saveexec_b64 s[40:41], s[34:35]
; %bb.1983:                             ;   in Loop: Header=BB2_1668 Depth=4
	v_or_b32_sdwa v16, v8, s85 dst_sel:DWORD dst_unused:UNUSED_PAD src0_sel:BYTE_3 src1_sel:DWORD
; %bb.1984:                             ;   in Loop: Header=BB2_1668 Depth=4
	s_or_b64 exec, exec, s[40:41]
	v_lshrrev_b32_e32 v8, 16, v11
	v_cmp_ne_u16_sdwa vcc, v8, v29 src0_sel:BYTE_0 src1_sel:DWORD
	v_mov_b32_e32 v5, 0
	s_and_saveexec_b64 s[40:41], vcc
	s_cbranch_execz .LBB2_1990
; %bb.1985:                             ;   in Loop: Header=BB2_1668 Depth=4
	v_cmp_ne_u16_sdwa vcc, v8, s87 src0_sel:BYTE_0 src1_sel:DWORD
	v_bfrev_b32_e32 v5, 1
	s_and_saveexec_b64 s[34:35], vcc
	s_cbranch_execz .LBB2_1989
; %bb.1986:                             ;   in Loop: Header=BB2_1668 Depth=4
	v_bfe_u32 v9, v11, 16, 7
	v_cmp_ne_u32_e32 vcc, s85, v9
	v_mov_b32_e32 v5, 0x7f800001
	s_and_saveexec_b64 s[36:37], vcc
	s_cbranch_execz .LBB2_1988
; %bb.1987:                             ;   in Loop: Header=BB2_1668 Depth=4
	v_and_b32_e32 v5, 7, v8
	v_lshrrev_b32_e32 v28, 3, v9
	v_cmp_gt_u32_e32 vcc, 8, v9
	v_ffbh_u32_e32 v9, v5
	v_min_u32_e32 v9, 32, v9
	v_subrev_u32_e32 v30, 28, v9
	v_lshlrev_b64 v[53:54], v30, v[8:9]
	v_sub_u32_e32 v9, 29, v9
	v_and_b32_e32 v30, 7, v53
	v_cndmask_b32_e32 v9, v28, v9, vcc
	v_cndmask_b32_e32 v5, v5, v30, vcc
	v_lshlrev_b32_e32 v8, 24, v8
	v_lshlrev_b32_e32 v5, 20, v5
	v_and_b32_e32 v8, 0x80000000, v8
	v_lshl_add_u32 v9, v9, 23, v17
	v_or3_b32 v5, v8, v9, v5
.LBB2_1988:                             ;   in Loop: Header=BB2_1668 Depth=4
	s_or_b64 exec, exec, s[36:37]
.LBB2_1989:                             ;   in Loop: Header=BB2_1668 Depth=4
	s_or_b64 exec, exec, s[34:35]
.LBB2_1990:                             ;   in Loop: Header=BB2_1668 Depth=4
	s_or_b64 exec, exec, s[40:41]
	v_mul_f32_e32 v8, v6, v5
	v_and_b32_e32 v28, 0x7f800000, v8
	v_cmp_ne_u64_e32 vcc, s[76:77], v[28:29]
                                        ; implicit-def: $vgpr5
	s_and_saveexec_b64 s[40:41], vcc
	s_xor_b64 s[34:35], exec, s[40:41]
	s_cbranch_execz .LBB2_2004
; %bb.1991:                             ;   in Loop: Header=BB2_1668 Depth=4
	v_and_b32_e32 v28, 0x7fffffff, v8
	v_cmp_gt_u64_e32 vcc, s[78:79], v[28:29]
	v_and_b32_sdwa v30, v8, s87 dst_sel:DWORD dst_unused:UNUSED_PAD src0_sel:BYTE_3 src1_sel:DWORD
                                        ; implicit-def: $vgpr5
	s_and_saveexec_b64 s[40:41], vcc
	s_xor_b64 s[36:37], exec, s[40:41]
	s_cbranch_execz .LBB2_2001
; %bb.1992:                             ;   in Loop: Header=BB2_1668 Depth=4
	v_mov_b32_e32 v5, 0
	v_cmp_ne_u32_e32 vcc, 0, v8
	s_and_saveexec_b64 s[38:39], vcc
	s_cbranch_execz .LBB2_2000
; %bb.1993:                             ;   in Loop: Header=BB2_1668 Depth=4
	v_bfe_u32 v5, v8, 23, 8
	v_and_b32_e32 v9, 0x7fffff, v8
	v_cmp_gt_u32_e64 s[40:41], s96, v5
	v_sub_u32_e32 v8, 0x79, v5
	v_cmp_eq_u32_e32 vcc, 0, v5
	v_cndmask_b32_e64 v8, 0, v8, s[40:41]
	v_cndmask_b32_e32 v34, v8, v36, vcc
	v_or_b32_e32 v28, 0x800000, v9
	v_add_u32_e32 v8, 20, v34
	v_cndmask_b32_e32 v28, v28, v9, vcc
	v_lshlrev_b64 v[8:9], v8, -1
	v_add_u32_e32 v53, 19, v34
	v_lshlrev_b64 v[53:54], v53, 1
	v_bfi_b32 v9, v9, 0, 0
	v_bfi_b32 v8, v8, 0, v28
	v_cmp_eq_u64_e64 s[40:41], v[8:9], v[53:54]
	v_lshrrev_b64 v[8:9], v34, v[28:29]
	v_mov_b32_e32 v57, v9
	v_mov_b32_e32 v56, v8
	s_and_saveexec_b64 s[48:49], s[40:41]
; %bb.1994:                             ;   in Loop: Header=BB2_1668 Depth=4
	v_bfe_u32 v9, v8, 20, 1
	v_add_co_u32_e64 v9, s[40:41], v8, v9
	v_add_co_u32_e64 v56, s[40:41], -1, v9
; %bb.1995:                             ;   in Loop: Header=BB2_1668 Depth=4
	s_or_b64 exec, exec, s[48:49]
	v_add_u32_e32 v5, 0xffffff81, v5
	v_cndmask_b32_e32 v5, v5, v37, vcc
	v_lshrrev_b32_e32 v9, 23, v8
	v_add3_u32 v53, v34, v5, v9
	v_add_u32_e32 v34, 6, v53
	v_and_b32_e32 v5, 0xfffff, v56
	v_add_u32_e32 v28, v5, v8
	v_cmp_ne_u32_e32 vcc, 0, v34
                                        ; implicit-def: $vgpr8_vgpr9
                                        ; implicit-def: $vgpr5
	s_and_saveexec_b64 s[40:41], vcc
	s_xor_b64 s[40:41], exec, s[40:41]
; %bb.1996:                             ;   in Loop: Header=BB2_1668 Depth=4
	v_cmp_lt_u64_e32 vcc, s[88:89], v[28:29]
	v_add_u32_e32 v5, 7, v53
	v_cndmask_b32_e64 v8, 0, 1, vcc
	v_cndmask_b32_e32 v5, v34, v5, vcc
	v_lshrrev_b64 v[8:9], v8, v[28:29]
; %bb.1997:                             ;   in Loop: Header=BB2_1668 Depth=4
	s_andn2_saveexec_b64 s[40:41], s[40:41]
; %bb.1998:                             ;   in Loop: Header=BB2_1668 Depth=4
	v_mov_b32_e32 v8, v28
	v_bfe_u32 v5, v28, 23, 1
	v_mov_b32_e32 v9, v29
; %bb.1999:                             ;   in Loop: Header=BB2_1668 Depth=4
	s_or_b64 exec, exec, s[40:41]
	v_lshrrev_b64 v[8:9], 20, v[8:9]
	v_cmp_gt_i32_e32 vcc, 16, v5
	v_cndmask_b32_e32 v9, 0, v9, vcc
	v_cndmask_b32_e32 v8, 7, v8, vcc
	v_cmp_eq_u32_e32 vcc, 0, v5
	v_min_i32_e32 v5, 15, v5
	v_cmp_eq_u64_e64 s[40:41], 0, v[8:9]
	v_lshlrev_b32_e32 v5, 3, v5
	v_and_b32_e32 v5, 0xf8, v5
	v_and_or_b32 v5, v8, 7, v5
	s_and_b64 s[40:41], vcc, s[40:41]
	v_cndmask_b32_e64 v5, v5, 0, s[40:41]
	v_or_b32_e32 v5, v5, v30
.LBB2_2000:                             ;   in Loop: Header=BB2_1668 Depth=4
	s_or_b64 exec, exec, s[38:39]
                                        ; implicit-def: $vgpr30
.LBB2_2001:                             ;   in Loop: Header=BB2_1668 Depth=4
	s_andn2_saveexec_b64 s[40:41], s[36:37]
; %bb.2002:                             ;   in Loop: Header=BB2_1668 Depth=4
	v_or_b32_e32 v5, 0x7e, v30
; %bb.2003:                             ;   in Loop: Header=BB2_1668 Depth=4
	s_or_b64 exec, exec, s[40:41]
                                        ; implicit-def: $vgpr8
.LBB2_2004:                             ;   in Loop: Header=BB2_1668 Depth=4
	s_andn2_saveexec_b64 s[40:41], s[34:35]
; %bb.2005:                             ;   in Loop: Header=BB2_1668 Depth=4
	v_or_b32_sdwa v5, v8, s85 dst_sel:DWORD dst_unused:UNUSED_PAD src0_sel:BYTE_3 src1_sel:DWORD
; %bb.2006:                             ;   in Loop: Header=BB2_1668 Depth=4
	s_or_b64 exec, exec, s[40:41]
	v_cmp_lt_u64_e32 vcc, s[56:57], v[10:11]
	v_mov_b32_e32 v9, 0
	s_and_saveexec_b64 s[40:41], vcc
	s_cbranch_execz .LBB2_2012
; %bb.2007:                             ;   in Loop: Header=BB2_1668 Depth=4
	v_lshrrev_b32_e32 v8, 24, v11
	v_cmp_ne_u32_e32 vcc, s87, v8
	v_bfrev_b32_e32 v9, 1
	s_and_saveexec_b64 s[34:35], vcc
	s_cbranch_execz .LBB2_2011
; %bb.2008:                             ;   in Loop: Header=BB2_1668 Depth=4
	v_bfe_u32 v10, v11, 24, 7
	v_cmp_ne_u32_e32 vcc, s85, v10
	v_mov_b32_e32 v9, 0x7f800001
	s_and_saveexec_b64 s[36:37], vcc
	s_cbranch_execz .LBB2_2010
; %bb.2009:                             ;   in Loop: Header=BB2_1668 Depth=4
	v_and_b32_e32 v11, 7, v8
	v_ffbh_u32_e32 v9, v11
	v_min_u32_e32 v30, 32, v9
	v_subrev_u32_e32 v9, 28, v30
	v_lshrrev_b32_e32 v28, 3, v10
	v_cmp_gt_u32_e32 vcc, 8, v10
	v_lshlrev_b64 v[9:10], v9, v[8:9]
	v_sub_u32_e32 v10, 29, v30
	v_and_b32_e32 v9, 7, v9
	v_cndmask_b32_e32 v10, v28, v10, vcc
	v_cndmask_b32_e32 v9, v11, v9, vcc
	v_lshlrev_b32_e32 v8, 24, v8
	v_lshlrev_b32_e32 v9, 20, v9
	v_and_b32_e32 v8, 0x80000000, v8
	v_lshl_add_u32 v10, v10, 23, v17
	v_or3_b32 v9, v8, v10, v9
.LBB2_2010:                             ;   in Loop: Header=BB2_1668 Depth=4
	s_or_b64 exec, exec, s[36:37]
.LBB2_2011:                             ;   in Loop: Header=BB2_1668 Depth=4
	s_or_b64 exec, exec, s[34:35]
.LBB2_2012:                             ;   in Loop: Header=BB2_1668 Depth=4
	s_or_b64 exec, exec, s[40:41]
	v_mul_f32_e32 v8, v6, v9
	v_and_b32_e32 v28, 0x7f800000, v8
	v_cmp_ne_u64_e32 vcc, s[76:77], v[28:29]
                                        ; implicit-def: $vgpr34
	s_and_saveexec_b64 s[40:41], vcc
	s_xor_b64 s[34:35], exec, s[40:41]
	s_cbranch_execz .LBB2_2026
; %bb.2013:                             ;   in Loop: Header=BB2_1668 Depth=4
	v_and_b32_e32 v28, 0x7fffffff, v8
	v_cmp_gt_u64_e32 vcc, s[78:79], v[28:29]
	v_and_b32_sdwa v6, v8, s87 dst_sel:DWORD dst_unused:UNUSED_PAD src0_sel:BYTE_3 src1_sel:DWORD
                                        ; implicit-def: $vgpr34
	s_and_saveexec_b64 s[40:41], vcc
	s_xor_b64 s[36:37], exec, s[40:41]
	s_cbranch_execz .LBB2_2023
; %bb.2014:                             ;   in Loop: Header=BB2_1668 Depth=4
	v_mov_b32_e32 v34, 0
	v_cmp_ne_u32_e32 vcc, 0, v8
	s_and_saveexec_b64 s[38:39], vcc
	s_cbranch_execz .LBB2_2022
; %bb.2015:                             ;   in Loop: Header=BB2_1668 Depth=4
	v_bfe_u32 v11, v8, 23, 8
	v_and_b32_e32 v9, 0x7fffff, v8
	v_cmp_gt_u32_e64 s[40:41], s96, v11
	v_sub_u32_e32 v8, 0x79, v11
	v_cmp_eq_u32_e32 vcc, 0, v11
	v_cndmask_b32_e64 v8, 0, v8, s[40:41]
	v_cndmask_b32_e32 v30, v8, v36, vcc
	v_or_b32_e32 v10, 0x800000, v9
	v_add_u32_e32 v8, 20, v30
	v_cndmask_b32_e32 v28, v10, v9, vcc
	v_lshlrev_b64 v[8:9], v8, -1
	v_add_u32_e32 v10, 19, v30
	v_lshlrev_b64 v[53:54], v10, 1
	v_bfi_b32 v9, v9, 0, 0
	v_bfi_b32 v8, v8, 0, v28
	v_cmp_eq_u64_e64 s[40:41], v[8:9], v[53:54]
	v_lshrrev_b64 v[8:9], v30, v[28:29]
	v_mov_b32_e32 v10, v9
	v_mov_b32_e32 v9, v8
	s_and_saveexec_b64 s[48:49], s[40:41]
; %bb.2016:                             ;   in Loop: Header=BB2_1668 Depth=4
	v_bfe_u32 v9, v8, 20, 1
	v_add_co_u32_e64 v9, s[40:41], v8, v9
	v_add_co_u32_e64 v9, s[40:41], -1, v9
; %bb.2017:                             ;   in Loop: Header=BB2_1668 Depth=4
	s_or_b64 exec, exec, s[48:49]
	v_add_u32_e32 v10, 0xffffff81, v11
	v_cndmask_b32_e32 v10, v10, v37, vcc
	v_lshrrev_b32_e32 v11, 23, v8
	v_add3_u32 v30, v30, v10, v11
	v_add_u32_e32 v11, 6, v30
	v_and_b32_e32 v9, 0xfffff, v9
	v_add_u32_e32 v28, v9, v8
	v_cmp_ne_u32_e32 vcc, 0, v11
                                        ; implicit-def: $vgpr8_vgpr9
                                        ; implicit-def: $vgpr10
	s_and_saveexec_b64 s[40:41], vcc
	s_xor_b64 s[40:41], exec, s[40:41]
; %bb.2018:                             ;   in Loop: Header=BB2_1668 Depth=4
	v_cmp_lt_u64_e32 vcc, s[88:89], v[28:29]
	v_add_u32_e32 v8, 7, v30
	v_cndmask_b32_e32 v10, v11, v8, vcc
	v_cndmask_b32_e64 v8, 0, 1, vcc
	v_lshrrev_b64 v[8:9], v8, v[28:29]
; %bb.2019:                             ;   in Loop: Header=BB2_1668 Depth=4
	s_andn2_saveexec_b64 s[40:41], s[40:41]
; %bb.2020:                             ;   in Loop: Header=BB2_1668 Depth=4
	v_mov_b32_e32 v8, v28
	v_bfe_u32 v10, v28, 23, 1
	v_mov_b32_e32 v9, v29
; %bb.2021:                             ;   in Loop: Header=BB2_1668 Depth=4
	s_or_b64 exec, exec, s[40:41]
	v_lshrrev_b64 v[8:9], 20, v[8:9]
	v_cmp_gt_i32_e32 vcc, 16, v10
	v_cndmask_b32_e32 v9, 0, v9, vcc
	v_cndmask_b32_e32 v8, 7, v8, vcc
	v_cmp_eq_u64_e64 s[40:41], 0, v[8:9]
	v_min_i32_e32 v9, 15, v10
	v_lshlrev_b32_e32 v9, 3, v9
	v_cmp_eq_u32_e32 vcc, 0, v10
	v_and_b32_e32 v9, 0xf8, v9
	v_and_or_b32 v8, v8, 7, v9
	s_and_b64 s[40:41], vcc, s[40:41]
	v_cndmask_b32_e64 v8, v8, 0, s[40:41]
	v_or_b32_e32 v34, v8, v6
.LBB2_2022:                             ;   in Loop: Header=BB2_1668 Depth=4
	s_or_b64 exec, exec, s[38:39]
                                        ; implicit-def: $vgpr6
.LBB2_2023:                             ;   in Loop: Header=BB2_1668 Depth=4
	s_andn2_saveexec_b64 s[40:41], s[36:37]
; %bb.2024:                             ;   in Loop: Header=BB2_1668 Depth=4
	v_or_b32_e32 v34, 0x7e, v6
; %bb.2025:                             ;   in Loop: Header=BB2_1668 Depth=4
	s_or_b64 exec, exec, s[40:41]
                                        ; implicit-def: $vgpr8
.LBB2_2026:                             ;   in Loop: Header=BB2_1668 Depth=4
	s_andn2_saveexec_b64 s[40:41], s[34:35]
; %bb.2027:                             ;   in Loop: Header=BB2_1668 Depth=4
	v_or_b32_sdwa v34, v8, s85 dst_sel:DWORD dst_unused:UNUSED_PAD src0_sel:BYTE_3 src1_sel:DWORD
; %bb.2028:                             ;   in Loop: Header=BB2_1668 Depth=4
	s_or_b64 exec, exec, s[40:41]
	v_lshl_or_b32 v6, v19, 8, v2
	v_lshlrev_b32_e32 v8, 16, v31
	v_lshlrev_b32_e32 v9, 24, v52
	v_or3_b32 v28, v8, v9, v6
	global_load_dwordx4 v[8:11], v[44:45], off glc slc
	v_cmp_ne_u32_e32 vcc, 0, v2
	v_mov_b32_e32 v19, 0
	s_and_saveexec_b64 s[40:41], vcc
	s_cbranch_execz .LBB2_2034
; %bb.2029:                             ;   in Loop: Header=BB2_1668 Depth=4
	v_cmp_ne_u32_e32 vcc, s87, v2
	v_bfrev_b32_e32 v19, 1
	s_and_saveexec_b64 s[34:35], vcc
	s_cbranch_execz .LBB2_2033
; %bb.2030:                             ;   in Loop: Header=BB2_1668 Depth=4
	v_and_b32_e32 v30, 0x7f, v2
	v_cmp_ne_u32_e32 vcc, s85, v30
	v_mov_b32_e32 v19, 0x7f800001
	s_and_saveexec_b64 s[36:37], vcc
	s_cbranch_execz .LBB2_2032
; %bb.2031:                             ;   in Loop: Header=BB2_1668 Depth=4
	v_and_b32_e32 v2, 7, v2
	v_ffbh_u32_e32 v2, v2
	v_min_u32_e32 v2, 32, v2
	v_lshrrev_b32_e32 v19, 3, v30
	v_cmp_gt_u32_e32 vcc, 8, v30
	v_subrev_u32_e32 v30, 28, v2
	v_sub_u32_e32 v2, 29, v2
	v_cndmask_b32_e32 v2, v19, v2, vcc
	v_cndmask_b32_e32 v19, 0, v30, vcc
	v_lshlrev_b64 v[30:31], v19, v[28:29]
	v_lshl_add_u32 v2, v2, 23, v17
	v_lshlrev_b32_e32 v19, 20, v30
	v_lshlrev_b32_e32 v30, 24, v28
	v_and_b32_e32 v19, 0x700000, v19
	v_and_b32_e32 v30, 0x80000000, v30
	v_or3_b32 v19, v30, v2, v19
.LBB2_2032:                             ;   in Loop: Header=BB2_1668 Depth=4
	s_or_b64 exec, exec, s[36:37]
.LBB2_2033:                             ;   in Loop: Header=BB2_1668 Depth=4
	s_or_b64 exec, exec, s[34:35]
.LBB2_2034:                             ;   in Loop: Header=BB2_1668 Depth=4
	s_or_b64 exec, exec, s[40:41]
	s_waitcnt vmcnt(0)
	v_cmp_gt_i16_sdwa vcc, v8, s85 src0_sel:BYTE_0 src1_sel:DWORD
	s_mov_b64 s[40:41], 0
	s_and_saveexec_b64 s[34:35], vcc
	s_xor_b64 vcc, exec, s[34:35]
	s_cbranch_execz .LBB2_2456
; %bb.2035:                             ;   in Loop: Header=BB2_1668 Depth=4
	v_cmp_eq_u16_sdwa s[36:37], v8, s87 src0_sel:BYTE_0 src1_sel:DWORD
	s_mov_b64 s[40:41], -1
	s_and_saveexec_b64 s[34:35], s[36:37]
; %bb.2036:                             ;   in Loop: Header=BB2_1668 Depth=4
	s_xor_b64 s[40:41], exec, -1
; %bb.2037:                             ;   in Loop: Header=BB2_1668 Depth=4
	s_or_b64 exec, exec, s[34:35]
	s_and_b64 s[40:41], s[40:41], exec
	s_or_saveexec_b64 vcc, vcc
	v_bfrev_b32_e32 v2, 1
	s_xor_b64 exec, exec, vcc
	s_cbranch_execnz .LBB2_2457
.LBB2_2038:                             ;   in Loop: Header=BB2_1668 Depth=4
	s_or_b64 exec, exec, vcc
	s_and_saveexec_b64 s[34:35], s[40:41]
	s_cbranch_execz .LBB2_2040
.LBB2_2039:                             ;   in Loop: Header=BB2_1668 Depth=4
	v_and_b32_e32 v2, 7, v8
	v_ffbh_u32_e32 v2, v2
	v_and_b32_e32 v52, 0x7f, v8
	v_min_u32_e32 v2, 32, v2
	v_bfe_u32 v30, v8, 3, 4
	v_subrev_u32_e32 v31, 28, v2
	v_sub_u32_e32 v2, 29, v2
	v_cmp_gt_u32_e32 vcc, 8, v52
	v_cndmask_b32_e32 v2, v30, v2, vcc
	v_cndmask_b32_e32 v30, 0, v31, vcc
	v_lshlrev_b64 v[30:31], v30, v[8:9]
	v_lshlrev_b32_e32 v31, 24, v8
	v_lshlrev_b32_e32 v30, 20, v30
	v_and_b32_e32 v30, 0x700000, v30
	v_and_b32_e32 v31, 0x80000000, v31
	v_lshl_add_u32 v2, v2, 23, v17
	v_or3_b32 v2, v31, v2, v30
	v_cmp_ne_u32_e32 vcc, s85, v52
	v_cndmask_b32_e32 v2, v4, v2, vcc
.LBB2_2040:                             ;   in Loop: Header=BB2_1668 Depth=4
	s_or_b64 exec, exec, s[34:35]
	v_add_f32_e32 v30, v19, v2
	v_and_b32_e32 v52, 0x7f800000, v30
	v_mov_b32_e32 v53, v29
	v_cmp_ne_u64_e32 vcc, s[76:77], v[52:53]
                                        ; implicit-def: $vgpr19
	s_and_saveexec_b64 s[40:41], vcc
	s_xor_b64 s[34:35], exec, s[40:41]
	s_cbranch_execz .LBB2_2054
; %bb.2041:                             ;   in Loop: Header=BB2_1668 Depth=4
	v_and_b32_e32 v52, 0x7fffffff, v30
	v_mov_b32_e32 v53, v29
	v_cmp_gt_u64_e32 vcc, s[78:79], v[52:53]
	v_and_b32_sdwa v2, v30, s87 dst_sel:DWORD dst_unused:UNUSED_PAD src0_sel:BYTE_3 src1_sel:DWORD
                                        ; implicit-def: $vgpr19
	s_and_saveexec_b64 s[40:41], vcc
	s_xor_b64 s[36:37], exec, s[40:41]
	s_cbranch_execz .LBB2_2051
; %bb.2042:                             ;   in Loop: Header=BB2_1668 Depth=4
	v_mov_b32_e32 v19, 0
	v_cmp_ne_u32_e32 vcc, 0, v30
	s_and_saveexec_b64 s[38:39], vcc
	s_cbranch_execz .LBB2_2050
; %bb.2043:                             ;   in Loop: Header=BB2_1668 Depth=4
	v_bfe_u32 v19, v30, 23, 8
	v_and_b32_e32 v31, 0x7fffff, v30
	v_cmp_gt_u32_e64 s[40:41], s96, v19
	v_sub_u32_e32 v30, 0x79, v19
	v_cmp_eq_u32_e32 vcc, 0, v19
	v_cndmask_b32_e64 v30, 0, v30, s[40:41]
	v_or_b32_e32 v52, 0x800000, v31
	v_cndmask_b32_e32 v30, v30, v36, vcc
	v_cndmask_b32_e32 v52, v52, v31, vcc
	v_add_u32_e32 v31, 20, v30
	v_lshlrev_b64 v[54:55], v31, -1
	v_add_u32_e32 v31, 19, v30
	v_lshlrev_b64 v[56:57], v31, 1
	v_mov_b32_e32 v53, v29
	v_bfi_b32 v55, v55, 0, 0
	v_bfi_b32 v54, v54, 0, v52
	v_cmp_eq_u64_e64 s[40:41], v[54:55], v[56:57]
	v_lshrrev_b64 v[56:57], v30, v[52:53]
	v_mov_b32_e32 v58, v57
	v_mov_b32_e32 v57, v56
	s_and_saveexec_b64 s[48:49], s[40:41]
; %bb.2044:                             ;   in Loop: Header=BB2_1668 Depth=4
	v_bfe_u32 v31, v56, 20, 1
	v_add_co_u32_e64 v31, s[40:41], v56, v31
	v_add_co_u32_e64 v57, s[40:41], -1, v31
; %bb.2045:                             ;   in Loop: Header=BB2_1668 Depth=4
	s_or_b64 exec, exec, s[48:49]
	v_add_u32_e32 v19, 0xffffff81, v19
	v_cndmask_b32_e32 v19, v19, v37, vcc
	v_lshrrev_b32_e32 v31, 23, v56
	v_add3_u32 v31, v30, v19, v31
	v_add_u32_e32 v30, 6, v31
	v_and_b32_e32 v19, 0xfffff, v57
	v_add_u32_e32 v56, v19, v56
	v_mov_b32_e32 v57, v29
	v_cmp_ne_u32_e32 vcc, 0, v30
                                        ; implicit-def: $vgpr19
	s_and_saveexec_b64 s[40:41], vcc
	s_xor_b64 s[40:41], exec, s[40:41]
; %bb.2046:                             ;   in Loop: Header=BB2_1668 Depth=4
	v_cmp_lt_u64_e32 vcc, s[88:89], v[56:57]
	v_add_u32_e32 v19, 7, v31
	v_cndmask_b32_e32 v19, v30, v19, vcc
	v_cndmask_b32_e64 v30, 0, 1, vcc
	v_lshrrev_b64 v[56:57], v30, v[56:57]
; %bb.2047:                             ;   in Loop: Header=BB2_1668 Depth=4
	s_andn2_saveexec_b64 s[40:41], s[40:41]
; %bb.2048:                             ;   in Loop: Header=BB2_1668 Depth=4
	v_bfe_u32 v19, v56, 23, 1
; %bb.2049:                             ;   in Loop: Header=BB2_1668 Depth=4
	s_or_b64 exec, exec, s[40:41]
	v_lshrrev_b64 v[30:31], 20, v[56:57]
	v_cmp_gt_i32_e32 vcc, 16, v19
	v_cndmask_b32_e32 v31, 0, v31, vcc
	v_cndmask_b32_e32 v30, 7, v30, vcc
	v_cmp_eq_u32_e32 vcc, 0, v19
	v_min_i32_e32 v19, 15, v19
	v_cmp_eq_u64_e64 s[40:41], 0, v[30:31]
	v_lshlrev_b32_e32 v19, 3, v19
	v_and_b32_e32 v19, 0xf8, v19
	v_and_or_b32 v19, v30, 7, v19
	s_and_b64 s[40:41], vcc, s[40:41]
	v_cndmask_b32_e64 v19, v19, 0, s[40:41]
	v_or_b32_e32 v19, v19, v2
.LBB2_2050:                             ;   in Loop: Header=BB2_1668 Depth=4
	s_or_b64 exec, exec, s[38:39]
                                        ; implicit-def: $vgpr2
.LBB2_2051:                             ;   in Loop: Header=BB2_1668 Depth=4
	s_andn2_saveexec_b64 s[40:41], s[36:37]
; %bb.2052:                             ;   in Loop: Header=BB2_1668 Depth=4
	v_or_b32_e32 v19, 0x7e, v2
; %bb.2053:                             ;   in Loop: Header=BB2_1668 Depth=4
	s_or_b64 exec, exec, s[40:41]
                                        ; implicit-def: $vgpr30
.LBB2_2054:                             ;   in Loop: Header=BB2_1668 Depth=4
	s_andn2_saveexec_b64 s[40:41], s[34:35]
; %bb.2055:                             ;   in Loop: Header=BB2_1668 Depth=4
	v_or_b32_sdwa v19, v30, s85 dst_sel:DWORD dst_unused:UNUSED_PAD src0_sel:BYTE_3 src1_sel:DWORD
; %bb.2056:                             ;   in Loop: Header=BB2_1668 Depth=4
	s_or_b64 exec, exec, s[40:41]
	v_lshrrev_b16_e32 v30, 8, v6
	v_cmp_ne_u16_e32 vcc, 0, v30
	v_mov_b32_e32 v2, 0
	s_and_saveexec_b64 s[40:41], vcc
	s_cbranch_execz .LBB2_2062
; %bb.2057:                             ;   in Loop: Header=BB2_1668 Depth=4
	v_cmp_ne_u16_e32 vcc, s87, v30
	v_bfrev_b32_e32 v2, 1
	s_and_saveexec_b64 s[34:35], vcc
	s_cbranch_execz .LBB2_2061
; %bb.2058:                             ;   in Loop: Header=BB2_1668 Depth=4
	v_and_b32_e32 v31, 0x7f, v30
	v_cmp_ne_u32_e32 vcc, s85, v31
	v_mov_b32_e32 v2, 0x7f800001
	s_and_saveexec_b64 s[36:37], vcc
	s_cbranch_execz .LBB2_2060
; %bb.2059:                             ;   in Loop: Header=BB2_1668 Depth=4
	v_and_b32_e32 v2, 7, v30
	v_lshrrev_b32_e32 v52, 3, v31
	v_cmp_gt_u32_e32 vcc, 8, v31
	v_ffbh_u32_e32 v31, v2
	v_min_u32_e32 v53, 32, v31
	v_subrev_u32_e32 v31, 28, v53
	v_lshlrev_b64 v[30:31], v31, v[30:31]
	v_sub_u32_e32 v31, 29, v53
	v_and_b32_e32 v30, 7, v30
	v_cndmask_b32_e32 v31, v52, v31, vcc
	v_cndmask_b32_e32 v2, v2, v30, vcc
	v_lshlrev_b32_e32 v6, 16, v6
	v_lshlrev_b32_e32 v2, 20, v2
	v_and_b32_e32 v6, 0x80000000, v6
	v_lshl_add_u32 v30, v31, 23, v17
	v_or3_b32 v2, v6, v30, v2
.LBB2_2060:                             ;   in Loop: Header=BB2_1668 Depth=4
	s_or_b64 exec, exec, s[36:37]
.LBB2_2061:                             ;   in Loop: Header=BB2_1668 Depth=4
	s_or_b64 exec, exec, s[34:35]
.LBB2_2062:                             ;   in Loop: Header=BB2_1668 Depth=4
	s_or_b64 exec, exec, s[40:41]
	v_lshrrev_b16_e32 v56, 8, v8
	v_cmp_lt_i16_e32 vcc, s85, v56
	s_mov_b64 s[40:41], 0
	s_and_saveexec_b64 s[34:35], vcc
	s_xor_b64 s[34:35], exec, s[34:35]
	s_cbranch_execz .LBB2_2458
; %bb.2063:                             ;   in Loop: Header=BB2_1668 Depth=4
	v_cmp_eq_u16_e32 vcc, s87, v56
	s_mov_b64 s[40:41], -1
	s_and_saveexec_b64 s[36:37], vcc
; %bb.2064:                             ;   in Loop: Header=BB2_1668 Depth=4
	s_xor_b64 s[40:41], exec, -1
; %bb.2065:                             ;   in Loop: Header=BB2_1668 Depth=4
	s_or_b64 exec, exec, s[36:37]
	s_and_b64 s[40:41], s[40:41], exec
	s_or_saveexec_b64 s[34:35], s[34:35]
	v_bfrev_b32_e32 v6, 1
	s_xor_b64 exec, exec, s[34:35]
	s_cbranch_execnz .LBB2_2459
.LBB2_2066:                             ;   in Loop: Header=BB2_1668 Depth=4
	s_or_b64 exec, exec, s[34:35]
	s_and_saveexec_b64 s[34:35], s[40:41]
	s_cbranch_execz .LBB2_2068
.LBB2_2067:                             ;   in Loop: Header=BB2_1668 Depth=4
	v_and_b32_e32 v6, 7, v56
	v_ffbh_u32_e32 v30, v6
	v_min_u32_e32 v54, 32, v30
	v_mov_b32_e32 v57, v29
	v_subrev_u32_e32 v30, 28, v54
	v_lshlrev_b64 v[30:31], v30, v[56:57]
	v_and_b32_e32 v52, 0x7f, v56
	v_bfe_u32 v53, v56, 3, 4
	v_sub_u32_e32 v31, 29, v54
	v_and_b32_e32 v30, 7, v30
	v_cmp_gt_u32_e32 vcc, 8, v52
	v_cndmask_b32_e32 v31, v53, v31, vcc
	v_cndmask_b32_e32 v6, v6, v30, vcc
	v_lshlrev_b32_e32 v30, 24, v56
	v_lshlrev_b32_e32 v6, 20, v6
	v_and_b32_e32 v30, 0x80000000, v30
	v_lshl_add_u32 v31, v31, 23, v17
	v_or3_b32 v6, v30, v31, v6
	v_cmp_ne_u32_e32 vcc, s85, v52
	v_cndmask_b32_e32 v6, v4, v6, vcc
.LBB2_2068:                             ;   in Loop: Header=BB2_1668 Depth=4
	s_or_b64 exec, exec, s[34:35]
	v_add_f32_e32 v30, v2, v6
	v_and_b32_e32 v52, 0x7f800000, v30
	v_mov_b32_e32 v53, v29
	v_cmp_ne_u64_e32 vcc, s[76:77], v[52:53]
                                        ; implicit-def: $vgpr6
	s_and_saveexec_b64 s[40:41], vcc
	s_xor_b64 s[34:35], exec, s[40:41]
	s_cbranch_execz .LBB2_2082
; %bb.2069:                             ;   in Loop: Header=BB2_1668 Depth=4
	v_and_b32_e32 v52, 0x7fffffff, v30
	v_mov_b32_e32 v53, v29
	v_cmp_gt_u64_e32 vcc, s[78:79], v[52:53]
	v_and_b32_sdwa v2, v30, s87 dst_sel:DWORD dst_unused:UNUSED_PAD src0_sel:BYTE_3 src1_sel:DWORD
                                        ; implicit-def: $vgpr6
	s_and_saveexec_b64 s[40:41], vcc
	s_xor_b64 s[36:37], exec, s[40:41]
	s_cbranch_execz .LBB2_2079
; %bb.2070:                             ;   in Loop: Header=BB2_1668 Depth=4
	v_mov_b32_e32 v6, 0
	v_cmp_ne_u32_e32 vcc, 0, v30
	s_and_saveexec_b64 s[38:39], vcc
	s_cbranch_execz .LBB2_2078
; %bb.2071:                             ;   in Loop: Header=BB2_1668 Depth=4
	v_bfe_u32 v6, v30, 23, 8
	v_and_b32_e32 v31, 0x7fffff, v30
	v_cmp_gt_u32_e64 s[40:41], s96, v6
	v_sub_u32_e32 v30, 0x79, v6
	v_cmp_eq_u32_e32 vcc, 0, v6
	v_cndmask_b32_e64 v30, 0, v30, s[40:41]
	v_or_b32_e32 v52, 0x800000, v31
	v_cndmask_b32_e32 v30, v30, v36, vcc
	v_cndmask_b32_e32 v52, v52, v31, vcc
	v_add_u32_e32 v31, 20, v30
	v_lshlrev_b64 v[54:55], v31, -1
	v_add_u32_e32 v31, 19, v30
	v_lshlrev_b64 v[56:57], v31, 1
	v_mov_b32_e32 v53, v29
	v_bfi_b32 v55, v55, 0, 0
	v_bfi_b32 v54, v54, 0, v52
	v_cmp_eq_u64_e64 s[40:41], v[54:55], v[56:57]
	v_lshrrev_b64 v[56:57], v30, v[52:53]
	v_mov_b32_e32 v58, v57
	v_mov_b32_e32 v57, v56
	s_and_saveexec_b64 s[48:49], s[40:41]
; %bb.2072:                             ;   in Loop: Header=BB2_1668 Depth=4
	v_bfe_u32 v31, v56, 20, 1
	v_add_co_u32_e64 v31, s[40:41], v56, v31
	v_add_co_u32_e64 v57, s[40:41], -1, v31
; %bb.2073:                             ;   in Loop: Header=BB2_1668 Depth=4
	s_or_b64 exec, exec, s[48:49]
	v_add_u32_e32 v6, 0xffffff81, v6
	v_cndmask_b32_e32 v6, v6, v37, vcc
	v_lshrrev_b32_e32 v31, 23, v56
	v_add3_u32 v31, v30, v6, v31
	v_add_u32_e32 v30, 6, v31
	v_and_b32_e32 v6, 0xfffff, v57
	v_add_u32_e32 v56, v6, v56
	v_mov_b32_e32 v57, v29
	v_cmp_ne_u32_e32 vcc, 0, v30
                                        ; implicit-def: $vgpr6
	s_and_saveexec_b64 s[40:41], vcc
	s_xor_b64 s[40:41], exec, s[40:41]
; %bb.2074:                             ;   in Loop: Header=BB2_1668 Depth=4
	v_cmp_lt_u64_e32 vcc, s[88:89], v[56:57]
	v_add_u32_e32 v6, 7, v31
	v_cndmask_b32_e32 v6, v30, v6, vcc
	v_cndmask_b32_e64 v30, 0, 1, vcc
	v_lshrrev_b64 v[56:57], v30, v[56:57]
; %bb.2075:                             ;   in Loop: Header=BB2_1668 Depth=4
	s_andn2_saveexec_b64 s[40:41], s[40:41]
; %bb.2076:                             ;   in Loop: Header=BB2_1668 Depth=4
	v_bfe_u32 v6, v56, 23, 1
; %bb.2077:                             ;   in Loop: Header=BB2_1668 Depth=4
	s_or_b64 exec, exec, s[40:41]
	v_lshrrev_b64 v[30:31], 20, v[56:57]
	v_cmp_gt_i32_e32 vcc, 16, v6
	v_cndmask_b32_e32 v31, 0, v31, vcc
	v_cndmask_b32_e32 v30, 7, v30, vcc
	v_cmp_eq_u32_e32 vcc, 0, v6
	v_min_i32_e32 v6, 15, v6
	v_cmp_eq_u64_e64 s[40:41], 0, v[30:31]
	v_lshlrev_b32_e32 v6, 3, v6
	v_and_b32_e32 v6, 0xf8, v6
	v_and_or_b32 v6, v30, 7, v6
	s_and_b64 s[40:41], vcc, s[40:41]
	v_cndmask_b32_e64 v6, v6, 0, s[40:41]
	v_or_b32_e32 v6, v6, v2
.LBB2_2078:                             ;   in Loop: Header=BB2_1668 Depth=4
	s_or_b64 exec, exec, s[38:39]
                                        ; implicit-def: $vgpr2
.LBB2_2079:                             ;   in Loop: Header=BB2_1668 Depth=4
	s_andn2_saveexec_b64 s[40:41], s[36:37]
; %bb.2080:                             ;   in Loop: Header=BB2_1668 Depth=4
	v_or_b32_e32 v6, 0x7e, v2
; %bb.2081:                             ;   in Loop: Header=BB2_1668 Depth=4
	s_or_b64 exec, exec, s[40:41]
                                        ; implicit-def: $vgpr30
.LBB2_2082:                             ;   in Loop: Header=BB2_1668 Depth=4
	s_andn2_saveexec_b64 s[40:41], s[34:35]
; %bb.2083:                             ;   in Loop: Header=BB2_1668 Depth=4
	v_or_b32_sdwa v6, v30, s85 dst_sel:DWORD dst_unused:UNUSED_PAD src0_sel:BYTE_3 src1_sel:DWORD
; %bb.2084:                             ;   in Loop: Header=BB2_1668 Depth=4
	s_or_b64 exec, exec, s[40:41]
	v_and_b32_sdwa v31, v28, s86 dst_sel:DWORD dst_unused:UNUSED_PAD src0_sel:WORD_1 src1_sel:DWORD
	v_lshrrev_b32_e32 v30, 16, v28
	v_cmp_ne_u16_e32 vcc, 0, v31
	v_mov_b32_e32 v2, 0
	s_and_saveexec_b64 s[40:41], vcc
	s_cbranch_execz .LBB2_2090
; %bb.2085:                             ;   in Loop: Header=BB2_1668 Depth=4
	v_cmp_ne_u16_e32 vcc, s87, v31
	v_bfrev_b32_e32 v2, 1
	s_and_saveexec_b64 s[34:35], vcc
	s_cbranch_execz .LBB2_2089
; %bb.2086:                             ;   in Loop: Header=BB2_1668 Depth=4
	v_bfe_u32 v31, v28, 16, 7
	v_cmp_ne_u32_e32 vcc, s85, v31
	v_mov_b32_e32 v2, 0x7f800001
	s_and_saveexec_b64 s[36:37], vcc
	s_cbranch_execz .LBB2_2088
; %bb.2087:                             ;   in Loop: Header=BB2_1668 Depth=4
	v_and_b32_e32 v2, 7, v30
	v_lshrrev_b32_e32 v52, 3, v31
	v_cmp_gt_u32_e32 vcc, 8, v31
	v_ffbh_u32_e32 v31, v2
	v_min_u32_e32 v53, 32, v31
	v_subrev_u32_e32 v31, 28, v53
	v_lshlrev_b64 v[30:31], v31, v[30:31]
	v_sub_u32_e32 v31, 29, v53
	v_and_b32_e32 v30, 7, v30
	v_cndmask_b32_e32 v2, v2, v30, vcc
	v_mov_b32_e32 v30, 24
	v_cndmask_b32_e32 v31, v52, v31, vcc
	v_lshlrev_b32_sdwa v30, v30, v28 dst_sel:DWORD dst_unused:UNUSED_PAD src0_sel:DWORD src1_sel:WORD_1
	v_lshlrev_b32_e32 v2, 20, v2
	v_and_b32_e32 v30, 0x80000000, v30
	v_lshl_add_u32 v31, v31, 23, v17
	v_or3_b32 v2, v30, v31, v2
.LBB2_2088:                             ;   in Loop: Header=BB2_1668 Depth=4
	s_or_b64 exec, exec, s[36:37]
.LBB2_2089:                             ;   in Loop: Header=BB2_1668 Depth=4
	s_or_b64 exec, exec, s[34:35]
.LBB2_2090:                             ;   in Loop: Header=BB2_1668 Depth=4
	s_or_b64 exec, exec, s[40:41]
	v_lshrrev_b32_e32 v30, 16, v8
	v_cmp_gt_i16_sdwa vcc, v30, s85 src0_sel:BYTE_0 src1_sel:DWORD
	s_mov_b64 s[40:41], 0
	s_and_saveexec_b64 s[34:35], vcc
	s_xor_b64 vcc, exec, s[34:35]
	s_cbranch_execz .LBB2_2460
; %bb.2091:                             ;   in Loop: Header=BB2_1668 Depth=4
	v_cmp_eq_u16_sdwa s[36:37], v30, s87 src0_sel:BYTE_0 src1_sel:DWORD
	s_mov_b64 s[40:41], -1
	s_and_saveexec_b64 s[34:35], s[36:37]
; %bb.2092:                             ;   in Loop: Header=BB2_1668 Depth=4
	s_xor_b64 s[40:41], exec, -1
; %bb.2093:                             ;   in Loop: Header=BB2_1668 Depth=4
	s_or_b64 exec, exec, s[34:35]
	s_and_b64 s[40:41], s[40:41], exec
	s_or_saveexec_b64 vcc, vcc
	v_bfrev_b32_e32 v31, 1
	s_xor_b64 exec, exec, vcc
	s_cbranch_execnz .LBB2_2461
.LBB2_2094:                             ;   in Loop: Header=BB2_1668 Depth=4
	s_or_b64 exec, exec, vcc
	s_and_saveexec_b64 s[34:35], s[40:41]
	s_cbranch_execz .LBB2_2096
.LBB2_2095:                             ;   in Loop: Header=BB2_1668 Depth=4
	v_and_b32_e32 v31, 7, v30
	v_ffbh_u32_e32 v52, v31
	v_min_u32_e32 v56, 32, v52
	v_subrev_u32_e32 v52, 28, v56
	v_lshlrev_b64 v[52:53], v52, v[30:31]
	v_and_b32_e32 v54, 0x7f, v30
	v_bfe_u32 v55, v30, 3, 4
	v_sub_u32_e32 v53, 29, v56
	v_and_b32_e32 v52, 7, v52
	v_cmp_gt_u32_e32 vcc, 8, v54
	v_cndmask_b32_e32 v53, v55, v53, vcc
	v_cndmask_b32_e32 v31, v31, v52, vcc
	v_lshlrev_b32_e32 v30, 24, v30
	v_lshlrev_b32_e32 v31, 20, v31
	v_and_b32_e32 v30, 0x80000000, v30
	v_lshl_add_u32 v52, v53, 23, v17
	v_or3_b32 v30, v30, v52, v31
	v_cmp_ne_u32_e32 vcc, s85, v54
	v_cndmask_b32_e32 v31, v4, v30, vcc
.LBB2_2096:                             ;   in Loop: Header=BB2_1668 Depth=4
	s_or_b64 exec, exec, s[34:35]
	v_add_f32_e32 v31, v2, v31
	v_and_b32_e32 v52, 0x7f800000, v31
	v_mov_b32_e32 v53, v29
	v_cmp_ne_u64_e32 vcc, s[76:77], v[52:53]
                                        ; implicit-def: $vgpr2
	s_and_saveexec_b64 s[40:41], vcc
	s_xor_b64 s[34:35], exec, s[40:41]
	s_cbranch_execz .LBB2_2110
; %bb.2097:                             ;   in Loop: Header=BB2_1668 Depth=4
	v_and_b32_e32 v52, 0x7fffffff, v31
	v_mov_b32_e32 v53, v29
	v_cmp_gt_u64_e32 vcc, s[78:79], v[52:53]
	v_and_b32_sdwa v30, v31, s87 dst_sel:DWORD dst_unused:UNUSED_PAD src0_sel:BYTE_3 src1_sel:DWORD
                                        ; implicit-def: $vgpr2
	s_and_saveexec_b64 s[40:41], vcc
	s_xor_b64 s[36:37], exec, s[40:41]
	s_cbranch_execz .LBB2_2107
; %bb.2098:                             ;   in Loop: Header=BB2_1668 Depth=4
	v_mov_b32_e32 v2, 0
	v_cmp_ne_u32_e32 vcc, 0, v31
	s_and_saveexec_b64 s[38:39], vcc
	s_cbranch_execz .LBB2_2106
; %bb.2099:                             ;   in Loop: Header=BB2_1668 Depth=4
	v_bfe_u32 v2, v31, 23, 8
	v_and_b32_e32 v52, 0x7fffff, v31
	v_cmp_gt_u32_e64 s[40:41], s96, v2
	v_sub_u32_e32 v31, 0x79, v2
	v_cmp_eq_u32_e32 vcc, 0, v2
	v_cndmask_b32_e64 v31, 0, v31, s[40:41]
	v_cndmask_b32_e32 v31, v31, v36, vcc
	v_add_u32_e32 v54, 20, v31
	v_or_b32_e32 v53, 0x800000, v52
	v_lshlrev_b64 v[54:55], v54, -1
	v_add_u32_e32 v56, 19, v31
	v_cndmask_b32_e32 v52, v53, v52, vcc
	v_lshlrev_b64 v[56:57], v56, 1
	v_mov_b32_e32 v53, v29
	v_bfi_b32 v55, v55, 0, 0
	v_bfi_b32 v54, v54, 0, v52
	v_cmp_eq_u64_e64 s[40:41], v[54:55], v[56:57]
	v_lshrrev_b64 v[56:57], v31, v[52:53]
	v_mov_b32_e32 v58, v57
	v_mov_b32_e32 v57, v56
	s_and_saveexec_b64 s[48:49], s[40:41]
; %bb.2100:                             ;   in Loop: Header=BB2_1668 Depth=4
	v_bfe_u32 v52, v56, 20, 1
	v_add_co_u32_e64 v52, s[40:41], v56, v52
	v_add_co_u32_e64 v57, s[40:41], -1, v52
; %bb.2101:                             ;   in Loop: Header=BB2_1668 Depth=4
	s_or_b64 exec, exec, s[48:49]
	v_add_u32_e32 v2, 0xffffff81, v2
	v_cndmask_b32_e32 v2, v2, v37, vcc
	v_lshrrev_b32_e32 v52, 23, v56
	v_add3_u32 v52, v31, v2, v52
	v_add_u32_e32 v31, 6, v52
	v_and_b32_e32 v2, 0xfffff, v57
	v_add_u32_e32 v56, v2, v56
	v_mov_b32_e32 v57, v29
	v_cmp_ne_u32_e32 vcc, 0, v31
                                        ; implicit-def: $vgpr2
	s_and_saveexec_b64 s[40:41], vcc
	s_xor_b64 s[40:41], exec, s[40:41]
; %bb.2102:                             ;   in Loop: Header=BB2_1668 Depth=4
	v_cmp_lt_u64_e32 vcc, s[88:89], v[56:57]
	v_add_u32_e32 v2, 7, v52
	v_cndmask_b32_e32 v2, v31, v2, vcc
	v_cndmask_b32_e64 v31, 0, 1, vcc
	v_lshrrev_b64 v[56:57], v31, v[56:57]
; %bb.2103:                             ;   in Loop: Header=BB2_1668 Depth=4
	s_andn2_saveexec_b64 s[40:41], s[40:41]
; %bb.2104:                             ;   in Loop: Header=BB2_1668 Depth=4
	v_bfe_u32 v2, v56, 23, 1
; %bb.2105:                             ;   in Loop: Header=BB2_1668 Depth=4
	s_or_b64 exec, exec, s[40:41]
	v_lshrrev_b64 v[52:53], 20, v[56:57]
	v_cmp_gt_i32_e32 vcc, 16, v2
	v_cndmask_b32_e32 v53, 0, v53, vcc
	v_cndmask_b32_e32 v52, 7, v52, vcc
	v_cmp_eq_u32_e32 vcc, 0, v2
	v_min_i32_e32 v2, 15, v2
	v_cmp_eq_u64_e64 s[40:41], 0, v[52:53]
	v_lshlrev_b32_e32 v2, 3, v2
	v_and_b32_e32 v2, 0xf8, v2
	v_and_or_b32 v2, v52, 7, v2
	s_and_b64 s[40:41], vcc, s[40:41]
	v_cndmask_b32_e64 v2, v2, 0, s[40:41]
	v_or_b32_e32 v2, v2, v30
.LBB2_2106:                             ;   in Loop: Header=BB2_1668 Depth=4
	s_or_b64 exec, exec, s[38:39]
                                        ; implicit-def: $vgpr30
.LBB2_2107:                             ;   in Loop: Header=BB2_1668 Depth=4
	s_andn2_saveexec_b64 s[40:41], s[36:37]
; %bb.2108:                             ;   in Loop: Header=BB2_1668 Depth=4
	v_or_b32_e32 v2, 0x7e, v30
; %bb.2109:                             ;   in Loop: Header=BB2_1668 Depth=4
	s_or_b64 exec, exec, s[40:41]
                                        ; implicit-def: $vgpr31
.LBB2_2110:                             ;   in Loop: Header=BB2_1668 Depth=4
	s_andn2_saveexec_b64 s[40:41], s[34:35]
; %bb.2111:                             ;   in Loop: Header=BB2_1668 Depth=4
	v_or_b32_sdwa v2, v31, s85 dst_sel:DWORD dst_unused:UNUSED_PAD src0_sel:BYTE_3 src1_sel:DWORD
; %bb.2112:                             ;   in Loop: Header=BB2_1668 Depth=4
	s_or_b64 exec, exec, s[40:41]
	v_cmp_lt_u32_e32 vcc, s57, v28
	v_mov_b32_e32 v31, 0
	s_and_saveexec_b64 s[40:41], vcc
	s_cbranch_execz .LBB2_2118
; %bb.2113:                             ;   in Loop: Header=BB2_1668 Depth=4
	v_lshrrev_b32_e32 v30, 24, v28
	v_cmp_ne_u32_e32 vcc, s87, v30
	v_bfrev_b32_e32 v31, 1
	s_and_saveexec_b64 s[34:35], vcc
	s_cbranch_execz .LBB2_2117
; %bb.2114:                             ;   in Loop: Header=BB2_1668 Depth=4
	v_bfe_u32 v28, v28, 24, 7
	v_cmp_ne_u32_e32 vcc, s85, v28
	v_mov_b32_e32 v31, 0x7f800001
	s_and_saveexec_b64 s[36:37], vcc
	s_cbranch_execz .LBB2_2116
; %bb.2115:                             ;   in Loop: Header=BB2_1668 Depth=4
	v_and_b32_e32 v31, 7, v30
	v_lshrrev_b32_e32 v54, 3, v28
	v_cmp_gt_u32_e32 vcc, 8, v28
	v_ffbh_u32_e32 v28, v31
	v_min_u32_e32 v28, 32, v28
	v_subrev_u32_e32 v52, 28, v28
	v_lshlrev_b64 v[52:53], v52, v[30:31]
	v_sub_u32_e32 v28, 29, v28
	v_and_b32_e32 v52, 7, v52
	v_cndmask_b32_e32 v28, v54, v28, vcc
	v_cndmask_b32_e32 v31, v31, v52, vcc
	v_lshlrev_b32_e32 v30, 24, v30
	v_lshlrev_b32_e32 v31, 20, v31
	v_and_b32_e32 v30, 0x80000000, v30
	v_lshl_add_u32 v28, v28, 23, v17
	v_or3_b32 v31, v30, v28, v31
.LBB2_2116:                             ;   in Loop: Header=BB2_1668 Depth=4
	s_or_b64 exec, exec, s[36:37]
.LBB2_2117:                             ;   in Loop: Header=BB2_1668 Depth=4
	s_or_b64 exec, exec, s[34:35]
.LBB2_2118:                             ;   in Loop: Header=BB2_1668 Depth=4
	s_or_b64 exec, exec, s[40:41]
	v_bfe_u32 v30, v8, 24, 3
	v_ffbh_u32_e32 v52, v30
	v_min_u32_e32 v56, 32, v52
	v_lshrrev_b32_e32 v28, 24, v8
	v_subrev_u32_e32 v52, 28, v56
	v_lshlrev_b64 v[52:53], v52, v[28:29]
	v_bfe_u32 v54, v8, 24, 7
	v_bfe_u32 v55, v28, 3, 4
	v_sub_u32_e32 v53, 29, v56
	v_and_b32_e32 v52, 7, v52
	v_cmp_gt_u32_e32 vcc, 8, v54
	v_cndmask_b32_e32 v53, v55, v53, vcc
	v_cndmask_b32_e32 v30, v30, v52, vcc
	v_lshlrev_b32_e32 v30, 20, v30
	v_and_b32_e32 v52, 0x80000000, v8
	v_lshl_add_u32 v53, v53, 23, v17
	v_or3_b32 v30, v52, v53, v30
	v_cmp_ne_u32_e32 vcc, s85, v54
	v_cndmask_b32_e32 v30, v4, v30, vcc
	v_cmp_ne_u32_e32 vcc, s87, v28
	v_bfrev_b32_e32 v28, 1
	v_cndmask_b32_e32 v28, v28, v30, vcc
	v_cmp_lt_u32_e32 vcc, s57, v8
	v_cndmask_b32_e32 v28, 0, v28, vcc
	v_add_f32_e32 v52, v28, v31
	v_and_b32_e32 v28, 0x7f800000, v52
	v_cmp_ne_u64_e32 vcc, s[76:77], v[28:29]
                                        ; implicit-def: $vgpr31
	s_and_saveexec_b64 s[40:41], vcc
	s_xor_b64 s[34:35], exec, s[40:41]
	s_cbranch_execz .LBB2_2132
; %bb.2119:                             ;   in Loop: Header=BB2_1668 Depth=4
	v_and_b32_e32 v28, 0x7fffffff, v52
	v_cmp_gt_u64_e32 vcc, s[78:79], v[28:29]
	v_and_b32_sdwa v30, v52, s87 dst_sel:DWORD dst_unused:UNUSED_PAD src0_sel:BYTE_3 src1_sel:DWORD
                                        ; implicit-def: $vgpr31
	s_and_saveexec_b64 s[40:41], vcc
	s_xor_b64 s[36:37], exec, s[40:41]
	s_cbranch_execz .LBB2_2129
; %bb.2120:                             ;   in Loop: Header=BB2_1668 Depth=4
	v_mov_b32_e32 v31, 0
	v_cmp_ne_u32_e32 vcc, 0, v52
	s_and_saveexec_b64 s[38:39], vcc
	s_cbranch_execz .LBB2_2128
; %bb.2121:                             ;   in Loop: Header=BB2_1668 Depth=4
	v_bfe_u32 v31, v52, 23, 8
	v_and_b32_e32 v28, 0x7fffff, v52
	v_cmp_gt_u32_e64 s[40:41], s96, v31
	v_sub_u32_e32 v52, 0x79, v31
	v_cmp_eq_u32_e32 vcc, 0, v31
	v_cndmask_b32_e64 v52, 0, v52, s[40:41]
	v_or_b32_e32 v53, 0x800000, v28
	v_cndmask_b32_e32 v52, v52, v36, vcc
	v_cndmask_b32_e32 v28, v53, v28, vcc
	v_add_u32_e32 v53, 20, v52
	v_lshlrev_b64 v[53:54], v53, -1
	v_add_u32_e32 v55, 19, v52
	v_lshlrev_b64 v[55:56], v55, 1
	v_bfi_b32 v54, v54, 0, 0
	v_bfi_b32 v53, v53, 0, v28
	v_cmp_eq_u64_e64 s[40:41], v[53:54], v[55:56]
	v_lshrrev_b64 v[56:57], v52, v[28:29]
	v_mov_b32_e32 v58, v57
	v_mov_b32_e32 v57, v56
	s_and_saveexec_b64 s[48:49], s[40:41]
; %bb.2122:                             ;   in Loop: Header=BB2_1668 Depth=4
	v_bfe_u32 v28, v56, 20, 1
	v_add_co_u32_e64 v28, s[40:41], v56, v28
	v_add_co_u32_e64 v57, s[40:41], -1, v28
; %bb.2123:                             ;   in Loop: Header=BB2_1668 Depth=4
	s_or_b64 exec, exec, s[48:49]
	v_add_u32_e32 v28, 0xffffff81, v31
	v_cndmask_b32_e32 v28, v28, v37, vcc
	v_lshrrev_b32_e32 v31, 23, v56
	v_add3_u32 v53, v52, v28, v31
	v_add_u32_e32 v52, 6, v53
	v_and_b32_e32 v28, 0xfffff, v57
	v_add_u32_e32 v28, v28, v56
	v_cmp_ne_u32_e32 vcc, 0, v52
                                        ; implicit-def: $vgpr56_vgpr57
                                        ; implicit-def: $vgpr31
	s_and_saveexec_b64 s[40:41], vcc
	s_xor_b64 s[40:41], exec, s[40:41]
; %bb.2124:                             ;   in Loop: Header=BB2_1668 Depth=4
	v_cmp_lt_u64_e32 vcc, s[88:89], v[28:29]
	v_add_u32_e32 v31, 7, v53
	v_cndmask_b32_e32 v31, v52, v31, vcc
	v_cndmask_b32_e64 v52, 0, 1, vcc
	v_lshrrev_b64 v[56:57], v52, v[28:29]
; %bb.2125:                             ;   in Loop: Header=BB2_1668 Depth=4
	s_andn2_saveexec_b64 s[40:41], s[40:41]
; %bb.2126:                             ;   in Loop: Header=BB2_1668 Depth=4
	v_mov_b32_e32 v57, v29
	v_bfe_u32 v31, v28, 23, 1
	v_mov_b32_e32 v56, v28
; %bb.2127:                             ;   in Loop: Header=BB2_1668 Depth=4
	s_or_b64 exec, exec, s[40:41]
	v_lshrrev_b64 v[52:53], 20, v[56:57]
	v_cmp_gt_i32_e32 vcc, 16, v31
	v_cndmask_b32_e32 v53, 0, v53, vcc
	v_cndmask_b32_e32 v52, 7, v52, vcc
	v_min_i32_e32 v28, 15, v31
	v_cmp_eq_u64_e64 s[40:41], 0, v[52:53]
	v_lshlrev_b32_e32 v28, 3, v28
	v_cmp_eq_u32_e32 vcc, 0, v31
	v_and_b32_e32 v28, 0xf8, v28
	v_and_or_b32 v28, v52, 7, v28
	s_and_b64 s[40:41], vcc, s[40:41]
	v_cndmask_b32_e64 v28, v28, 0, s[40:41]
	v_or_b32_e32 v31, v28, v30
.LBB2_2128:                             ;   in Loop: Header=BB2_1668 Depth=4
	s_or_b64 exec, exec, s[38:39]
                                        ; implicit-def: $vgpr30
.LBB2_2129:                             ;   in Loop: Header=BB2_1668 Depth=4
	s_andn2_saveexec_b64 s[40:41], s[36:37]
; %bb.2130:                             ;   in Loop: Header=BB2_1668 Depth=4
	v_or_b32_e32 v31, 0x7e, v30
; %bb.2131:                             ;   in Loop: Header=BB2_1668 Depth=4
	s_or_b64 exec, exec, s[40:41]
                                        ; implicit-def: $vgpr52
.LBB2_2132:                             ;   in Loop: Header=BB2_1668 Depth=4
	s_andn2_saveexec_b64 s[40:41], s[34:35]
; %bb.2133:                             ;   in Loop: Header=BB2_1668 Depth=4
	v_or_b32_sdwa v31, v52, s85 dst_sel:DWORD dst_unused:UNUSED_PAD src0_sel:BYTE_3 src1_sel:DWORD
; %bb.2134:                             ;   in Loop: Header=BB2_1668 Depth=4
	s_or_b64 exec, exec, s[40:41]
	v_lshl_or_b32 v52, v59, 8, v25
	v_lshlrev_b32_e32 v23, 16, v23
	v_lshlrev_b32_e32 v28, 24, v33
	v_or3_b32 v28, v23, v28, v52
	v_cmp_ne_u32_e32 vcc, 0, v25
	v_mov_b32_e32 v23, 0
	s_and_saveexec_b64 s[40:41], vcc
	s_cbranch_execz .LBB2_2140
; %bb.2135:                             ;   in Loop: Header=BB2_1668 Depth=4
	v_cmp_ne_u32_e32 vcc, s87, v25
	v_bfrev_b32_e32 v23, 1
	s_and_saveexec_b64 s[34:35], vcc
	s_cbranch_execz .LBB2_2139
; %bb.2136:                             ;   in Loop: Header=BB2_1668 Depth=4
	v_and_b32_e32 v30, 0x7f, v25
	v_cmp_ne_u32_e32 vcc, s85, v30
	v_mov_b32_e32 v23, 0x7f800001
	s_and_saveexec_b64 s[36:37], vcc
	s_cbranch_execz .LBB2_2138
; %bb.2137:                             ;   in Loop: Header=BB2_1668 Depth=4
	v_and_b32_e32 v23, 7, v25
	v_ffbh_u32_e32 v23, v23
	v_min_u32_e32 v23, 32, v23
	v_lshrrev_b32_e32 v25, 3, v30
	v_cmp_gt_u32_e32 vcc, 8, v30
	v_subrev_u32_e32 v30, 28, v23
	v_sub_u32_e32 v23, 29, v23
	v_cndmask_b32_e32 v23, v25, v23, vcc
	v_cndmask_b32_e32 v25, 0, v30, vcc
	v_lshlrev_b64 v[53:54], v25, v[28:29]
	v_lshlrev_b32_e32 v30, 24, v28
	v_lshlrev_b32_e32 v25, 20, v53
	v_and_b32_e32 v25, 0x700000, v25
	v_and_b32_e32 v30, 0x80000000, v30
	v_lshl_add_u32 v23, v23, 23, v17
	v_or3_b32 v23, v30, v23, v25
.LBB2_2138:                             ;   in Loop: Header=BB2_1668 Depth=4
	s_or_b64 exec, exec, s[36:37]
.LBB2_2139:                             ;   in Loop: Header=BB2_1668 Depth=4
	s_or_b64 exec, exec, s[34:35]
.LBB2_2140:                             ;   in Loop: Header=BB2_1668 Depth=4
	s_or_b64 exec, exec, s[40:41]
	v_cmp_gt_i16_sdwa vcc, v9, s85 src0_sel:BYTE_0 src1_sel:DWORD
	s_mov_b64 s[40:41], 0
	s_and_saveexec_b64 s[34:35], vcc
	s_xor_b64 vcc, exec, s[34:35]
	s_cbranch_execz .LBB2_2144
; %bb.2141:                             ;   in Loop: Header=BB2_1668 Depth=4
	v_cmp_eq_u16_sdwa s[36:37], v9, s87 src0_sel:BYTE_0 src1_sel:DWORD
	s_mov_b64 s[40:41], -1
	s_and_saveexec_b64 s[34:35], s[36:37]
; %bb.2142:                             ;   in Loop: Header=BB2_1668 Depth=4
	s_xor_b64 s[40:41], exec, -1
; %bb.2143:                             ;   in Loop: Header=BB2_1668 Depth=4
	s_or_b64 exec, exec, s[34:35]
	s_and_b64 s[40:41], s[40:41], exec
.LBB2_2144:                             ;   in Loop: Header=BB2_1668 Depth=4
	s_or_saveexec_b64 vcc, vcc
	v_bfrev_b32_e32 v25, 1
	s_xor_b64 exec, exec, vcc
; %bb.2145:                             ;   in Loop: Header=BB2_1668 Depth=4
	v_cmp_ne_u16_sdwa s[34:35], v9, v29 src0_sel:BYTE_0 src1_sel:DWORD
	s_andn2_b64 s[40:41], s[40:41], exec
	s_and_b64 s[34:35], s[34:35], exec
	v_mov_b32_e32 v25, 0
	s_or_b64 s[40:41], s[40:41], s[34:35]
; %bb.2146:                             ;   in Loop: Header=BB2_1668 Depth=4
	s_or_b64 exec, exec, vcc
	v_mov_b32_e32 v56, v9
	v_mov_b32_e32 v57, v29
	s_and_saveexec_b64 s[34:35], s[40:41]
	s_cbranch_execz .LBB2_2148
; %bb.2147:                             ;   in Loop: Header=BB2_1668 Depth=4
	v_and_b32_e32 v25, 7, v9
	v_ffbh_u32_e32 v25, v25
	v_and_b32_e32 v30, 0x7f, v9
	v_min_u32_e32 v25, 32, v25
	v_bfe_u32 v33, v9, 3, 4
	v_subrev_u32_e32 v53, 28, v25
	v_sub_u32_e32 v25, 29, v25
	v_cmp_gt_u32_e32 vcc, 8, v30
	v_cndmask_b32_e32 v25, v33, v25, vcc
	v_cndmask_b32_e32 v33, 0, v53, vcc
	v_lshlrev_b64 v[53:54], v33, v[56:57]
	v_lshl_add_u32 v25, v25, 23, v17
	v_lshlrev_b32_e32 v33, 20, v53
	v_lshlrev_b32_e32 v53, 24, v56
	v_and_b32_e32 v33, 0x700000, v33
	v_and_b32_e32 v53, 0x80000000, v53
	v_or3_b32 v25, v53, v25, v33
	v_cmp_ne_u32_e32 vcc, s85, v30
	v_cndmask_b32_e32 v25, v4, v25, vcc
.LBB2_2148:                             ;   in Loop: Header=BB2_1668 Depth=4
	s_or_b64 exec, exec, s[34:35]
	v_add_f32_e32 v30, v23, v25
	v_and_b32_e32 v53, 0x7f800000, v30
	v_mov_b32_e32 v54, v29
	v_cmp_ne_u64_e32 vcc, s[76:77], v[53:54]
                                        ; implicit-def: $vgpr23
	s_and_saveexec_b64 s[40:41], vcc
	s_xor_b64 s[34:35], exec, s[40:41]
	s_cbranch_execz .LBB2_2162
; %bb.2149:                             ;   in Loop: Header=BB2_1668 Depth=4
	v_and_b32_e32 v53, 0x7fffffff, v30
	v_mov_b32_e32 v54, v29
	v_cmp_gt_u64_e32 vcc, s[78:79], v[53:54]
	v_and_b32_sdwa v25, v30, s87 dst_sel:DWORD dst_unused:UNUSED_PAD src0_sel:BYTE_3 src1_sel:DWORD
                                        ; implicit-def: $vgpr23
	s_and_saveexec_b64 s[40:41], vcc
	s_xor_b64 s[36:37], exec, s[40:41]
	s_cbranch_execz .LBB2_2159
; %bb.2150:                             ;   in Loop: Header=BB2_1668 Depth=4
	v_mov_b32_e32 v23, 0
	v_cmp_ne_u32_e32 vcc, 0, v30
	s_and_saveexec_b64 s[38:39], vcc
	s_cbranch_execz .LBB2_2158
; %bb.2151:                             ;   in Loop: Header=BB2_1668 Depth=4
	v_bfe_u32 v23, v30, 23, 8
	v_and_b32_e32 v33, 0x7fffff, v30
	v_cmp_gt_u32_e64 s[40:41], s96, v23
	v_sub_u32_e32 v30, 0x79, v23
	v_cmp_eq_u32_e32 vcc, 0, v23
	v_cndmask_b32_e64 v30, 0, v30, s[40:41]
	v_or_b32_e32 v53, 0x800000, v33
	v_cndmask_b32_e32 v30, v30, v36, vcc
	v_cndmask_b32_e32 v53, v53, v33, vcc
	v_add_u32_e32 v33, 20, v30
	v_lshlrev_b64 v[57:58], v33, -1
	v_add_u32_e32 v33, 19, v30
	v_lshlrev_b64 v[59:60], v33, 1
	v_mov_b32_e32 v54, v29
	v_bfi_b32 v58, v58, 0, 0
	v_bfi_b32 v57, v57, 0, v53
	v_cmp_eq_u64_e64 s[40:41], v[57:58], v[59:60]
	v_lshrrev_b64 v[57:58], v30, v[53:54]
	v_mov_b32_e32 v59, v58
	v_mov_b32_e32 v58, v57
	s_and_saveexec_b64 s[48:49], s[40:41]
; %bb.2152:                             ;   in Loop: Header=BB2_1668 Depth=4
	v_bfe_u32 v33, v57, 20, 1
	v_add_co_u32_e64 v33, s[40:41], v57, v33
	v_add_co_u32_e64 v58, s[40:41], -1, v33
; %bb.2153:                             ;   in Loop: Header=BB2_1668 Depth=4
	s_or_b64 exec, exec, s[48:49]
	v_add_u32_e32 v23, 0xffffff81, v23
	v_cndmask_b32_e32 v23, v23, v37, vcc
	v_lshrrev_b32_e32 v33, 23, v57
	v_add3_u32 v33, v30, v23, v33
	v_add_u32_e32 v30, 6, v33
	v_and_b32_e32 v23, 0xfffff, v58
	v_add_u32_e32 v57, v23, v57
	v_mov_b32_e32 v58, v29
	v_cmp_ne_u32_e32 vcc, 0, v30
                                        ; implicit-def: $vgpr23
	s_and_saveexec_b64 s[40:41], vcc
	s_xor_b64 s[40:41], exec, s[40:41]
; %bb.2154:                             ;   in Loop: Header=BB2_1668 Depth=4
	v_cmp_lt_u64_e32 vcc, s[88:89], v[57:58]
	v_add_u32_e32 v23, 7, v33
	v_cndmask_b32_e32 v23, v30, v23, vcc
	v_cndmask_b32_e64 v30, 0, 1, vcc
	v_lshrrev_b64 v[57:58], v30, v[57:58]
; %bb.2155:                             ;   in Loop: Header=BB2_1668 Depth=4
	s_andn2_saveexec_b64 s[40:41], s[40:41]
; %bb.2156:                             ;   in Loop: Header=BB2_1668 Depth=4
	v_bfe_u32 v23, v57, 23, 1
; %bb.2157:                             ;   in Loop: Header=BB2_1668 Depth=4
	s_or_b64 exec, exec, s[40:41]
	v_lshrrev_b64 v[53:54], 20, v[57:58]
	v_cmp_gt_i32_e32 vcc, 16, v23
	v_cndmask_b32_e32 v54, 0, v54, vcc
	v_cndmask_b32_e32 v53, 7, v53, vcc
	v_cmp_eq_u32_e32 vcc, 0, v23
	v_min_i32_e32 v23, 15, v23
	v_cmp_eq_u64_e64 s[40:41], 0, v[53:54]
	v_lshlrev_b32_e32 v23, 3, v23
	v_and_b32_e32 v23, 0xf8, v23
	v_and_or_b32 v23, v53, 7, v23
	s_and_b64 s[40:41], vcc, s[40:41]
	v_cndmask_b32_e64 v23, v23, 0, s[40:41]
	v_or_b32_e32 v23, v23, v25
.LBB2_2158:                             ;   in Loop: Header=BB2_1668 Depth=4
	s_or_b64 exec, exec, s[38:39]
                                        ; implicit-def: $vgpr25
.LBB2_2159:                             ;   in Loop: Header=BB2_1668 Depth=4
	s_andn2_saveexec_b64 s[40:41], s[36:37]
; %bb.2160:                             ;   in Loop: Header=BB2_1668 Depth=4
	v_or_b32_e32 v23, 0x7e, v25
; %bb.2161:                             ;   in Loop: Header=BB2_1668 Depth=4
	s_or_b64 exec, exec, s[40:41]
                                        ; implicit-def: $vgpr30
.LBB2_2162:                             ;   in Loop: Header=BB2_1668 Depth=4
	s_andn2_saveexec_b64 s[40:41], s[34:35]
; %bb.2163:                             ;   in Loop: Header=BB2_1668 Depth=4
	v_or_b32_sdwa v23, v30, s85 dst_sel:DWORD dst_unused:UNUSED_PAD src0_sel:BYTE_3 src1_sel:DWORD
; %bb.2164:                             ;   in Loop: Header=BB2_1668 Depth=4
	s_or_b64 exec, exec, s[40:41]
	v_lshrrev_b16_e32 v30, 8, v52
	v_cmp_ne_u16_e32 vcc, 0, v30
	v_mov_b32_e32 v25, 0
	s_and_saveexec_b64 s[40:41], vcc
	s_cbranch_execz .LBB2_2170
; %bb.2165:                             ;   in Loop: Header=BB2_1668 Depth=4
	v_cmp_ne_u16_e32 vcc, s87, v30
	v_bfrev_b32_e32 v25, 1
	s_and_saveexec_b64 s[34:35], vcc
	s_cbranch_execz .LBB2_2169
; %bb.2166:                             ;   in Loop: Header=BB2_1668 Depth=4
	v_and_b32_e32 v33, 0x7f, v30
	v_cmp_ne_u32_e32 vcc, s85, v33
	v_mov_b32_e32 v25, 0x7f800001
	s_and_saveexec_b64 s[36:37], vcc
	s_cbranch_execz .LBB2_2168
; %bb.2167:                             ;   in Loop: Header=BB2_1668 Depth=4
	v_and_b32_e32 v25, 7, v30
	v_lshrrev_b32_e32 v55, 3, v33
	v_cmp_gt_u32_e32 vcc, 8, v33
	v_ffbh_u32_e32 v33, v25
	v_min_u32_e32 v33, 32, v33
	v_subrev_u32_e32 v53, 28, v33
	v_lshlrev_b64 v[53:54], v53, v[30:31]
	v_sub_u32_e32 v30, 29, v33
	v_and_b32_e32 v33, 7, v53
	v_cndmask_b32_e32 v30, v55, v30, vcc
	v_cndmask_b32_e32 v25, v25, v33, vcc
	v_lshlrev_b32_e32 v33, 16, v52
	v_lshlrev_b32_e32 v25, 20, v25
	v_and_b32_e32 v33, 0x80000000, v33
	v_lshl_add_u32 v30, v30, 23, v17
	v_or3_b32 v25, v33, v30, v25
.LBB2_2168:                             ;   in Loop: Header=BB2_1668 Depth=4
	s_or_b64 exec, exec, s[36:37]
.LBB2_2169:                             ;   in Loop: Header=BB2_1668 Depth=4
	s_or_b64 exec, exec, s[34:35]
.LBB2_2170:                             ;   in Loop: Header=BB2_1668 Depth=4
	s_or_b64 exec, exec, s[40:41]
	v_lshrrev_b16_e32 v56, 8, v56
	v_cmp_lt_i16_e32 vcc, s85, v56
	s_mov_b64 s[40:41], 0
	s_and_saveexec_b64 s[34:35], vcc
	s_xor_b64 s[34:35], exec, s[34:35]
	s_cbranch_execz .LBB2_2462
; %bb.2171:                             ;   in Loop: Header=BB2_1668 Depth=4
	v_cmp_eq_u16_e32 vcc, s87, v56
	s_mov_b64 s[40:41], -1
	s_and_saveexec_b64 s[36:37], vcc
; %bb.2172:                             ;   in Loop: Header=BB2_1668 Depth=4
	s_xor_b64 s[40:41], exec, -1
; %bb.2173:                             ;   in Loop: Header=BB2_1668 Depth=4
	s_or_b64 exec, exec, s[36:37]
	s_and_b64 s[40:41], s[40:41], exec
	s_or_saveexec_b64 s[34:35], s[34:35]
	v_bfrev_b32_e32 v30, 1
	s_xor_b64 exec, exec, s[34:35]
	s_cbranch_execnz .LBB2_2463
.LBB2_2174:                             ;   in Loop: Header=BB2_1668 Depth=4
	s_or_b64 exec, exec, s[34:35]
	s_and_saveexec_b64 s[34:35], s[40:41]
	s_cbranch_execz .LBB2_2176
.LBB2_2175:                             ;   in Loop: Header=BB2_1668 Depth=4
	v_and_b32_e32 v30, 7, v56
	v_ffbh_u32_e32 v52, v30
	v_min_u32_e32 v55, 32, v52
	v_mov_b32_e32 v57, v29
	v_subrev_u32_e32 v52, 28, v55
	v_lshlrev_b64 v[52:53], v52, v[56:57]
	v_and_b32_e32 v33, 0x7f, v56
	v_bfe_u32 v54, v56, 3, 4
	v_sub_u32_e32 v53, 29, v55
	v_and_b32_e32 v52, 7, v52
	v_cmp_gt_u32_e32 vcc, 8, v33
	v_cndmask_b32_e32 v53, v54, v53, vcc
	v_cndmask_b32_e32 v30, v30, v52, vcc
	v_lshlrev_b32_e32 v52, 24, v56
	v_lshlrev_b32_e32 v30, 20, v30
	v_and_b32_e32 v52, 0x80000000, v52
	v_lshl_add_u32 v53, v53, 23, v17
	v_or3_b32 v30, v52, v53, v30
	v_cmp_ne_u32_e32 vcc, s85, v33
	v_cndmask_b32_e32 v30, v4, v30, vcc
.LBB2_2176:                             ;   in Loop: Header=BB2_1668 Depth=4
	s_or_b64 exec, exec, s[34:35]
	v_add_f32_e32 v33, v25, v30
	v_and_b32_e32 v52, 0x7f800000, v33
	v_mov_b32_e32 v53, v29
	v_cmp_ne_u64_e32 vcc, s[76:77], v[52:53]
                                        ; implicit-def: $vgpr25
	s_and_saveexec_b64 s[40:41], vcc
	s_xor_b64 s[34:35], exec, s[40:41]
	s_cbranch_execz .LBB2_2190
; %bb.2177:                             ;   in Loop: Header=BB2_1668 Depth=4
	v_and_b32_e32 v52, 0x7fffffff, v33
	v_mov_b32_e32 v53, v29
	v_cmp_gt_u64_e32 vcc, s[78:79], v[52:53]
	v_and_b32_sdwa v30, v33, s87 dst_sel:DWORD dst_unused:UNUSED_PAD src0_sel:BYTE_3 src1_sel:DWORD
                                        ; implicit-def: $vgpr25
	s_and_saveexec_b64 s[40:41], vcc
	s_xor_b64 s[36:37], exec, s[40:41]
	s_cbranch_execz .LBB2_2187
; %bb.2178:                             ;   in Loop: Header=BB2_1668 Depth=4
	v_mov_b32_e32 v25, 0
	v_cmp_ne_u32_e32 vcc, 0, v33
	s_and_saveexec_b64 s[38:39], vcc
	s_cbranch_execz .LBB2_2186
; %bb.2179:                             ;   in Loop: Header=BB2_1668 Depth=4
	v_bfe_u32 v25, v33, 23, 8
	v_and_b32_e32 v52, 0x7fffff, v33
	v_cmp_gt_u32_e64 s[40:41], s96, v25
	v_sub_u32_e32 v33, 0x79, v25
	v_cmp_eq_u32_e32 vcc, 0, v25
	v_cndmask_b32_e64 v33, 0, v33, s[40:41]
	v_cndmask_b32_e32 v33, v33, v36, vcc
	v_add_u32_e32 v54, 20, v33
	v_or_b32_e32 v53, 0x800000, v52
	v_lshlrev_b64 v[54:55], v54, -1
	v_add_u32_e32 v56, 19, v33
	v_cndmask_b32_e32 v52, v53, v52, vcc
	v_lshlrev_b64 v[56:57], v56, 1
	v_mov_b32_e32 v53, v29
	v_bfi_b32 v55, v55, 0, 0
	v_bfi_b32 v54, v54, 0, v52
	v_cmp_eq_u64_e64 s[40:41], v[54:55], v[56:57]
	v_lshrrev_b64 v[56:57], v33, v[52:53]
	v_mov_b32_e32 v58, v57
	v_mov_b32_e32 v57, v56
	s_and_saveexec_b64 s[48:49], s[40:41]
; %bb.2180:                             ;   in Loop: Header=BB2_1668 Depth=4
	v_bfe_u32 v52, v56, 20, 1
	v_add_co_u32_e64 v52, s[40:41], v56, v52
	v_add_co_u32_e64 v57, s[40:41], -1, v52
; %bb.2181:                             ;   in Loop: Header=BB2_1668 Depth=4
	s_or_b64 exec, exec, s[48:49]
	v_add_u32_e32 v25, 0xffffff81, v25
	v_cndmask_b32_e32 v25, v25, v37, vcc
	v_lshrrev_b32_e32 v52, 23, v56
	v_add3_u32 v52, v33, v25, v52
	v_add_u32_e32 v33, 6, v52
	v_and_b32_e32 v25, 0xfffff, v57
	v_add_u32_e32 v56, v25, v56
	v_mov_b32_e32 v57, v29
	v_cmp_ne_u32_e32 vcc, 0, v33
                                        ; implicit-def: $vgpr25
	s_and_saveexec_b64 s[40:41], vcc
	s_xor_b64 s[40:41], exec, s[40:41]
; %bb.2182:                             ;   in Loop: Header=BB2_1668 Depth=4
	v_cmp_lt_u64_e32 vcc, s[88:89], v[56:57]
	v_add_u32_e32 v25, 7, v52
	v_cndmask_b32_e32 v25, v33, v25, vcc
	v_cndmask_b32_e64 v33, 0, 1, vcc
	v_lshrrev_b64 v[56:57], v33, v[56:57]
; %bb.2183:                             ;   in Loop: Header=BB2_1668 Depth=4
	s_andn2_saveexec_b64 s[40:41], s[40:41]
; %bb.2184:                             ;   in Loop: Header=BB2_1668 Depth=4
	v_bfe_u32 v25, v56, 23, 1
; %bb.2185:                             ;   in Loop: Header=BB2_1668 Depth=4
	s_or_b64 exec, exec, s[40:41]
	v_lshrrev_b64 v[52:53], 20, v[56:57]
	v_cmp_gt_i32_e32 vcc, 16, v25
	v_cndmask_b32_e32 v53, 0, v53, vcc
	v_cndmask_b32_e32 v52, 7, v52, vcc
	v_cmp_eq_u32_e32 vcc, 0, v25
	v_min_i32_e32 v25, 15, v25
	v_cmp_eq_u64_e64 s[40:41], 0, v[52:53]
	v_lshlrev_b32_e32 v25, 3, v25
	v_and_b32_e32 v25, 0xf8, v25
	v_and_or_b32 v25, v52, 7, v25
	s_and_b64 s[40:41], vcc, s[40:41]
	v_cndmask_b32_e64 v25, v25, 0, s[40:41]
	v_or_b32_e32 v25, v25, v30
.LBB2_2186:                             ;   in Loop: Header=BB2_1668 Depth=4
	s_or_b64 exec, exec, s[38:39]
                                        ; implicit-def: $vgpr30
.LBB2_2187:                             ;   in Loop: Header=BB2_1668 Depth=4
	s_andn2_saveexec_b64 s[40:41], s[36:37]
; %bb.2188:                             ;   in Loop: Header=BB2_1668 Depth=4
	v_or_b32_e32 v25, 0x7e, v30
; %bb.2189:                             ;   in Loop: Header=BB2_1668 Depth=4
	s_or_b64 exec, exec, s[40:41]
                                        ; implicit-def: $vgpr33
.LBB2_2190:                             ;   in Loop: Header=BB2_1668 Depth=4
	s_andn2_saveexec_b64 s[40:41], s[34:35]
; %bb.2191:                             ;   in Loop: Header=BB2_1668 Depth=4
	v_or_b32_sdwa v25, v33, s85 dst_sel:DWORD dst_unused:UNUSED_PAD src0_sel:BYTE_3 src1_sel:DWORD
; %bb.2192:                             ;   in Loop: Header=BB2_1668 Depth=4
	s_or_b64 exec, exec, s[40:41]
	v_lshrrev_b32_e32 v30, 16, v28
	v_cmp_ne_u16_sdwa vcc, v30, v29 src0_sel:BYTE_0 src1_sel:DWORD
	v_mov_b32_e32 v33, 0
	s_and_saveexec_b64 s[40:41], vcc
	s_cbranch_execz .LBB2_2198
; %bb.2193:                             ;   in Loop: Header=BB2_1668 Depth=4
	v_cmp_ne_u16_sdwa vcc, v30, s87 src0_sel:BYTE_0 src1_sel:DWORD
	v_bfrev_b32_e32 v33, 1
	s_and_saveexec_b64 s[34:35], vcc
	s_cbranch_execz .LBB2_2197
; %bb.2194:                             ;   in Loop: Header=BB2_1668 Depth=4
	v_bfe_u32 v52, v28, 16, 7
	v_cmp_ne_u32_e32 vcc, s85, v52
	v_mov_b32_e32 v33, 0x7f800001
	s_and_saveexec_b64 s[36:37], vcc
	s_cbranch_execz .LBB2_2196
; %bb.2195:                             ;   in Loop: Header=BB2_1668 Depth=4
	v_and_b32_e32 v33, 7, v30
	v_lshrrev_b32_e32 v54, 3, v52
	v_cmp_gt_u32_e32 vcc, 8, v52
	v_ffbh_u32_e32 v52, v33
	v_min_u32_e32 v55, 32, v52
	v_subrev_u32_e32 v52, 28, v55
	v_lshlrev_b64 v[52:53], v52, v[30:31]
	v_sub_u32_e32 v53, 29, v55
	v_and_b32_e32 v52, 7, v52
	v_cndmask_b32_e32 v53, v54, v53, vcc
	v_cndmask_b32_e32 v33, v33, v52, vcc
	v_lshlrev_b32_e32 v30, 24, v30
	v_lshlrev_b32_e32 v33, 20, v33
	v_and_b32_e32 v30, 0x80000000, v30
	v_lshl_add_u32 v52, v53, 23, v17
	v_or3_b32 v33, v30, v52, v33
.LBB2_2196:                             ;   in Loop: Header=BB2_1668 Depth=4
	s_or_b64 exec, exec, s[36:37]
.LBB2_2197:                             ;   in Loop: Header=BB2_1668 Depth=4
	s_or_b64 exec, exec, s[34:35]
.LBB2_2198:                             ;   in Loop: Header=BB2_1668 Depth=4
	s_or_b64 exec, exec, s[40:41]
	v_lshrrev_b32_e32 v30, 16, v9
	v_cmp_gt_i16_sdwa vcc, v30, s85 src0_sel:BYTE_0 src1_sel:DWORD
	s_mov_b64 s[40:41], 0
	s_and_saveexec_b64 s[34:35], vcc
	s_xor_b64 vcc, exec, s[34:35]
	s_cbranch_execz .LBB2_2464
; %bb.2199:                             ;   in Loop: Header=BB2_1668 Depth=4
	v_cmp_eq_u16_sdwa s[36:37], v30, s87 src0_sel:BYTE_0 src1_sel:DWORD
	s_mov_b64 s[40:41], -1
	s_and_saveexec_b64 s[34:35], s[36:37]
; %bb.2200:                             ;   in Loop: Header=BB2_1668 Depth=4
	s_xor_b64 s[40:41], exec, -1
; %bb.2201:                             ;   in Loop: Header=BB2_1668 Depth=4
	s_or_b64 exec, exec, s[34:35]
	s_and_b64 s[40:41], s[40:41], exec
	s_or_saveexec_b64 vcc, vcc
	v_bfrev_b32_e32 v52, 1
	s_xor_b64 exec, exec, vcc
	s_cbranch_execnz .LBB2_2465
.LBB2_2202:                             ;   in Loop: Header=BB2_1668 Depth=4
	s_or_b64 exec, exec, vcc
	s_and_saveexec_b64 s[34:35], s[40:41]
	s_cbranch_execz .LBB2_2204
.LBB2_2203:                             ;   in Loop: Header=BB2_1668 Depth=4
	v_and_b32_e32 v54, 7, v30
	v_ffbh_u32_e32 v52, v54
	v_min_u32_e32 v57, 32, v52
	v_subrev_u32_e32 v52, 28, v57
	v_lshlrev_b64 v[52:53], v52, v[30:31]
	v_and_b32_e32 v55, 0x7f, v30
	v_bfe_u32 v56, v30, 3, 4
	v_sub_u32_e32 v53, 29, v57
	v_and_b32_e32 v52, 7, v52
	v_cmp_gt_u32_e32 vcc, 8, v55
	v_cndmask_b32_e32 v53, v56, v53, vcc
	v_cndmask_b32_e32 v52, v54, v52, vcc
	v_lshlrev_b32_e32 v30, 24, v30
	v_lshlrev_b32_e32 v52, 20, v52
	v_and_b32_e32 v30, 0x80000000, v30
	v_lshl_add_u32 v53, v53, 23, v17
	v_or3_b32 v30, v30, v53, v52
	v_cmp_ne_u32_e32 vcc, s85, v55
	v_cndmask_b32_e32 v52, v4, v30, vcc
.LBB2_2204:                             ;   in Loop: Header=BB2_1668 Depth=4
	s_or_b64 exec, exec, s[34:35]
	v_add_f32_e32 v52, v33, v52
	v_and_b32_e32 v53, 0x7f800000, v52
	v_mov_b32_e32 v54, v29
	v_cmp_ne_u64_e32 vcc, s[76:77], v[53:54]
                                        ; implicit-def: $vgpr33
	s_and_saveexec_b64 s[40:41], vcc
	s_xor_b64 s[34:35], exec, s[40:41]
	s_cbranch_execz .LBB2_2218
; %bb.2205:                             ;   in Loop: Header=BB2_1668 Depth=4
	v_and_b32_e32 v53, 0x7fffffff, v52
	v_mov_b32_e32 v54, v29
	v_cmp_gt_u64_e32 vcc, s[78:79], v[53:54]
	v_and_b32_sdwa v30, v52, s87 dst_sel:DWORD dst_unused:UNUSED_PAD src0_sel:BYTE_3 src1_sel:DWORD
                                        ; implicit-def: $vgpr33
	s_and_saveexec_b64 s[40:41], vcc
	s_xor_b64 s[36:37], exec, s[40:41]
	s_cbranch_execz .LBB2_2215
; %bb.2206:                             ;   in Loop: Header=BB2_1668 Depth=4
	v_mov_b32_e32 v33, 0
	v_cmp_ne_u32_e32 vcc, 0, v52
	s_and_saveexec_b64 s[38:39], vcc
	s_cbranch_execz .LBB2_2214
; %bb.2207:                             ;   in Loop: Header=BB2_1668 Depth=4
	v_bfe_u32 v33, v52, 23, 8
	v_and_b32_e32 v53, 0x7fffff, v52
	v_cmp_gt_u32_e64 s[40:41], s96, v33
	v_sub_u32_e32 v52, 0x79, v33
	v_cmp_eq_u32_e32 vcc, 0, v33
	v_cndmask_b32_e64 v52, 0, v52, s[40:41]
	v_cndmask_b32_e32 v52, v52, v36, vcc
	v_add_u32_e32 v55, 20, v52
	v_or_b32_e32 v54, 0x800000, v53
	v_lshlrev_b64 v[55:56], v55, -1
	v_add_u32_e32 v57, 19, v52
	v_cndmask_b32_e32 v53, v54, v53, vcc
	v_lshlrev_b64 v[57:58], v57, 1
	v_mov_b32_e32 v54, v29
	v_bfi_b32 v56, v56, 0, 0
	v_bfi_b32 v55, v55, 0, v53
	v_cmp_eq_u64_e64 s[40:41], v[55:56], v[57:58]
	v_lshrrev_b64 v[56:57], v52, v[53:54]
	v_mov_b32_e32 v58, v57
	v_mov_b32_e32 v57, v56
	s_and_saveexec_b64 s[48:49], s[40:41]
; %bb.2208:                             ;   in Loop: Header=BB2_1668 Depth=4
	v_bfe_u32 v53, v56, 20, 1
	v_add_co_u32_e64 v53, s[40:41], v56, v53
	v_add_co_u32_e64 v57, s[40:41], -1, v53
; %bb.2209:                             ;   in Loop: Header=BB2_1668 Depth=4
	s_or_b64 exec, exec, s[48:49]
	v_add_u32_e32 v33, 0xffffff81, v33
	v_cndmask_b32_e32 v33, v33, v37, vcc
	v_lshrrev_b32_e32 v53, 23, v56
	v_add3_u32 v53, v52, v33, v53
	v_add_u32_e32 v52, 6, v53
	v_and_b32_e32 v33, 0xfffff, v57
	v_add_u32_e32 v56, v33, v56
	v_mov_b32_e32 v57, v29
	v_cmp_ne_u32_e32 vcc, 0, v52
                                        ; implicit-def: $vgpr33
	s_and_saveexec_b64 s[40:41], vcc
	s_xor_b64 s[40:41], exec, s[40:41]
; %bb.2210:                             ;   in Loop: Header=BB2_1668 Depth=4
	v_cmp_lt_u64_e32 vcc, s[88:89], v[56:57]
	v_add_u32_e32 v33, 7, v53
	v_cndmask_b32_e32 v33, v52, v33, vcc
	v_cndmask_b32_e64 v52, 0, 1, vcc
	v_lshrrev_b64 v[56:57], v52, v[56:57]
; %bb.2211:                             ;   in Loop: Header=BB2_1668 Depth=4
	s_andn2_saveexec_b64 s[40:41], s[40:41]
; %bb.2212:                             ;   in Loop: Header=BB2_1668 Depth=4
	v_bfe_u32 v33, v56, 23, 1
; %bb.2213:                             ;   in Loop: Header=BB2_1668 Depth=4
	s_or_b64 exec, exec, s[40:41]
	v_lshrrev_b64 v[52:53], 20, v[56:57]
	v_cmp_gt_i32_e32 vcc, 16, v33
	v_cndmask_b32_e32 v53, 0, v53, vcc
	v_cndmask_b32_e32 v52, 7, v52, vcc
	v_cmp_eq_u32_e32 vcc, 0, v33
	v_min_i32_e32 v33, 15, v33
	v_cmp_eq_u64_e64 s[40:41], 0, v[52:53]
	v_lshlrev_b32_e32 v33, 3, v33
	v_and_b32_e32 v33, 0xf8, v33
	v_and_or_b32 v33, v52, 7, v33
	s_and_b64 s[40:41], vcc, s[40:41]
	v_cndmask_b32_e64 v33, v33, 0, s[40:41]
	v_or_b32_e32 v33, v33, v30
.LBB2_2214:                             ;   in Loop: Header=BB2_1668 Depth=4
	s_or_b64 exec, exec, s[38:39]
                                        ; implicit-def: $vgpr30
.LBB2_2215:                             ;   in Loop: Header=BB2_1668 Depth=4
	s_andn2_saveexec_b64 s[40:41], s[36:37]
; %bb.2216:                             ;   in Loop: Header=BB2_1668 Depth=4
	v_or_b32_e32 v33, 0x7e, v30
; %bb.2217:                             ;   in Loop: Header=BB2_1668 Depth=4
	s_or_b64 exec, exec, s[40:41]
                                        ; implicit-def: $vgpr52
.LBB2_2218:                             ;   in Loop: Header=BB2_1668 Depth=4
	s_andn2_saveexec_b64 s[40:41], s[34:35]
; %bb.2219:                             ;   in Loop: Header=BB2_1668 Depth=4
	v_or_b32_sdwa v33, v52, s85 dst_sel:DWORD dst_unused:UNUSED_PAD src0_sel:BYTE_3 src1_sel:DWORD
; %bb.2220:                             ;   in Loop: Header=BB2_1668 Depth=4
	s_or_b64 exec, exec, s[40:41]
	v_cmp_lt_u32_e32 vcc, s57, v28
	v_mov_b32_e32 v52, 0
	s_and_saveexec_b64 s[40:41], vcc
	s_cbranch_execz .LBB2_2226
; %bb.2221:                             ;   in Loop: Header=BB2_1668 Depth=4
	v_lshrrev_b32_e32 v30, 24, v28
	v_cmp_ne_u32_sdwa vcc, v28, s87 src0_sel:BYTE_3 src1_sel:DWORD
	v_bfrev_b32_e32 v52, 1
	s_and_saveexec_b64 s[34:35], vcc
	s_cbranch_execz .LBB2_2225
; %bb.2222:                             ;   in Loop: Header=BB2_1668 Depth=4
	v_bfe_u32 v53, v28, 24, 7
	v_cmp_ne_u32_e32 vcc, s85, v53
	v_mov_b32_e32 v52, 0x7f800001
	s_and_saveexec_b64 s[36:37], vcc
	s_cbranch_execz .LBB2_2224
; %bb.2223:                             ;   in Loop: Header=BB2_1668 Depth=4
	v_and_b32_e32 v54, 7, v30
	v_ffbh_u32_e32 v52, v54
	v_min_u32_e32 v56, 32, v52
	v_subrev_u32_e32 v52, 28, v56
	v_lshrrev_b32_e32 v55, 3, v53
	v_cmp_gt_u32_e32 vcc, 8, v53
	v_lshlrev_b64 v[52:53], v52, v[30:31]
	v_sub_u32_e32 v30, 29, v56
	v_and_b32_e32 v52, 7, v52
	v_mov_b32_e32 v53, 24
	v_cndmask_b32_e32 v30, v55, v30, vcc
	v_cndmask_b32_e32 v52, v54, v52, vcc
	v_lshlrev_b32_sdwa v28, v53, v28 dst_sel:DWORD dst_unused:UNUSED_PAD src0_sel:DWORD src1_sel:BYTE_3
	v_lshlrev_b32_e32 v52, 20, v52
	v_and_b32_e32 v28, 0x80000000, v28
	v_lshl_add_u32 v30, v30, 23, v17
	v_or3_b32 v52, v28, v30, v52
.LBB2_2224:                             ;   in Loop: Header=BB2_1668 Depth=4
	s_or_b64 exec, exec, s[36:37]
.LBB2_2225:                             ;   in Loop: Header=BB2_1668 Depth=4
	s_or_b64 exec, exec, s[34:35]
.LBB2_2226:                             ;   in Loop: Header=BB2_1668 Depth=4
	s_or_b64 exec, exec, s[40:41]
	v_bfe_u32 v30, v9, 24, 3
	v_ffbh_u32_e32 v53, v30
	v_min_u32_e32 v57, 32, v53
	v_lshrrev_b32_e32 v28, 24, v9
	v_subrev_u32_e32 v53, 28, v57
	v_lshlrev_b64 v[53:54], v53, v[28:29]
	v_bfe_u32 v55, v9, 24, 7
	v_bfe_u32 v56, v28, 3, 4
	v_sub_u32_e32 v54, 29, v57
	v_and_b32_e32 v53, 7, v53
	v_cmp_gt_u32_e32 vcc, 8, v55
	v_cndmask_b32_e32 v54, v56, v54, vcc
	v_cndmask_b32_e32 v30, v30, v53, vcc
	v_lshlrev_b32_e32 v30, 20, v30
	v_and_b32_e32 v53, 0x80000000, v9
	v_lshl_add_u32 v54, v54, 23, v17
	v_or3_b32 v30, v53, v54, v30
	v_cmp_ne_u32_e32 vcc, s85, v55
	v_cndmask_b32_e32 v30, v4, v30, vcc
	v_cmp_ne_u32_e32 vcc, s87, v28
	v_bfrev_b32_e32 v28, 1
	v_cndmask_b32_e32 v28, v28, v30, vcc
	v_cmp_lt_u64_e32 vcc, s[56:57], v[8:9]
                                        ; implicit-def: $vgpr30
	v_cndmask_b32_e32 v8, 0, v28, vcc
	v_add_f32_e32 v8, v8, v52
	v_and_b32_e32 v28, 0x7f800000, v8
	v_cmp_ne_u64_e32 vcc, s[76:77], v[28:29]
	s_and_saveexec_b64 s[40:41], vcc
	s_xor_b64 s[34:35], exec, s[40:41]
	s_cbranch_execz .LBB2_2240
; %bb.2227:                             ;   in Loop: Header=BB2_1668 Depth=4
	v_and_b32_e32 v28, 0x7fffffff, v8
	v_cmp_gt_u64_e32 vcc, s[78:79], v[28:29]
	v_and_b32_sdwa v52, v8, s87 dst_sel:DWORD dst_unused:UNUSED_PAD src0_sel:BYTE_3 src1_sel:DWORD
                                        ; implicit-def: $vgpr30
	s_and_saveexec_b64 s[40:41], vcc
	s_xor_b64 s[36:37], exec, s[40:41]
	s_cbranch_execz .LBB2_2237
; %bb.2228:                             ;   in Loop: Header=BB2_1668 Depth=4
	v_mov_b32_e32 v30, 0
	v_cmp_ne_u32_e32 vcc, 0, v8
	s_and_saveexec_b64 s[38:39], vcc
	s_cbranch_execz .LBB2_2236
; %bb.2229:                             ;   in Loop: Header=BB2_1668 Depth=4
	v_bfe_u32 v30, v8, 23, 8
	v_and_b32_e32 v9, 0x7fffff, v8
	v_cmp_gt_u32_e64 s[40:41], s96, v30
	v_sub_u32_e32 v8, 0x79, v30
	v_cmp_eq_u32_e32 vcc, 0, v30
	v_cndmask_b32_e64 v8, 0, v8, s[40:41]
	v_cndmask_b32_e32 v53, v8, v36, vcc
	v_or_b32_e32 v28, 0x800000, v9
	v_add_u32_e32 v8, 20, v53
	v_cndmask_b32_e32 v28, v28, v9, vcc
	v_lshlrev_b64 v[8:9], v8, -1
	v_add_u32_e32 v54, 19, v53
	v_lshlrev_b64 v[54:55], v54, 1
	v_bfi_b32 v9, v9, 0, 0
	v_bfi_b32 v8, v8, 0, v28
	v_cmp_eq_u64_e64 s[40:41], v[8:9], v[54:55]
	v_lshrrev_b64 v[8:9], v53, v[28:29]
	v_mov_b32_e32 v57, v9
	v_mov_b32_e32 v56, v8
	s_and_saveexec_b64 s[48:49], s[40:41]
; %bb.2230:                             ;   in Loop: Header=BB2_1668 Depth=4
	v_bfe_u32 v9, v8, 20, 1
	v_add_co_u32_e64 v9, s[40:41], v8, v9
	v_add_co_u32_e64 v56, s[40:41], -1, v9
; %bb.2231:                             ;   in Loop: Header=BB2_1668 Depth=4
	s_or_b64 exec, exec, s[48:49]
	v_add_u32_e32 v9, 0xffffff81, v30
	v_cndmask_b32_e32 v9, v9, v37, vcc
	v_lshrrev_b32_e32 v28, 23, v8
	v_add3_u32 v57, v53, v9, v28
	v_add_u32_e32 v53, 6, v57
	v_and_b32_e32 v9, 0xfffff, v56
	v_add_u32_e32 v28, v9, v8
	v_cmp_ne_u32_e32 vcc, 0, v53
                                        ; implicit-def: $vgpr8_vgpr9
                                        ; implicit-def: $vgpr30
	s_and_saveexec_b64 s[40:41], vcc
	s_xor_b64 s[40:41], exec, s[40:41]
; %bb.2232:                             ;   in Loop: Header=BB2_1668 Depth=4
	v_cmp_lt_u64_e32 vcc, s[88:89], v[28:29]
	v_add_u32_e32 v8, 7, v57
	v_cndmask_b32_e32 v30, v53, v8, vcc
	v_cndmask_b32_e64 v8, 0, 1, vcc
	v_lshrrev_b64 v[8:9], v8, v[28:29]
; %bb.2233:                             ;   in Loop: Header=BB2_1668 Depth=4
	s_andn2_saveexec_b64 s[40:41], s[40:41]
; %bb.2234:                             ;   in Loop: Header=BB2_1668 Depth=4
	v_mov_b32_e32 v8, v28
	v_bfe_u32 v30, v28, 23, 1
	v_mov_b32_e32 v9, v29
; %bb.2235:                             ;   in Loop: Header=BB2_1668 Depth=4
	s_or_b64 exec, exec, s[40:41]
	v_lshrrev_b64 v[8:9], 20, v[8:9]
	v_cmp_gt_i32_e32 vcc, 16, v30
	v_cndmask_b32_e32 v9, 0, v9, vcc
	v_cndmask_b32_e32 v8, 7, v8, vcc
	v_cmp_eq_u64_e64 s[40:41], 0, v[8:9]
	v_min_i32_e32 v9, 15, v30
	v_lshlrev_b32_e32 v9, 3, v9
	v_cmp_eq_u32_e32 vcc, 0, v30
	v_and_b32_e32 v9, 0xf8, v9
	v_and_or_b32 v8, v8, 7, v9
	s_and_b64 s[40:41], vcc, s[40:41]
	v_cndmask_b32_e64 v8, v8, 0, s[40:41]
	v_or_b32_e32 v30, v8, v52
.LBB2_2236:                             ;   in Loop: Header=BB2_1668 Depth=4
	s_or_b64 exec, exec, s[38:39]
                                        ; implicit-def: $vgpr52
.LBB2_2237:                             ;   in Loop: Header=BB2_1668 Depth=4
	s_andn2_saveexec_b64 s[40:41], s[36:37]
; %bb.2238:                             ;   in Loop: Header=BB2_1668 Depth=4
	v_or_b32_e32 v30, 0x7e, v52
; %bb.2239:                             ;   in Loop: Header=BB2_1668 Depth=4
	s_or_b64 exec, exec, s[40:41]
                                        ; implicit-def: $vgpr8
.LBB2_2240:                             ;   in Loop: Header=BB2_1668 Depth=4
	s_andn2_saveexec_b64 s[40:41], s[34:35]
; %bb.2241:                             ;   in Loop: Header=BB2_1668 Depth=4
	v_or_b32_sdwa v30, v8, s85 dst_sel:DWORD dst_unused:UNUSED_PAD src0_sel:BYTE_3 src1_sel:DWORD
; %bb.2242:                             ;   in Loop: Header=BB2_1668 Depth=4
	s_or_b64 exec, exec, s[40:41]
	v_lshl_or_b32 v52, v3, 8, v7
	v_lshlrev_b32_e32 v3, 16, v18
	v_lshlrev_b32_e32 v8, 24, v22
	v_or3_b32 v28, v3, v8, v52
	v_cmp_ne_u32_e32 vcc, 0, v7
	v_mov_b32_e32 v3, 0
	s_and_saveexec_b64 s[40:41], vcc
	s_cbranch_execz .LBB2_2248
; %bb.2243:                             ;   in Loop: Header=BB2_1668 Depth=4
	v_cmp_ne_u32_e32 vcc, s87, v7
	v_bfrev_b32_e32 v3, 1
	s_and_saveexec_b64 s[34:35], vcc
	s_cbranch_execz .LBB2_2247
; %bb.2244:                             ;   in Loop: Header=BB2_1668 Depth=4
	v_and_b32_e32 v8, 0x7f, v7
	v_cmp_ne_u32_e32 vcc, s85, v8
	v_mov_b32_e32 v3, 0x7f800001
	s_and_saveexec_b64 s[36:37], vcc
	s_cbranch_execz .LBB2_2246
; %bb.2245:                             ;   in Loop: Header=BB2_1668 Depth=4
	v_and_b32_e32 v3, 7, v7
	v_ffbh_u32_e32 v3, v3
	v_min_u32_e32 v3, 32, v3
	v_lshrrev_b32_e32 v7, 3, v8
	v_cmp_gt_u32_e32 vcc, 8, v8
	v_subrev_u32_e32 v8, 28, v3
	v_sub_u32_e32 v3, 29, v3
	v_cndmask_b32_e32 v3, v7, v3, vcc
	v_cndmask_b32_e32 v7, 0, v8, vcc
	v_lshlrev_b64 v[7:8], v7, v[28:29]
	v_lshlrev_b32_e32 v8, 24, v28
	v_lshlrev_b32_e32 v7, 20, v7
	v_and_b32_e32 v7, 0x700000, v7
	v_and_b32_e32 v8, 0x80000000, v8
	v_lshl_add_u32 v3, v3, 23, v17
	v_or3_b32 v3, v8, v3, v7
.LBB2_2246:                             ;   in Loop: Header=BB2_1668 Depth=4
	s_or_b64 exec, exec, s[36:37]
.LBB2_2247:                             ;   in Loop: Header=BB2_1668 Depth=4
	s_or_b64 exec, exec, s[34:35]
.LBB2_2248:                             ;   in Loop: Header=BB2_1668 Depth=4
	s_or_b64 exec, exec, s[40:41]
	v_cmp_gt_i16_sdwa vcc, v10, s85 src0_sel:BYTE_0 src1_sel:DWORD
	s_mov_b64 s[40:41], 0
	s_and_saveexec_b64 s[34:35], vcc
	s_xor_b64 vcc, exec, s[34:35]
	s_cbranch_execz .LBB2_2466
; %bb.2249:                             ;   in Loop: Header=BB2_1668 Depth=4
	v_cmp_eq_u16_sdwa s[36:37], v10, s87 src0_sel:BYTE_0 src1_sel:DWORD
	s_mov_b64 s[40:41], -1
	s_and_saveexec_b64 s[34:35], s[36:37]
; %bb.2250:                             ;   in Loop: Header=BB2_1668 Depth=4
	s_xor_b64 s[40:41], exec, -1
; %bb.2251:                             ;   in Loop: Header=BB2_1668 Depth=4
	s_or_b64 exec, exec, s[34:35]
	s_and_b64 s[40:41], s[40:41], exec
	s_or_saveexec_b64 vcc, vcc
	v_bfrev_b32_e32 v7, 1
	s_xor_b64 exec, exec, vcc
	s_cbranch_execnz .LBB2_2467
.LBB2_2252:                             ;   in Loop: Header=BB2_1668 Depth=4
	s_or_b64 exec, exec, vcc
	s_and_saveexec_b64 s[34:35], s[40:41]
	s_cbranch_execz .LBB2_2254
.LBB2_2253:                             ;   in Loop: Header=BB2_1668 Depth=4
	v_and_b32_e32 v7, 7, v10
	v_ffbh_u32_e32 v7, v7
	v_and_b32_e32 v9, 0x7f, v10
	v_min_u32_e32 v7, 32, v7
	v_bfe_u32 v8, v10, 3, 4
	v_subrev_u32_e32 v18, 28, v7
	v_sub_u32_e32 v7, 29, v7
	v_cmp_gt_u32_e32 vcc, 8, v9
	v_cndmask_b32_e32 v22, v8, v7, vcc
	v_cndmask_b32_e32 v7, 0, v18, vcc
	v_lshlrev_b64 v[7:8], v7, v[10:11]
	v_lshlrev_b32_e32 v8, 24, v10
	v_lshlrev_b32_e32 v7, 20, v7
	v_and_b32_e32 v7, 0x700000, v7
	v_and_b32_e32 v8, 0x80000000, v8
	v_lshl_add_u32 v18, v22, 23, v17
	v_or3_b32 v7, v8, v18, v7
	v_cmp_ne_u32_e32 vcc, s85, v9
	v_cndmask_b32_e32 v7, v4, v7, vcc
.LBB2_2254:                             ;   in Loop: Header=BB2_1668 Depth=4
	s_or_b64 exec, exec, s[34:35]
	v_add_f32_e32 v8, v3, v7
	v_and_b32_e32 v53, 0x7f800000, v8
	v_mov_b32_e32 v54, v29
	v_cmp_ne_u64_e32 vcc, s[76:77], v[53:54]
                                        ; implicit-def: $vgpr3
	s_and_saveexec_b64 s[40:41], vcc
	s_xor_b64 s[34:35], exec, s[40:41]
	s_cbranch_execz .LBB2_2268
; %bb.2255:                             ;   in Loop: Header=BB2_1668 Depth=4
	v_and_b32_e32 v53, 0x7fffffff, v8
	v_mov_b32_e32 v54, v29
	v_cmp_gt_u64_e32 vcc, s[78:79], v[53:54]
	v_and_b32_sdwa v7, v8, s87 dst_sel:DWORD dst_unused:UNUSED_PAD src0_sel:BYTE_3 src1_sel:DWORD
                                        ; implicit-def: $vgpr3
	s_and_saveexec_b64 s[40:41], vcc
	s_xor_b64 s[36:37], exec, s[40:41]
	s_cbranch_execz .LBB2_2265
; %bb.2256:                             ;   in Loop: Header=BB2_1668 Depth=4
	v_mov_b32_e32 v3, 0
	v_cmp_ne_u32_e32 vcc, 0, v8
	s_and_saveexec_b64 s[38:39], vcc
	s_cbranch_execz .LBB2_2264
; %bb.2257:                             ;   in Loop: Header=BB2_1668 Depth=4
	v_bfe_u32 v3, v8, 23, 8
	v_and_b32_e32 v9, 0x7fffff, v8
	v_cmp_gt_u32_e64 s[40:41], s96, v3
	v_sub_u32_e32 v8, 0x79, v3
	v_cmp_eq_u32_e32 vcc, 0, v3
	v_cndmask_b32_e64 v8, 0, v8, s[40:41]
	v_or_b32_e32 v22, 0x800000, v9
	v_cndmask_b32_e32 v18, v8, v36, vcc
	v_cndmask_b32_e32 v8, v22, v9, vcc
	v_add_u32_e32 v22, 20, v18
	v_lshlrev_b64 v[53:54], v22, -1
	v_mov_b32_e32 v9, v29
	v_add_u32_e32 v22, 19, v18
	v_bfi_b32 v53, v53, 0, v8
	v_lshlrev_b64 v[55:56], v22, 1
	v_lshrrev_b64 v[8:9], v18, v[8:9]
	v_bfi_b32 v54, v54, 0, 0
	v_cmp_eq_u64_e64 s[40:41], v[53:54], v[55:56]
	v_mov_b32_e32 v57, v9
	v_mov_b32_e32 v56, v8
	s_and_saveexec_b64 s[48:49], s[40:41]
; %bb.2258:                             ;   in Loop: Header=BB2_1668 Depth=4
	v_bfe_u32 v9, v8, 20, 1
	v_add_co_u32_e64 v9, s[40:41], v8, v9
	v_add_co_u32_e64 v56, s[40:41], -1, v9
; %bb.2259:                             ;   in Loop: Header=BB2_1668 Depth=4
	s_or_b64 exec, exec, s[48:49]
	v_add_u32_e32 v3, 0xffffff81, v3
	v_cndmask_b32_e32 v3, v3, v37, vcc
	v_lshrrev_b32_e32 v9, 23, v8
	v_add3_u32 v22, v18, v3, v9
	v_add_u32_e32 v18, 6, v22
	v_and_b32_e32 v3, 0xfffff, v56
	v_add_u32_e32 v8, v3, v8
	v_mov_b32_e32 v9, v29
	v_cmp_ne_u32_e32 vcc, 0, v18
                                        ; implicit-def: $vgpr3
	s_and_saveexec_b64 s[40:41], vcc
	s_xor_b64 s[40:41], exec, s[40:41]
; %bb.2260:                             ;   in Loop: Header=BB2_1668 Depth=4
	v_cmp_lt_u64_e32 vcc, s[88:89], v[8:9]
	v_add_u32_e32 v3, 7, v22
	v_cndmask_b32_e32 v3, v18, v3, vcc
	v_cndmask_b32_e64 v18, 0, 1, vcc
	v_lshrrev_b64 v[8:9], v18, v[8:9]
; %bb.2261:                             ;   in Loop: Header=BB2_1668 Depth=4
	s_andn2_saveexec_b64 s[40:41], s[40:41]
; %bb.2262:                             ;   in Loop: Header=BB2_1668 Depth=4
	v_bfe_u32 v3, v8, 23, 1
; %bb.2263:                             ;   in Loop: Header=BB2_1668 Depth=4
	s_or_b64 exec, exec, s[40:41]
	v_lshrrev_b64 v[8:9], 20, v[8:9]
	v_cmp_gt_i32_e32 vcc, 16, v3
	v_cndmask_b32_e32 v9, 0, v9, vcc
	v_cndmask_b32_e32 v8, 7, v8, vcc
	v_cmp_eq_u32_e32 vcc, 0, v3
	v_min_i32_e32 v3, 15, v3
	v_cmp_eq_u64_e64 s[40:41], 0, v[8:9]
	v_lshlrev_b32_e32 v3, 3, v3
	v_and_b32_e32 v3, 0xf8, v3
	v_and_or_b32 v3, v8, 7, v3
	s_and_b64 s[40:41], vcc, s[40:41]
	v_cndmask_b32_e64 v3, v3, 0, s[40:41]
	v_or_b32_e32 v3, v3, v7
.LBB2_2264:                             ;   in Loop: Header=BB2_1668 Depth=4
	s_or_b64 exec, exec, s[38:39]
                                        ; implicit-def: $vgpr7
.LBB2_2265:                             ;   in Loop: Header=BB2_1668 Depth=4
	s_andn2_saveexec_b64 s[40:41], s[36:37]
; %bb.2266:                             ;   in Loop: Header=BB2_1668 Depth=4
	v_or_b32_e32 v3, 0x7e, v7
; %bb.2267:                             ;   in Loop: Header=BB2_1668 Depth=4
	s_or_b64 exec, exec, s[40:41]
                                        ; implicit-def: $vgpr8
.LBB2_2268:                             ;   in Loop: Header=BB2_1668 Depth=4
	s_andn2_saveexec_b64 s[40:41], s[34:35]
; %bb.2269:                             ;   in Loop: Header=BB2_1668 Depth=4
	v_or_b32_sdwa v3, v8, s85 dst_sel:DWORD dst_unused:UNUSED_PAD src0_sel:BYTE_3 src1_sel:DWORD
; %bb.2270:                             ;   in Loop: Header=BB2_1668 Depth=4
	s_or_b64 exec, exec, s[40:41]
	v_lshrrev_b16_e32 v8, 8, v52
	v_cmp_ne_u16_e32 vcc, 0, v8
	v_mov_b32_e32 v7, 0
	s_and_saveexec_b64 s[40:41], vcc
	s_cbranch_execz .LBB2_2276
; %bb.2271:                             ;   in Loop: Header=BB2_1668 Depth=4
	v_cmp_ne_u16_e32 vcc, s87, v8
	v_bfrev_b32_e32 v7, 1
	s_and_saveexec_b64 s[34:35], vcc
	s_cbranch_execz .LBB2_2275
; %bb.2272:                             ;   in Loop: Header=BB2_1668 Depth=4
	v_and_b32_e32 v9, 0x7f, v8
	v_cmp_ne_u32_e32 vcc, s85, v9
	v_mov_b32_e32 v7, 0x7f800001
	s_and_saveexec_b64 s[36:37], vcc
	s_cbranch_execz .LBB2_2274
; %bb.2273:                             ;   in Loop: Header=BB2_1668 Depth=4
	v_and_b32_e32 v18, 7, v8
	v_ffbh_u32_e32 v7, v18
	v_lshrrev_b32_e32 v22, 3, v9
	v_cmp_gt_u32_e32 vcc, 8, v9
	v_min_u32_e32 v9, 32, v7
	v_subrev_u32_e32 v7, 28, v9
	v_lshlrev_b64 v[7:8], v7, v[8:9]
	v_sub_u32_e32 v8, 29, v9
	v_and_b32_e32 v7, 7, v7
	v_cndmask_b32_e32 v8, v22, v8, vcc
	v_cndmask_b32_e32 v7, v18, v7, vcc
	v_lshlrev_b32_e32 v9, 16, v52
	v_lshlrev_b32_e32 v7, 20, v7
	v_and_b32_e32 v9, 0x80000000, v9
	v_lshl_add_u32 v8, v8, 23, v17
	v_or3_b32 v7, v9, v8, v7
.LBB2_2274:                             ;   in Loop: Header=BB2_1668 Depth=4
	s_or_b64 exec, exec, s[36:37]
.LBB2_2275:                             ;   in Loop: Header=BB2_1668 Depth=4
	s_or_b64 exec, exec, s[34:35]
.LBB2_2276:                             ;   in Loop: Header=BB2_1668 Depth=4
	s_or_b64 exec, exec, s[40:41]
	v_lshrrev_b16_e32 v8, 8, v10
	v_cmp_lt_i16_e32 vcc, s85, v8
	s_mov_b64 s[40:41], 0
	s_and_saveexec_b64 s[34:35], vcc
	s_xor_b64 s[34:35], exec, s[34:35]
	s_cbranch_execz .LBB2_2468
; %bb.2277:                             ;   in Loop: Header=BB2_1668 Depth=4
	v_cmp_eq_u16_e32 vcc, s87, v8
	s_mov_b64 s[40:41], -1
	s_and_saveexec_b64 s[36:37], vcc
; %bb.2278:                             ;   in Loop: Header=BB2_1668 Depth=4
	s_xor_b64 s[40:41], exec, -1
; %bb.2279:                             ;   in Loop: Header=BB2_1668 Depth=4
	s_or_b64 exec, exec, s[36:37]
	s_and_b64 s[40:41], s[40:41], exec
	s_or_saveexec_b64 s[34:35], s[34:35]
	v_bfrev_b32_e32 v9, 1
	s_xor_b64 exec, exec, s[34:35]
	s_cbranch_execnz .LBB2_2469
.LBB2_2280:                             ;   in Loop: Header=BB2_1668 Depth=4
	s_or_b64 exec, exec, s[34:35]
	s_and_saveexec_b64 s[34:35], s[40:41]
	s_cbranch_execz .LBB2_2282
.LBB2_2281:                             ;   in Loop: Header=BB2_1668 Depth=4
	v_and_b32_e32 v18, 7, v8
	v_ffbh_u32_e32 v52, v18
	v_min_u32_e32 v55, 32, v52
	v_mov_b32_e32 v9, v29
	v_subrev_u32_e32 v52, 28, v55
	v_lshlrev_b64 v[52:53], v52, v[8:9]
	v_and_b32_e32 v22, 0x7f, v8
	v_bfe_u32 v54, v8, 3, 4
	v_sub_u32_e32 v9, 29, v55
	v_and_b32_e32 v52, 7, v52
	v_cmp_gt_u32_e32 vcc, 8, v22
	v_cndmask_b32_e32 v9, v54, v9, vcc
	v_cndmask_b32_e32 v18, v18, v52, vcc
	v_lshlrev_b32_e32 v8, 24, v8
	v_lshlrev_b32_e32 v18, 20, v18
	v_and_b32_e32 v8, 0x80000000, v8
	v_lshl_add_u32 v9, v9, 23, v17
	v_or3_b32 v8, v8, v9, v18
	v_cmp_ne_u32_e32 vcc, s85, v22
	v_cndmask_b32_e32 v9, v4, v8, vcc
.LBB2_2282:                             ;   in Loop: Header=BB2_1668 Depth=4
	s_or_b64 exec, exec, s[34:35]
	v_add_f32_e32 v8, v7, v9
	v_and_b32_e32 v52, 0x7f800000, v8
	v_mov_b32_e32 v53, v29
	v_cmp_ne_u64_e32 vcc, s[76:77], v[52:53]
                                        ; implicit-def: $vgpr7
	s_and_saveexec_b64 s[40:41], vcc
	s_xor_b64 s[34:35], exec, s[40:41]
	s_cbranch_execz .LBB2_2296
; %bb.2283:                             ;   in Loop: Header=BB2_1668 Depth=4
	v_and_b32_e32 v52, 0x7fffffff, v8
	v_mov_b32_e32 v53, v29
	v_cmp_gt_u64_e32 vcc, s[78:79], v[52:53]
	v_and_b32_sdwa v18, v8, s87 dst_sel:DWORD dst_unused:UNUSED_PAD src0_sel:BYTE_3 src1_sel:DWORD
                                        ; implicit-def: $vgpr7
	s_and_saveexec_b64 s[40:41], vcc
	s_xor_b64 s[36:37], exec, s[40:41]
	s_cbranch_execz .LBB2_2293
; %bb.2284:                             ;   in Loop: Header=BB2_1668 Depth=4
	v_mov_b32_e32 v7, 0
	v_cmp_ne_u32_e32 vcc, 0, v8
	s_and_saveexec_b64 s[38:39], vcc
	s_cbranch_execz .LBB2_2292
; %bb.2285:                             ;   in Loop: Header=BB2_1668 Depth=4
	v_bfe_u32 v7, v8, 23, 8
	v_and_b32_e32 v9, 0x7fffff, v8
	v_cmp_gt_u32_e64 s[40:41], s96, v7
	v_sub_u32_e32 v8, 0x79, v7
	v_cmp_eq_u32_e32 vcc, 0, v7
	v_cndmask_b32_e64 v8, 0, v8, s[40:41]
	v_or_b32_e32 v52, 0x800000, v9
	v_cndmask_b32_e32 v22, v8, v36, vcc
	v_cndmask_b32_e32 v8, v52, v9, vcc
	v_add_u32_e32 v52, 20, v22
	v_lshlrev_b64 v[52:53], v52, -1
	v_mov_b32_e32 v9, v29
	v_add_u32_e32 v54, 19, v22
	v_bfi_b32 v52, v52, 0, v8
	v_lshlrev_b64 v[54:55], v54, 1
	v_lshrrev_b64 v[8:9], v22, v[8:9]
	v_bfi_b32 v53, v53, 0, 0
	v_cmp_eq_u64_e64 s[40:41], v[52:53], v[54:55]
	v_mov_b32_e32 v57, v9
	v_mov_b32_e32 v56, v8
	s_and_saveexec_b64 s[48:49], s[40:41]
; %bb.2286:                             ;   in Loop: Header=BB2_1668 Depth=4
	v_bfe_u32 v9, v8, 20, 1
	v_add_co_u32_e64 v9, s[40:41], v8, v9
	v_add_co_u32_e64 v56, s[40:41], -1, v9
; %bb.2287:                             ;   in Loop: Header=BB2_1668 Depth=4
	s_or_b64 exec, exec, s[48:49]
	v_add_u32_e32 v7, 0xffffff81, v7
	v_cndmask_b32_e32 v7, v7, v37, vcc
	v_lshrrev_b32_e32 v9, 23, v8
	v_add3_u32 v52, v22, v7, v9
	v_add_u32_e32 v22, 6, v52
	v_and_b32_e32 v7, 0xfffff, v56
	v_add_u32_e32 v8, v7, v8
	v_mov_b32_e32 v9, v29
	v_cmp_ne_u32_e32 vcc, 0, v22
                                        ; implicit-def: $vgpr7
	s_and_saveexec_b64 s[40:41], vcc
	s_xor_b64 s[40:41], exec, s[40:41]
; %bb.2288:                             ;   in Loop: Header=BB2_1668 Depth=4
	v_cmp_lt_u64_e32 vcc, s[88:89], v[8:9]
	v_add_u32_e32 v7, 7, v52
	v_cndmask_b32_e32 v7, v22, v7, vcc
	v_cndmask_b32_e64 v22, 0, 1, vcc
	v_lshrrev_b64 v[8:9], v22, v[8:9]
; %bb.2289:                             ;   in Loop: Header=BB2_1668 Depth=4
	s_andn2_saveexec_b64 s[40:41], s[40:41]
; %bb.2290:                             ;   in Loop: Header=BB2_1668 Depth=4
	v_bfe_u32 v7, v8, 23, 1
; %bb.2291:                             ;   in Loop: Header=BB2_1668 Depth=4
	s_or_b64 exec, exec, s[40:41]
	v_lshrrev_b64 v[8:9], 20, v[8:9]
	v_cmp_gt_i32_e32 vcc, 16, v7
	v_cndmask_b32_e32 v9, 0, v9, vcc
	v_cndmask_b32_e32 v8, 7, v8, vcc
	v_cmp_eq_u32_e32 vcc, 0, v7
	v_min_i32_e32 v7, 15, v7
	v_cmp_eq_u64_e64 s[40:41], 0, v[8:9]
	v_lshlrev_b32_e32 v7, 3, v7
	v_and_b32_e32 v7, 0xf8, v7
	v_and_or_b32 v7, v8, 7, v7
	s_and_b64 s[40:41], vcc, s[40:41]
	v_cndmask_b32_e64 v7, v7, 0, s[40:41]
	v_or_b32_e32 v7, v7, v18
.LBB2_2292:                             ;   in Loop: Header=BB2_1668 Depth=4
	s_or_b64 exec, exec, s[38:39]
                                        ; implicit-def: $vgpr18
.LBB2_2293:                             ;   in Loop: Header=BB2_1668 Depth=4
	s_andn2_saveexec_b64 s[40:41], s[36:37]
; %bb.2294:                             ;   in Loop: Header=BB2_1668 Depth=4
	v_or_b32_e32 v7, 0x7e, v18
; %bb.2295:                             ;   in Loop: Header=BB2_1668 Depth=4
	s_or_b64 exec, exec, s[40:41]
                                        ; implicit-def: $vgpr8
.LBB2_2296:                             ;   in Loop: Header=BB2_1668 Depth=4
	s_andn2_saveexec_b64 s[40:41], s[34:35]
; %bb.2297:                             ;   in Loop: Header=BB2_1668 Depth=4
	v_or_b32_sdwa v7, v8, s85 dst_sel:DWORD dst_unused:UNUSED_PAD src0_sel:BYTE_3 src1_sel:DWORD
; %bb.2298:                             ;   in Loop: Header=BB2_1668 Depth=4
	s_or_b64 exec, exec, s[40:41]
	v_lshrrev_b32_e32 v8, 16, v28
	v_cmp_ne_u16_sdwa vcc, v8, v29 src0_sel:BYTE_0 src1_sel:DWORD
	v_mov_b32_e32 v9, 0
	s_and_saveexec_b64 s[40:41], vcc
	s_cbranch_execz .LBB2_2304
; %bb.2299:                             ;   in Loop: Header=BB2_1668 Depth=4
	v_cmp_ne_u16_sdwa vcc, v8, s87 src0_sel:BYTE_0 src1_sel:DWORD
	v_bfrev_b32_e32 v9, 1
	s_and_saveexec_b64 s[34:35], vcc
	s_cbranch_execz .LBB2_2303
; %bb.2300:                             ;   in Loop: Header=BB2_1668 Depth=4
	v_bfe_u32 v18, v28, 16, 7
	v_cmp_ne_u32_e32 vcc, s85, v18
	v_mov_b32_e32 v9, 0x7f800001
	s_and_saveexec_b64 s[36:37], vcc
	s_cbranch_execz .LBB2_2302
; %bb.2301:                             ;   in Loop: Header=BB2_1668 Depth=4
	v_and_b32_e32 v9, 7, v8
	v_lshrrev_b32_e32 v22, 3, v18
	v_cmp_gt_u32_e32 vcc, 8, v18
	v_ffbh_u32_e32 v18, v9
	v_min_u32_e32 v18, 32, v18
	v_subrev_u32_e32 v52, 28, v18
	v_lshlrev_b64 v[52:53], v52, v[8:9]
	v_sub_u32_e32 v18, 29, v18
	v_and_b32_e32 v52, 7, v52
	v_cndmask_b32_e32 v18, v22, v18, vcc
	v_cndmask_b32_e32 v9, v9, v52, vcc
	v_lshlrev_b32_e32 v8, 24, v8
	v_lshlrev_b32_e32 v9, 20, v9
	v_and_b32_e32 v8, 0x80000000, v8
	v_lshl_add_u32 v18, v18, 23, v17
	v_or3_b32 v9, v8, v18, v9
.LBB2_2302:                             ;   in Loop: Header=BB2_1668 Depth=4
	s_or_b64 exec, exec, s[36:37]
.LBB2_2303:                             ;   in Loop: Header=BB2_1668 Depth=4
	s_or_b64 exec, exec, s[34:35]
.LBB2_2304:                             ;   in Loop: Header=BB2_1668 Depth=4
	s_or_b64 exec, exec, s[40:41]
	v_lshrrev_b32_e32 v8, 16, v10
	v_cmp_gt_i16_sdwa vcc, v8, s85 src0_sel:BYTE_0 src1_sel:DWORD
	s_mov_b64 s[40:41], 0
	s_and_saveexec_b64 s[34:35], vcc
	s_xor_b64 vcc, exec, s[34:35]
	s_cbranch_execz .LBB2_2470
; %bb.2305:                             ;   in Loop: Header=BB2_1668 Depth=4
	v_cmp_eq_u16_sdwa s[36:37], v8, s87 src0_sel:BYTE_0 src1_sel:DWORD
	s_mov_b64 s[40:41], -1
	s_and_saveexec_b64 s[34:35], s[36:37]
; %bb.2306:                             ;   in Loop: Header=BB2_1668 Depth=4
	s_xor_b64 s[40:41], exec, -1
; %bb.2307:                             ;   in Loop: Header=BB2_1668 Depth=4
	s_or_b64 exec, exec, s[34:35]
	s_and_b64 s[40:41], s[40:41], exec
	s_or_saveexec_b64 vcc, vcc
	v_bfrev_b32_e32 v18, 1
	s_xor_b64 exec, exec, vcc
	s_cbranch_execnz .LBB2_2471
.LBB2_2308:                             ;   in Loop: Header=BB2_1668 Depth=4
	s_or_b64 exec, exec, vcc
	s_and_saveexec_b64 s[34:35], s[40:41]
	s_cbranch_execz .LBB2_2310
.LBB2_2309:                             ;   in Loop: Header=BB2_1668 Depth=4
	v_and_b32_e32 v18, 7, v8
	v_ffbh_u32_e32 v52, v18
	v_min_u32_e32 v55, 32, v52
	v_subrev_u32_e32 v52, 28, v55
	v_lshlrev_b64 v[52:53], v52, v[8:9]
	v_and_b32_e32 v22, 0x7f, v8
	v_bfe_u32 v54, v8, 3, 4
	v_sub_u32_e32 v53, 29, v55
	v_and_b32_e32 v52, 7, v52
	v_cmp_gt_u32_e32 vcc, 8, v22
	v_cndmask_b32_e32 v53, v54, v53, vcc
	v_cndmask_b32_e32 v18, v18, v52, vcc
	v_lshlrev_b32_e32 v8, 24, v8
	v_lshlrev_b32_e32 v18, 20, v18
	v_and_b32_e32 v8, 0x80000000, v8
	v_lshl_add_u32 v52, v53, 23, v17
	v_or3_b32 v8, v8, v52, v18
	v_cmp_ne_u32_e32 vcc, s85, v22
	v_cndmask_b32_e32 v18, v4, v8, vcc
.LBB2_2310:                             ;   in Loop: Header=BB2_1668 Depth=4
	s_or_b64 exec, exec, s[34:35]
	v_add_f32_e32 v8, v9, v18
	v_and_b32_e32 v52, 0x7f800000, v8
	v_mov_b32_e32 v53, v29
	v_cmp_ne_u64_e32 vcc, s[76:77], v[52:53]
                                        ; implicit-def: $vgpr18
	s_and_saveexec_b64 s[40:41], vcc
	s_xor_b64 s[34:35], exec, s[40:41]
	s_cbranch_execz .LBB2_2324
; %bb.2311:                             ;   in Loop: Header=BB2_1668 Depth=4
	v_and_b32_e32 v52, 0x7fffffff, v8
	v_mov_b32_e32 v53, v29
	v_cmp_gt_u64_e32 vcc, s[78:79], v[52:53]
	v_and_b32_sdwa v22, v8, s87 dst_sel:DWORD dst_unused:UNUSED_PAD src0_sel:BYTE_3 src1_sel:DWORD
                                        ; implicit-def: $vgpr18
	s_and_saveexec_b64 s[40:41], vcc
	s_xor_b64 s[36:37], exec, s[40:41]
	s_cbranch_execz .LBB2_2321
; %bb.2312:                             ;   in Loop: Header=BB2_1668 Depth=4
	v_mov_b32_e32 v18, 0
	v_cmp_ne_u32_e32 vcc, 0, v8
	s_and_saveexec_b64 s[38:39], vcc
	s_cbranch_execz .LBB2_2320
; %bb.2313:                             ;   in Loop: Header=BB2_1668 Depth=4
	v_bfe_u32 v18, v8, 23, 8
	v_and_b32_e32 v9, 0x7fffff, v8
	v_cmp_gt_u32_e64 s[40:41], s96, v18
	v_sub_u32_e32 v8, 0x79, v18
	v_cmp_eq_u32_e32 vcc, 0, v18
	v_cndmask_b32_e64 v8, 0, v8, s[40:41]
	v_or_b32_e32 v53, 0x800000, v9
	v_cndmask_b32_e32 v52, v8, v36, vcc
	v_cndmask_b32_e32 v8, v53, v9, vcc
	v_add_u32_e32 v53, 20, v52
	v_lshlrev_b64 v[53:54], v53, -1
	v_mov_b32_e32 v9, v29
	v_add_u32_e32 v55, 19, v52
	v_bfi_b32 v53, v53, 0, v8
	v_lshlrev_b64 v[55:56], v55, 1
	v_lshrrev_b64 v[8:9], v52, v[8:9]
	v_bfi_b32 v54, v54, 0, 0
	v_cmp_eq_u64_e64 s[40:41], v[53:54], v[55:56]
	v_mov_b32_e32 v57, v9
	v_mov_b32_e32 v56, v8
	s_and_saveexec_b64 s[48:49], s[40:41]
; %bb.2314:                             ;   in Loop: Header=BB2_1668 Depth=4
	v_bfe_u32 v9, v8, 20, 1
	v_add_co_u32_e64 v9, s[40:41], v8, v9
	v_add_co_u32_e64 v56, s[40:41], -1, v9
; %bb.2315:                             ;   in Loop: Header=BB2_1668 Depth=4
	s_or_b64 exec, exec, s[48:49]
	v_add_u32_e32 v9, 0xffffff81, v18
	v_cndmask_b32_e32 v9, v9, v37, vcc
	v_lshrrev_b32_e32 v18, 23, v8
	v_add3_u32 v53, v52, v9, v18
	v_add_u32_e32 v52, 6, v53
	v_and_b32_e32 v9, 0xfffff, v56
	v_add_u32_e32 v8, v9, v8
	v_mov_b32_e32 v9, v29
	v_cmp_ne_u32_e32 vcc, 0, v52
                                        ; implicit-def: $vgpr18
	s_and_saveexec_b64 s[40:41], vcc
	s_xor_b64 s[40:41], exec, s[40:41]
; %bb.2316:                             ;   in Loop: Header=BB2_1668 Depth=4
	v_cmp_lt_u64_e32 vcc, s[88:89], v[8:9]
	v_add_u32_e32 v18, 7, v53
	v_cndmask_b32_e32 v18, v52, v18, vcc
	v_cndmask_b32_e64 v52, 0, 1, vcc
	v_lshrrev_b64 v[8:9], v52, v[8:9]
; %bb.2317:                             ;   in Loop: Header=BB2_1668 Depth=4
	s_andn2_saveexec_b64 s[40:41], s[40:41]
; %bb.2318:                             ;   in Loop: Header=BB2_1668 Depth=4
	v_bfe_u32 v18, v8, 23, 1
; %bb.2319:                             ;   in Loop: Header=BB2_1668 Depth=4
	s_or_b64 exec, exec, s[40:41]
	v_lshrrev_b64 v[8:9], 20, v[8:9]
	v_cmp_gt_i32_e32 vcc, 16, v18
	v_cndmask_b32_e32 v9, 0, v9, vcc
	v_cndmask_b32_e32 v8, 7, v8, vcc
	v_cmp_eq_u64_e64 s[40:41], 0, v[8:9]
	v_min_i32_e32 v9, 15, v18
	v_lshlrev_b32_e32 v9, 3, v9
	v_cmp_eq_u32_e32 vcc, 0, v18
	v_and_b32_e32 v9, 0xf8, v9
	v_and_or_b32 v8, v8, 7, v9
	s_and_b64 s[40:41], vcc, s[40:41]
	v_cndmask_b32_e64 v8, v8, 0, s[40:41]
	v_or_b32_e32 v18, v8, v22
.LBB2_2320:                             ;   in Loop: Header=BB2_1668 Depth=4
	s_or_b64 exec, exec, s[38:39]
                                        ; implicit-def: $vgpr22
.LBB2_2321:                             ;   in Loop: Header=BB2_1668 Depth=4
	s_andn2_saveexec_b64 s[40:41], s[36:37]
; %bb.2322:                             ;   in Loop: Header=BB2_1668 Depth=4
	v_or_b32_e32 v18, 0x7e, v22
; %bb.2323:                             ;   in Loop: Header=BB2_1668 Depth=4
	s_or_b64 exec, exec, s[40:41]
                                        ; implicit-def: $vgpr8
.LBB2_2324:                             ;   in Loop: Header=BB2_1668 Depth=4
	s_andn2_saveexec_b64 s[40:41], s[34:35]
; %bb.2325:                             ;   in Loop: Header=BB2_1668 Depth=4
	v_or_b32_sdwa v18, v8, s85 dst_sel:DWORD dst_unused:UNUSED_PAD src0_sel:BYTE_3 src1_sel:DWORD
; %bb.2326:                             ;   in Loop: Header=BB2_1668 Depth=4
	s_or_b64 exec, exec, s[40:41]
	v_cmp_lt_u32_e32 vcc, s57, v28
	v_mov_b32_e32 v9, 0
	s_and_saveexec_b64 s[40:41], vcc
	s_cbranch_execz .LBB2_2332
; %bb.2327:                             ;   in Loop: Header=BB2_1668 Depth=4
	v_lshrrev_b32_e32 v8, 24, v28
	v_cmp_ne_u32_sdwa vcc, v28, s87 src0_sel:BYTE_3 src1_sel:DWORD
	v_bfrev_b32_e32 v9, 1
	s_and_saveexec_b64 s[34:35], vcc
	s_cbranch_execz .LBB2_2331
; %bb.2328:                             ;   in Loop: Header=BB2_1668 Depth=4
	v_bfe_u32 v22, v28, 24, 7
	v_cmp_ne_u32_e32 vcc, s85, v22
	v_mov_b32_e32 v9, 0x7f800001
	s_and_saveexec_b64 s[36:37], vcc
	s_cbranch_execz .LBB2_2330
; %bb.2329:                             ;   in Loop: Header=BB2_1668 Depth=4
	v_and_b32_e32 v52, 7, v8
	v_ffbh_u32_e32 v9, v52
	v_lshrrev_b32_e32 v53, 3, v22
	v_cmp_gt_u32_e32 vcc, 8, v22
	v_min_u32_e32 v22, 32, v9
	v_subrev_u32_e32 v9, 28, v22
	v_lshlrev_b64 v[8:9], v9, v[8:9]
	v_sub_u32_e32 v9, 29, v22
	v_and_b32_e32 v8, 7, v8
	v_mov_b32_e32 v22, 24
	v_cndmask_b32_e32 v9, v53, v9, vcc
	v_cndmask_b32_e32 v8, v52, v8, vcc
	v_lshlrev_b32_sdwa v22, v22, v28 dst_sel:DWORD dst_unused:UNUSED_PAD src0_sel:DWORD src1_sel:BYTE_3
	v_lshlrev_b32_e32 v8, 20, v8
	v_and_b32_e32 v22, 0x80000000, v22
	v_lshl_add_u32 v9, v9, 23, v17
	v_or3_b32 v9, v22, v9, v8
.LBB2_2330:                             ;   in Loop: Header=BB2_1668 Depth=4
	s_or_b64 exec, exec, s[36:37]
.LBB2_2331:                             ;   in Loop: Header=BB2_1668 Depth=4
	s_or_b64 exec, exec, s[34:35]
.LBB2_2332:                             ;   in Loop: Header=BB2_1668 Depth=4
	s_or_b64 exec, exec, s[40:41]
	v_bfe_u32 v22, v10, 24, 3
	v_ffbh_u32_e32 v52, v22
	v_min_u32_e32 v55, 32, v52
	v_lshrrev_b32_e32 v8, 24, v10
	v_subrev_u32_e32 v52, 28, v55
	v_lshlrev_b64 v[52:53], v52, v[8:9]
	v_bfe_u32 v28, v10, 24, 7
	v_bfe_u32 v54, v8, 3, 4
	v_sub_u32_e32 v53, 29, v55
	v_and_b32_e32 v52, 7, v52
	v_cmp_gt_u32_e32 vcc, 8, v28
	v_cndmask_b32_e32 v53, v54, v53, vcc
	v_cndmask_b32_e32 v22, v22, v52, vcc
	v_lshlrev_b32_e32 v22, 20, v22
	v_and_b32_e32 v52, 0x80000000, v10
	v_lshl_add_u32 v53, v53, 23, v17
	v_or3_b32 v22, v52, v53, v22
	v_cmp_ne_u32_e32 vcc, s85, v28
	v_cndmask_b32_e32 v22, v4, v22, vcc
	v_cmp_ne_u32_e32 vcc, s87, v8
	v_bfrev_b32_e32 v8, 1
	v_cndmask_b32_e32 v8, v8, v22, vcc
	v_cmp_lt_u32_e32 vcc, s57, v10
	v_cndmask_b32_e32 v8, 0, v8, vcc
	v_add_f32_e32 v8, v8, v9
	v_and_b32_e32 v28, 0x7f800000, v8
	v_cmp_ne_u64_e32 vcc, s[76:77], v[28:29]
                                        ; implicit-def: $vgpr22
	s_and_saveexec_b64 s[40:41], vcc
	s_xor_b64 s[34:35], exec, s[40:41]
	s_cbranch_execz .LBB2_2346
; %bb.2333:                             ;   in Loop: Header=BB2_1668 Depth=4
	v_and_b32_e32 v28, 0x7fffffff, v8
	v_cmp_gt_u64_e32 vcc, s[78:79], v[28:29]
	v_and_b32_sdwa v52, v8, s87 dst_sel:DWORD dst_unused:UNUSED_PAD src0_sel:BYTE_3 src1_sel:DWORD
                                        ; implicit-def: $vgpr22
	s_and_saveexec_b64 s[40:41], vcc
	s_xor_b64 s[36:37], exec, s[40:41]
	s_cbranch_execz .LBB2_2343
; %bb.2334:                             ;   in Loop: Header=BB2_1668 Depth=4
	v_mov_b32_e32 v22, 0
	v_cmp_ne_u32_e32 vcc, 0, v8
	s_and_saveexec_b64 s[38:39], vcc
	s_cbranch_execz .LBB2_2342
; %bb.2335:                             ;   in Loop: Header=BB2_1668 Depth=4
	v_bfe_u32 v22, v8, 23, 8
	v_and_b32_e32 v9, 0x7fffff, v8
	v_cmp_gt_u32_e64 s[40:41], s96, v22
	v_sub_u32_e32 v8, 0x79, v22
	v_cmp_eq_u32_e32 vcc, 0, v22
	v_cndmask_b32_e64 v8, 0, v8, s[40:41]
	v_cndmask_b32_e32 v53, v8, v36, vcc
	v_or_b32_e32 v28, 0x800000, v9
	v_add_u32_e32 v8, 20, v53
	v_cndmask_b32_e32 v28, v28, v9, vcc
	v_lshlrev_b64 v[8:9], v8, -1
	v_add_u32_e32 v54, 19, v53
	v_lshlrev_b64 v[54:55], v54, 1
	v_bfi_b32 v9, v9, 0, 0
	v_bfi_b32 v8, v8, 0, v28
	v_cmp_eq_u64_e64 s[40:41], v[8:9], v[54:55]
	v_lshrrev_b64 v[8:9], v53, v[28:29]
	v_mov_b32_e32 v57, v9
	v_mov_b32_e32 v56, v8
	s_and_saveexec_b64 s[48:49], s[40:41]
; %bb.2336:                             ;   in Loop: Header=BB2_1668 Depth=4
	v_bfe_u32 v9, v8, 20, 1
	v_add_co_u32_e64 v9, s[40:41], v8, v9
	v_add_co_u32_e64 v56, s[40:41], -1, v9
; %bb.2337:                             ;   in Loop: Header=BB2_1668 Depth=4
	s_or_b64 exec, exec, s[48:49]
	v_add_u32_e32 v9, 0xffffff81, v22
	v_cndmask_b32_e32 v9, v9, v37, vcc
	v_lshrrev_b32_e32 v22, 23, v8
	v_add3_u32 v57, v53, v9, v22
	v_add_u32_e32 v53, 6, v57
	v_and_b32_e32 v9, 0xfffff, v56
	v_add_u32_e32 v28, v9, v8
	v_cmp_ne_u32_e32 vcc, 0, v53
                                        ; implicit-def: $vgpr8_vgpr9
                                        ; implicit-def: $vgpr22
	s_and_saveexec_b64 s[40:41], vcc
	s_xor_b64 s[40:41], exec, s[40:41]
; %bb.2338:                             ;   in Loop: Header=BB2_1668 Depth=4
	v_cmp_lt_u64_e32 vcc, s[88:89], v[28:29]
	v_add_u32_e32 v8, 7, v57
	v_cndmask_b32_e32 v22, v53, v8, vcc
	v_cndmask_b32_e64 v8, 0, 1, vcc
	v_lshrrev_b64 v[8:9], v8, v[28:29]
; %bb.2339:                             ;   in Loop: Header=BB2_1668 Depth=4
	s_andn2_saveexec_b64 s[40:41], s[40:41]
; %bb.2340:                             ;   in Loop: Header=BB2_1668 Depth=4
	v_mov_b32_e32 v8, v28
	v_bfe_u32 v22, v28, 23, 1
	v_mov_b32_e32 v9, v29
; %bb.2341:                             ;   in Loop: Header=BB2_1668 Depth=4
	s_or_b64 exec, exec, s[40:41]
	v_lshrrev_b64 v[8:9], 20, v[8:9]
	v_cmp_gt_i32_e32 vcc, 16, v22
	v_cndmask_b32_e32 v9, 0, v9, vcc
	v_cndmask_b32_e32 v8, 7, v8, vcc
	v_cmp_eq_u64_e64 s[40:41], 0, v[8:9]
	v_min_i32_e32 v9, 15, v22
	v_lshlrev_b32_e32 v9, 3, v9
	v_cmp_eq_u32_e32 vcc, 0, v22
	v_and_b32_e32 v9, 0xf8, v9
	v_and_or_b32 v8, v8, 7, v9
	s_and_b64 s[40:41], vcc, s[40:41]
	v_cndmask_b32_e64 v8, v8, 0, s[40:41]
	v_or_b32_e32 v22, v8, v52
.LBB2_2342:                             ;   in Loop: Header=BB2_1668 Depth=4
	s_or_b64 exec, exec, s[38:39]
                                        ; implicit-def: $vgpr52
.LBB2_2343:                             ;   in Loop: Header=BB2_1668 Depth=4
	s_andn2_saveexec_b64 s[40:41], s[36:37]
; %bb.2344:                             ;   in Loop: Header=BB2_1668 Depth=4
	v_or_b32_e32 v22, 0x7e, v52
; %bb.2345:                             ;   in Loop: Header=BB2_1668 Depth=4
	s_or_b64 exec, exec, s[40:41]
                                        ; implicit-def: $vgpr8
.LBB2_2346:                             ;   in Loop: Header=BB2_1668 Depth=4
	s_andn2_saveexec_b64 s[40:41], s[34:35]
; %bb.2347:                             ;   in Loop: Header=BB2_1668 Depth=4
	v_or_b32_sdwa v22, v8, s85 dst_sel:DWORD dst_unused:UNUSED_PAD src0_sel:BYTE_3 src1_sel:DWORD
; %bb.2348:                             ;   in Loop: Header=BB2_1668 Depth=4
	s_or_b64 exec, exec, s[40:41]
	v_lshlrev_b32_e32 v8, 24, v34
	v_lshlrev_b32_e32 v5, 16, v5
	v_lshl_or_b32 v16, v16, 8, v24
	v_or3_b32 v28, v5, v8, v16
	v_cmp_ne_u32_e32 vcc, 0, v24
	v_mov_b32_e32 v5, 0
	s_and_saveexec_b64 s[40:41], vcc
	s_cbranch_execz .LBB2_2354
; %bb.2349:                             ;   in Loop: Header=BB2_1668 Depth=4
	v_cmp_ne_u32_e32 vcc, s87, v24
	v_bfrev_b32_e32 v5, 1
	s_and_saveexec_b64 s[34:35], vcc
	s_cbranch_execz .LBB2_2353
; %bb.2350:                             ;   in Loop: Header=BB2_1668 Depth=4
	v_and_b32_e32 v8, 0x7f, v24
	v_cmp_ne_u32_e32 vcc, s85, v8
	v_mov_b32_e32 v5, 0x7f800001
	s_and_saveexec_b64 s[36:37], vcc
	s_cbranch_execz .LBB2_2352
; %bb.2351:                             ;   in Loop: Header=BB2_1668 Depth=4
	v_and_b32_e32 v5, 7, v24
	v_ffbh_u32_e32 v5, v5
	v_min_u32_e32 v5, 32, v5
	v_lshrrev_b32_e32 v9, 3, v8
	v_cmp_gt_u32_e32 vcc, 8, v8
	v_subrev_u32_e32 v8, 28, v5
	v_sub_u32_e32 v5, 29, v5
	v_cndmask_b32_e32 v8, 0, v8, vcc
	v_cndmask_b32_e32 v5, v9, v5, vcc
	v_lshlrev_b64 v[8:9], v8, v[28:29]
	v_lshlrev_b32_e32 v9, 24, v28
	v_lshlrev_b32_e32 v8, 20, v8
	v_and_b32_e32 v8, 0x700000, v8
	v_and_b32_e32 v9, 0x80000000, v9
	v_lshl_add_u32 v5, v5, 23, v17
	v_or3_b32 v5, v9, v5, v8
.LBB2_2352:                             ;   in Loop: Header=BB2_1668 Depth=4
	s_or_b64 exec, exec, s[36:37]
.LBB2_2353:                             ;   in Loop: Header=BB2_1668 Depth=4
	s_or_b64 exec, exec, s[34:35]
.LBB2_2354:                             ;   in Loop: Header=BB2_1668 Depth=4
	s_or_b64 exec, exec, s[40:41]
	v_cmp_gt_i16_sdwa vcc, v11, s85 src0_sel:BYTE_0 src1_sel:DWORD
	s_mov_b64 s[40:41], 0
	s_and_saveexec_b64 s[34:35], vcc
	s_xor_b64 vcc, exec, s[34:35]
	s_cbranch_execz .LBB2_2358
; %bb.2355:                             ;   in Loop: Header=BB2_1668 Depth=4
	v_cmp_eq_u16_sdwa s[36:37], v11, s87 src0_sel:BYTE_0 src1_sel:DWORD
	s_mov_b64 s[40:41], -1
	s_and_saveexec_b64 s[34:35], s[36:37]
; %bb.2356:                             ;   in Loop: Header=BB2_1668 Depth=4
	s_xor_b64 s[40:41], exec, -1
; %bb.2357:                             ;   in Loop: Header=BB2_1668 Depth=4
	s_or_b64 exec, exec, s[34:35]
	s_and_b64 s[40:41], s[40:41], exec
.LBB2_2358:                             ;   in Loop: Header=BB2_1668 Depth=4
	s_or_saveexec_b64 vcc, vcc
	v_bfrev_b32_e32 v24, 1
	s_xor_b64 exec, exec, vcc
; %bb.2359:                             ;   in Loop: Header=BB2_1668 Depth=4
	v_cmp_ne_u16_sdwa s[34:35], v11, v29 src0_sel:BYTE_0 src1_sel:DWORD
	s_andn2_b64 s[40:41], s[40:41], exec
	s_and_b64 s[34:35], s[34:35], exec
	v_mov_b32_e32 v24, 0
	s_or_b64 s[40:41], s[40:41], s[34:35]
; %bb.2360:                             ;   in Loop: Header=BB2_1668 Depth=4
	s_or_b64 exec, exec, vcc
	v_mov_b32_e32 v8, v11
	v_mov_b32_e32 v9, v29
	s_and_saveexec_b64 s[34:35], s[40:41]
	s_cbranch_execz .LBB2_2362
; %bb.2361:                             ;   in Loop: Header=BB2_1668 Depth=4
	v_and_b32_e32 v24, 7, v11
	v_ffbh_u32_e32 v24, v24
	v_and_b32_e32 v34, 0x7f, v11
	v_min_u32_e32 v24, 32, v24
	v_bfe_u32 v52, v11, 3, 4
	v_subrev_u32_e32 v53, 28, v24
	v_sub_u32_e32 v24, 29, v24
	v_cmp_gt_u32_e32 vcc, 8, v34
	v_cndmask_b32_e32 v24, v52, v24, vcc
	v_cndmask_b32_e32 v52, 0, v53, vcc
	v_lshlrev_b64 v[52:53], v52, v[8:9]
	v_lshl_add_u32 v24, v24, 23, v17
	v_lshlrev_b32_e32 v9, 20, v52
	v_lshlrev_b32_e32 v52, 24, v8
	v_and_b32_e32 v9, 0x700000, v9
	v_and_b32_e32 v52, 0x80000000, v52
	v_or3_b32 v9, v52, v24, v9
	v_cmp_ne_u32_e32 vcc, s85, v34
	v_cndmask_b32_e32 v24, v4, v9, vcc
.LBB2_2362:                             ;   in Loop: Header=BB2_1668 Depth=4
	s_or_b64 exec, exec, s[34:35]
	v_add_f32_e32 v24, v5, v24
	v_and_b32_e32 v52, 0x7f800000, v24
	v_mov_b32_e32 v53, v29
	v_cmp_ne_u64_e32 vcc, s[76:77], v[52:53]
                                        ; implicit-def: $vgpr5
	s_and_saveexec_b64 s[40:41], vcc
	s_xor_b64 s[34:35], exec, s[40:41]
	s_cbranch_execz .LBB2_2376
; %bb.2363:                             ;   in Loop: Header=BB2_1668 Depth=4
	v_and_b32_e32 v52, 0x7fffffff, v24
	v_mov_b32_e32 v53, v29
	v_cmp_gt_u64_e32 vcc, s[78:79], v[52:53]
	v_and_b32_sdwa v9, v24, s87 dst_sel:DWORD dst_unused:UNUSED_PAD src0_sel:BYTE_3 src1_sel:DWORD
                                        ; implicit-def: $vgpr5
	s_and_saveexec_b64 s[40:41], vcc
	s_xor_b64 s[36:37], exec, s[40:41]
	s_cbranch_execz .LBB2_2373
; %bb.2364:                             ;   in Loop: Header=BB2_1668 Depth=4
	v_mov_b32_e32 v5, 0
	v_cmp_ne_u32_e32 vcc, 0, v24
	s_and_saveexec_b64 s[38:39], vcc
	s_cbranch_execz .LBB2_2372
; %bb.2365:                             ;   in Loop: Header=BB2_1668 Depth=4
	v_bfe_u32 v5, v24, 23, 8
	v_and_b32_e32 v34, 0x7fffff, v24
	v_cmp_gt_u32_e64 s[40:41], s96, v5
	v_sub_u32_e32 v24, 0x79, v5
	v_cmp_eq_u32_e32 vcc, 0, v5
	v_cndmask_b32_e64 v24, 0, v24, s[40:41]
	v_or_b32_e32 v52, 0x800000, v34
	v_cndmask_b32_e32 v24, v24, v36, vcc
	v_cndmask_b32_e32 v52, v52, v34, vcc
	v_add_u32_e32 v34, 20, v24
	v_lshlrev_b64 v[54:55], v34, -1
	v_add_u32_e32 v34, 19, v24
	v_lshlrev_b64 v[56:57], v34, 1
	v_mov_b32_e32 v53, v29
	v_bfi_b32 v55, v55, 0, 0
	v_bfi_b32 v54, v54, 0, v52
	v_cmp_eq_u64_e64 s[40:41], v[54:55], v[56:57]
	v_lshrrev_b64 v[56:57], v24, v[52:53]
	v_mov_b32_e32 v58, v57
	v_mov_b32_e32 v57, v56
	s_and_saveexec_b64 s[48:49], s[40:41]
; %bb.2366:                             ;   in Loop: Header=BB2_1668 Depth=4
	v_bfe_u32 v34, v56, 20, 1
	v_add_co_u32_e64 v34, s[40:41], v56, v34
	v_add_co_u32_e64 v57, s[40:41], -1, v34
; %bb.2367:                             ;   in Loop: Header=BB2_1668 Depth=4
	s_or_b64 exec, exec, s[48:49]
	v_add_u32_e32 v5, 0xffffff81, v5
	v_cndmask_b32_e32 v5, v5, v37, vcc
	v_lshrrev_b32_e32 v34, 23, v56
	v_add3_u32 v34, v24, v5, v34
	v_add_u32_e32 v24, 6, v34
	v_and_b32_e32 v5, 0xfffff, v57
	v_add_u32_e32 v56, v5, v56
	v_mov_b32_e32 v57, v29
	v_cmp_ne_u32_e32 vcc, 0, v24
                                        ; implicit-def: $vgpr5
	s_and_saveexec_b64 s[40:41], vcc
	s_xor_b64 s[40:41], exec, s[40:41]
; %bb.2368:                             ;   in Loop: Header=BB2_1668 Depth=4
	v_cmp_lt_u64_e32 vcc, s[88:89], v[56:57]
	v_add_u32_e32 v5, 7, v34
	v_cndmask_b32_e32 v5, v24, v5, vcc
	v_cndmask_b32_e64 v24, 0, 1, vcc
	v_lshrrev_b64 v[56:57], v24, v[56:57]
; %bb.2369:                             ;   in Loop: Header=BB2_1668 Depth=4
	s_andn2_saveexec_b64 s[40:41], s[40:41]
; %bb.2370:                             ;   in Loop: Header=BB2_1668 Depth=4
	v_bfe_u32 v5, v56, 23, 1
; %bb.2371:                             ;   in Loop: Header=BB2_1668 Depth=4
	s_or_b64 exec, exec, s[40:41]
	v_lshrrev_b64 v[52:53], 20, v[56:57]
	v_cmp_gt_i32_e32 vcc, 16, v5
	v_cndmask_b32_e32 v53, 0, v53, vcc
	v_cndmask_b32_e32 v52, 7, v52, vcc
	v_cmp_eq_u32_e32 vcc, 0, v5
	v_min_i32_e32 v5, 15, v5
	v_cmp_eq_u64_e64 s[40:41], 0, v[52:53]
	v_lshlrev_b32_e32 v5, 3, v5
	v_and_b32_e32 v5, 0xf8, v5
	v_and_or_b32 v5, v52, 7, v5
	s_and_b64 s[40:41], vcc, s[40:41]
	v_cndmask_b32_e64 v5, v5, 0, s[40:41]
	v_or_b32_e32 v5, v5, v9
.LBB2_2372:                             ;   in Loop: Header=BB2_1668 Depth=4
	s_or_b64 exec, exec, s[38:39]
                                        ; implicit-def: $vgpr9
.LBB2_2373:                             ;   in Loop: Header=BB2_1668 Depth=4
	s_andn2_saveexec_b64 s[40:41], s[36:37]
; %bb.2374:                             ;   in Loop: Header=BB2_1668 Depth=4
	v_or_b32_e32 v5, 0x7e, v9
; %bb.2375:                             ;   in Loop: Header=BB2_1668 Depth=4
	s_or_b64 exec, exec, s[40:41]
                                        ; implicit-def: $vgpr24
.LBB2_2376:                             ;   in Loop: Header=BB2_1668 Depth=4
	s_andn2_saveexec_b64 s[40:41], s[34:35]
; %bb.2377:                             ;   in Loop: Header=BB2_1668 Depth=4
	v_or_b32_sdwa v5, v24, s85 dst_sel:DWORD dst_unused:UNUSED_PAD src0_sel:BYTE_3 src1_sel:DWORD
; %bb.2378:                             ;   in Loop: Header=BB2_1668 Depth=4
	s_or_b64 exec, exec, s[40:41]
	v_lshrrev_b16_e32 v9, 8, v16
	v_cmp_ne_u16_e32 vcc, 0, v9
	v_mov_b32_e32 v24, 0
	s_and_saveexec_b64 s[40:41], vcc
	s_cbranch_execz .LBB2_2384
; %bb.2379:                             ;   in Loop: Header=BB2_1668 Depth=4
	v_cmp_ne_u16_e32 vcc, s87, v9
	v_bfrev_b32_e32 v24, 1
	s_and_saveexec_b64 s[34:35], vcc
	s_cbranch_execz .LBB2_2383
; %bb.2380:                             ;   in Loop: Header=BB2_1668 Depth=4
	v_and_b32_e32 v34, 0x7f, v9
	v_cmp_ne_u32_e32 vcc, s85, v34
	v_mov_b32_e32 v24, 0x7f800001
	s_and_saveexec_b64 s[36:37], vcc
	s_cbranch_execz .LBB2_2382
; %bb.2381:                             ;   in Loop: Header=BB2_1668 Depth=4
	v_and_b32_e32 v24, 7, v9
	v_lshrrev_b32_e32 v54, 3, v34
	v_cmp_gt_u32_e32 vcc, 8, v34
	v_ffbh_u32_e32 v34, v24
	v_min_u32_e32 v34, 32, v34
	v_subrev_u32_e32 v52, 28, v34
	v_lshlrev_b64 v[52:53], v52, v[9:10]
	v_sub_u32_e32 v9, 29, v34
	v_and_b32_e32 v34, 7, v52
	v_cndmask_b32_e32 v9, v54, v9, vcc
	v_cndmask_b32_e32 v24, v24, v34, vcc
	v_lshlrev_b32_e32 v16, 16, v16
	v_lshlrev_b32_e32 v24, 20, v24
	v_and_b32_e32 v16, 0x80000000, v16
	v_lshl_add_u32 v9, v9, 23, v17
	v_or3_b32 v24, v16, v9, v24
.LBB2_2382:                             ;   in Loop: Header=BB2_1668 Depth=4
	s_or_b64 exec, exec, s[36:37]
.LBB2_2383:                             ;   in Loop: Header=BB2_1668 Depth=4
	s_or_b64 exec, exec, s[34:35]
.LBB2_2384:                             ;   in Loop: Header=BB2_1668 Depth=4
	s_or_b64 exec, exec, s[40:41]
	v_lshrrev_b16_e32 v8, 8, v8
	v_cmp_lt_i16_e32 vcc, s85, v8
	s_mov_b64 s[40:41], 0
	s_and_saveexec_b64 s[34:35], vcc
	s_xor_b64 s[34:35], exec, s[34:35]
	s_cbranch_execz .LBB2_2472
; %bb.2385:                             ;   in Loop: Header=BB2_1668 Depth=4
	v_cmp_eq_u16_e32 vcc, s87, v8
	s_mov_b64 s[40:41], -1
	s_and_saveexec_b64 s[36:37], vcc
; %bb.2386:                             ;   in Loop: Header=BB2_1668 Depth=4
	s_xor_b64 s[40:41], exec, -1
; %bb.2387:                             ;   in Loop: Header=BB2_1668 Depth=4
	s_or_b64 exec, exec, s[36:37]
	s_and_b64 s[40:41], s[40:41], exec
	s_or_saveexec_b64 s[34:35], s[34:35]
	v_bfrev_b32_e32 v9, 1
	s_xor_b64 exec, exec, s[34:35]
	s_cbranch_execnz .LBB2_2473
.LBB2_2388:                             ;   in Loop: Header=BB2_1668 Depth=4
	s_or_b64 exec, exec, s[34:35]
	s_and_saveexec_b64 s[34:35], s[40:41]
	s_cbranch_execz .LBB2_2390
.LBB2_2389:                             ;   in Loop: Header=BB2_1668 Depth=4
	v_and_b32_e32 v16, 7, v8
	v_ffbh_u32_e32 v52, v16
	v_min_u32_e32 v55, 32, v52
	v_mov_b32_e32 v9, v29
	v_subrev_u32_e32 v52, 28, v55
	v_lshlrev_b64 v[52:53], v52, v[8:9]
	v_and_b32_e32 v34, 0x7f, v8
	v_bfe_u32 v54, v8, 3, 4
	v_sub_u32_e32 v9, 29, v55
	v_and_b32_e32 v52, 7, v52
	v_cmp_gt_u32_e32 vcc, 8, v34
	v_cndmask_b32_e32 v9, v54, v9, vcc
	v_cndmask_b32_e32 v16, v16, v52, vcc
	v_lshlrev_b32_e32 v8, 24, v8
	v_lshlrev_b32_e32 v16, 20, v16
	v_and_b32_e32 v8, 0x80000000, v8
	v_lshl_add_u32 v9, v9, 23, v17
	v_or3_b32 v8, v8, v9, v16
	v_cmp_ne_u32_e32 vcc, s85, v34
	v_cndmask_b32_e32 v9, v4, v8, vcc
.LBB2_2390:                             ;   in Loop: Header=BB2_1668 Depth=4
	s_or_b64 exec, exec, s[34:35]
	v_add_f32_e32 v8, v24, v9
	v_and_b32_e32 v52, 0x7f800000, v8
	v_mov_b32_e32 v53, v29
	v_cmp_ne_u64_e32 vcc, s[76:77], v[52:53]
                                        ; implicit-def: $vgpr16
	s_and_saveexec_b64 s[40:41], vcc
	s_xor_b64 s[34:35], exec, s[40:41]
	s_cbranch_execz .LBB2_2404
; %bb.2391:                             ;   in Loop: Header=BB2_1668 Depth=4
	v_and_b32_e32 v52, 0x7fffffff, v8
	v_mov_b32_e32 v53, v29
	v_cmp_gt_u64_e32 vcc, s[78:79], v[52:53]
	v_and_b32_sdwa v24, v8, s87 dst_sel:DWORD dst_unused:UNUSED_PAD src0_sel:BYTE_3 src1_sel:DWORD
                                        ; implicit-def: $vgpr16
	s_and_saveexec_b64 s[40:41], vcc
	s_xor_b64 s[36:37], exec, s[40:41]
	s_cbranch_execz .LBB2_2401
; %bb.2392:                             ;   in Loop: Header=BB2_1668 Depth=4
	v_mov_b32_e32 v16, 0
	v_cmp_ne_u32_e32 vcc, 0, v8
	s_and_saveexec_b64 s[38:39], vcc
	s_cbranch_execz .LBB2_2400
; %bb.2393:                             ;   in Loop: Header=BB2_1668 Depth=4
	v_bfe_u32 v16, v8, 23, 8
	v_and_b32_e32 v9, 0x7fffff, v8
	v_cmp_gt_u32_e64 s[40:41], s96, v16
	v_sub_u32_e32 v8, 0x79, v16
	v_cmp_eq_u32_e32 vcc, 0, v16
	v_cndmask_b32_e64 v8, 0, v8, s[40:41]
	v_or_b32_e32 v52, 0x800000, v9
	v_cndmask_b32_e32 v34, v8, v36, vcc
	v_cndmask_b32_e32 v8, v52, v9, vcc
	v_add_u32_e32 v52, 20, v34
	v_lshlrev_b64 v[52:53], v52, -1
	v_mov_b32_e32 v9, v29
	v_add_u32_e32 v54, 19, v34
	v_bfi_b32 v52, v52, 0, v8
	v_lshlrev_b64 v[54:55], v54, 1
	v_lshrrev_b64 v[8:9], v34, v[8:9]
	v_bfi_b32 v53, v53, 0, 0
	v_cmp_eq_u64_e64 s[40:41], v[52:53], v[54:55]
	v_mov_b32_e32 v57, v9
	v_mov_b32_e32 v56, v8
	s_and_saveexec_b64 s[48:49], s[40:41]
; %bb.2394:                             ;   in Loop: Header=BB2_1668 Depth=4
	v_bfe_u32 v9, v8, 20, 1
	v_add_co_u32_e64 v9, s[40:41], v8, v9
	v_add_co_u32_e64 v56, s[40:41], -1, v9
; %bb.2395:                             ;   in Loop: Header=BB2_1668 Depth=4
	s_or_b64 exec, exec, s[48:49]
	v_add_u32_e32 v9, 0xffffff81, v16
	v_cndmask_b32_e32 v9, v9, v37, vcc
	v_lshrrev_b32_e32 v16, 23, v8
	v_add3_u32 v52, v34, v9, v16
	v_add_u32_e32 v34, 6, v52
	v_and_b32_e32 v9, 0xfffff, v56
	v_add_u32_e32 v8, v9, v8
	v_mov_b32_e32 v9, v29
	v_cmp_ne_u32_e32 vcc, 0, v34
                                        ; implicit-def: $vgpr16
	s_and_saveexec_b64 s[40:41], vcc
	s_xor_b64 s[40:41], exec, s[40:41]
; %bb.2396:                             ;   in Loop: Header=BB2_1668 Depth=4
	v_cmp_lt_u64_e32 vcc, s[88:89], v[8:9]
	v_add_u32_e32 v16, 7, v52
	v_cndmask_b32_e32 v16, v34, v16, vcc
	v_cndmask_b32_e64 v34, 0, 1, vcc
	v_lshrrev_b64 v[8:9], v34, v[8:9]
; %bb.2397:                             ;   in Loop: Header=BB2_1668 Depth=4
	s_andn2_saveexec_b64 s[40:41], s[40:41]
; %bb.2398:                             ;   in Loop: Header=BB2_1668 Depth=4
	v_bfe_u32 v16, v8, 23, 1
; %bb.2399:                             ;   in Loop: Header=BB2_1668 Depth=4
	s_or_b64 exec, exec, s[40:41]
	v_lshrrev_b64 v[8:9], 20, v[8:9]
	v_cmp_gt_i32_e32 vcc, 16, v16
	v_cndmask_b32_e32 v9, 0, v9, vcc
	v_cndmask_b32_e32 v8, 7, v8, vcc
	v_cmp_eq_u64_e64 s[40:41], 0, v[8:9]
	v_min_i32_e32 v9, 15, v16
	v_lshlrev_b32_e32 v9, 3, v9
	v_cmp_eq_u32_e32 vcc, 0, v16
	v_and_b32_e32 v9, 0xf8, v9
	v_and_or_b32 v8, v8, 7, v9
	s_and_b64 s[40:41], vcc, s[40:41]
	v_cndmask_b32_e64 v8, v8, 0, s[40:41]
	v_or_b32_e32 v16, v8, v24
.LBB2_2400:                             ;   in Loop: Header=BB2_1668 Depth=4
	s_or_b64 exec, exec, s[38:39]
                                        ; implicit-def: $vgpr24
.LBB2_2401:                             ;   in Loop: Header=BB2_1668 Depth=4
	s_andn2_saveexec_b64 s[40:41], s[36:37]
; %bb.2402:                             ;   in Loop: Header=BB2_1668 Depth=4
	v_or_b32_e32 v16, 0x7e, v24
; %bb.2403:                             ;   in Loop: Header=BB2_1668 Depth=4
	s_or_b64 exec, exec, s[40:41]
                                        ; implicit-def: $vgpr8
.LBB2_2404:                             ;   in Loop: Header=BB2_1668 Depth=4
	s_andn2_saveexec_b64 s[40:41], s[34:35]
; %bb.2405:                             ;   in Loop: Header=BB2_1668 Depth=4
	v_or_b32_sdwa v16, v8, s85 dst_sel:DWORD dst_unused:UNUSED_PAD src0_sel:BYTE_3 src1_sel:DWORD
; %bb.2406:                             ;   in Loop: Header=BB2_1668 Depth=4
	s_or_b64 exec, exec, s[40:41]
	v_lshrrev_b32_e32 v8, 16, v28
	v_cmp_ne_u16_sdwa vcc, v8, v29 src0_sel:BYTE_0 src1_sel:DWORD
	v_mov_b32_e32 v9, 0
	s_and_saveexec_b64 s[40:41], vcc
	s_cbranch_execz .LBB2_2412
; %bb.2407:                             ;   in Loop: Header=BB2_1668 Depth=4
	v_cmp_ne_u16_sdwa vcc, v8, s87 src0_sel:BYTE_0 src1_sel:DWORD
	v_bfrev_b32_e32 v9, 1
	s_and_saveexec_b64 s[34:35], vcc
	s_cbranch_execz .LBB2_2411
; %bb.2408:                             ;   in Loop: Header=BB2_1668 Depth=4
	v_bfe_u32 v24, v28, 16, 7
	v_cmp_ne_u32_e32 vcc, s85, v24
	v_mov_b32_e32 v9, 0x7f800001
	s_and_saveexec_b64 s[36:37], vcc
	s_cbranch_execz .LBB2_2410
; %bb.2409:                             ;   in Loop: Header=BB2_1668 Depth=4
	v_and_b32_e32 v9, 7, v8
	v_lshrrev_b32_e32 v34, 3, v24
	v_cmp_gt_u32_e32 vcc, 8, v24
	v_ffbh_u32_e32 v24, v9
	v_min_u32_e32 v24, 32, v24
	v_subrev_u32_e32 v52, 28, v24
	v_lshlrev_b64 v[52:53], v52, v[8:9]
	v_sub_u32_e32 v24, 29, v24
	v_and_b32_e32 v52, 7, v52
	v_cndmask_b32_e32 v24, v34, v24, vcc
	v_cndmask_b32_e32 v9, v9, v52, vcc
	v_lshlrev_b32_e32 v8, 24, v8
	v_lshlrev_b32_e32 v9, 20, v9
	v_and_b32_e32 v8, 0x80000000, v8
	v_lshl_add_u32 v24, v24, 23, v17
	v_or3_b32 v9, v8, v24, v9
.LBB2_2410:                             ;   in Loop: Header=BB2_1668 Depth=4
	s_or_b64 exec, exec, s[36:37]
.LBB2_2411:                             ;   in Loop: Header=BB2_1668 Depth=4
	s_or_b64 exec, exec, s[34:35]
.LBB2_2412:                             ;   in Loop: Header=BB2_1668 Depth=4
	s_or_b64 exec, exec, s[40:41]
	v_lshrrev_b32_e32 v8, 16, v11
	v_cmp_gt_i16_sdwa vcc, v8, s85 src0_sel:BYTE_0 src1_sel:DWORD
	s_mov_b64 s[40:41], 0
	s_and_saveexec_b64 s[34:35], vcc
	s_xor_b64 vcc, exec, s[34:35]
	s_cbranch_execz .LBB2_2474
; %bb.2413:                             ;   in Loop: Header=BB2_1668 Depth=4
	v_cmp_eq_u16_sdwa s[36:37], v8, s87 src0_sel:BYTE_0 src1_sel:DWORD
	s_mov_b64 s[40:41], -1
	s_and_saveexec_b64 s[34:35], s[36:37]
; %bb.2414:                             ;   in Loop: Header=BB2_1668 Depth=4
	s_xor_b64 s[40:41], exec, -1
; %bb.2415:                             ;   in Loop: Header=BB2_1668 Depth=4
	s_or_b64 exec, exec, s[34:35]
	s_and_b64 s[40:41], s[40:41], exec
	s_or_saveexec_b64 vcc, vcc
	v_bfrev_b32_e32 v24, 1
	s_xor_b64 exec, exec, vcc
	s_cbranch_execnz .LBB2_2475
.LBB2_2416:                             ;   in Loop: Header=BB2_1668 Depth=4
	s_or_b64 exec, exec, vcc
	s_and_saveexec_b64 s[34:35], s[40:41]
	s_cbranch_execz .LBB2_2418
.LBB2_2417:                             ;   in Loop: Header=BB2_1668 Depth=4
	v_and_b32_e32 v24, 7, v8
	v_ffbh_u32_e32 v52, v24
	v_min_u32_e32 v55, 32, v52
	v_subrev_u32_e32 v52, 28, v55
	v_lshlrev_b64 v[52:53], v52, v[8:9]
	v_and_b32_e32 v34, 0x7f, v8
	v_bfe_u32 v54, v8, 3, 4
	v_sub_u32_e32 v53, 29, v55
	v_and_b32_e32 v52, 7, v52
	v_cmp_gt_u32_e32 vcc, 8, v34
	v_cndmask_b32_e32 v53, v54, v53, vcc
	v_cndmask_b32_e32 v24, v24, v52, vcc
	v_lshlrev_b32_e32 v8, 24, v8
	v_lshlrev_b32_e32 v24, 20, v24
	v_and_b32_e32 v8, 0x80000000, v8
	v_lshl_add_u32 v52, v53, 23, v17
	v_or3_b32 v8, v8, v52, v24
	v_cmp_ne_u32_e32 vcc, s85, v34
	v_cndmask_b32_e32 v24, v4, v8, vcc
.LBB2_2418:                             ;   in Loop: Header=BB2_1668 Depth=4
	s_or_b64 exec, exec, s[34:35]
	v_add_f32_e32 v8, v9, v24
	v_and_b32_e32 v52, 0x7f800000, v8
	v_mov_b32_e32 v53, v29
	v_cmp_ne_u64_e32 vcc, s[76:77], v[52:53]
                                        ; implicit-def: $vgpr24
	s_and_saveexec_b64 s[40:41], vcc
	s_xor_b64 s[34:35], exec, s[40:41]
	s_cbranch_execz .LBB2_2432
; %bb.2419:                             ;   in Loop: Header=BB2_1668 Depth=4
	v_and_b32_e32 v52, 0x7fffffff, v8
	v_mov_b32_e32 v53, v29
	v_cmp_gt_u64_e32 vcc, s[78:79], v[52:53]
	v_and_b32_sdwa v34, v8, s87 dst_sel:DWORD dst_unused:UNUSED_PAD src0_sel:BYTE_3 src1_sel:DWORD
                                        ; implicit-def: $vgpr24
	s_and_saveexec_b64 s[40:41], vcc
	s_xor_b64 s[36:37], exec, s[40:41]
	s_cbranch_execz .LBB2_2429
; %bb.2420:                             ;   in Loop: Header=BB2_1668 Depth=4
	v_mov_b32_e32 v24, 0
	v_cmp_ne_u32_e32 vcc, 0, v8
	s_and_saveexec_b64 s[38:39], vcc
	s_cbranch_execz .LBB2_2428
; %bb.2421:                             ;   in Loop: Header=BB2_1668 Depth=4
	v_bfe_u32 v24, v8, 23, 8
	v_and_b32_e32 v9, 0x7fffff, v8
	v_cmp_gt_u32_e64 s[40:41], s96, v24
	v_sub_u32_e32 v8, 0x79, v24
	v_cmp_eq_u32_e32 vcc, 0, v24
	v_cndmask_b32_e64 v8, 0, v8, s[40:41]
	v_or_b32_e32 v53, 0x800000, v9
	v_cndmask_b32_e32 v52, v8, v36, vcc
	v_cndmask_b32_e32 v8, v53, v9, vcc
	v_add_u32_e32 v53, 20, v52
	v_lshlrev_b64 v[53:54], v53, -1
	v_mov_b32_e32 v9, v29
	v_add_u32_e32 v55, 19, v52
	v_bfi_b32 v53, v53, 0, v8
	v_lshlrev_b64 v[55:56], v55, 1
	v_lshrrev_b64 v[8:9], v52, v[8:9]
	v_bfi_b32 v54, v54, 0, 0
	v_cmp_eq_u64_e64 s[40:41], v[53:54], v[55:56]
	v_mov_b32_e32 v57, v9
	v_mov_b32_e32 v56, v8
	s_and_saveexec_b64 s[48:49], s[40:41]
; %bb.2422:                             ;   in Loop: Header=BB2_1668 Depth=4
	v_bfe_u32 v9, v8, 20, 1
	v_add_co_u32_e64 v9, s[40:41], v8, v9
	v_add_co_u32_e64 v56, s[40:41], -1, v9
; %bb.2423:                             ;   in Loop: Header=BB2_1668 Depth=4
	s_or_b64 exec, exec, s[48:49]
	v_add_u32_e32 v9, 0xffffff81, v24
	v_cndmask_b32_e32 v9, v9, v37, vcc
	v_lshrrev_b32_e32 v24, 23, v8
	v_add3_u32 v53, v52, v9, v24
	v_add_u32_e32 v52, 6, v53
	v_and_b32_e32 v9, 0xfffff, v56
	v_add_u32_e32 v8, v9, v8
	v_mov_b32_e32 v9, v29
	v_cmp_ne_u32_e32 vcc, 0, v52
                                        ; implicit-def: $vgpr24
	s_and_saveexec_b64 s[40:41], vcc
	s_xor_b64 s[40:41], exec, s[40:41]
; %bb.2424:                             ;   in Loop: Header=BB2_1668 Depth=4
	v_cmp_lt_u64_e32 vcc, s[88:89], v[8:9]
	v_add_u32_e32 v24, 7, v53
	v_cndmask_b32_e32 v24, v52, v24, vcc
	v_cndmask_b32_e64 v52, 0, 1, vcc
	v_lshrrev_b64 v[8:9], v52, v[8:9]
; %bb.2425:                             ;   in Loop: Header=BB2_1668 Depth=4
	s_andn2_saveexec_b64 s[40:41], s[40:41]
; %bb.2426:                             ;   in Loop: Header=BB2_1668 Depth=4
	v_bfe_u32 v24, v8, 23, 1
; %bb.2427:                             ;   in Loop: Header=BB2_1668 Depth=4
	s_or_b64 exec, exec, s[40:41]
	v_lshrrev_b64 v[8:9], 20, v[8:9]
	v_cmp_gt_i32_e32 vcc, 16, v24
	v_cndmask_b32_e32 v9, 0, v9, vcc
	v_cndmask_b32_e32 v8, 7, v8, vcc
	v_cmp_eq_u64_e64 s[40:41], 0, v[8:9]
	v_min_i32_e32 v9, 15, v24
	v_lshlrev_b32_e32 v9, 3, v9
	v_cmp_eq_u32_e32 vcc, 0, v24
	v_and_b32_e32 v9, 0xf8, v9
	v_and_or_b32 v8, v8, 7, v9
	s_and_b64 s[40:41], vcc, s[40:41]
	v_cndmask_b32_e64 v8, v8, 0, s[40:41]
	v_or_b32_e32 v24, v8, v34
.LBB2_2428:                             ;   in Loop: Header=BB2_1668 Depth=4
	s_or_b64 exec, exec, s[38:39]
                                        ; implicit-def: $vgpr34
.LBB2_2429:                             ;   in Loop: Header=BB2_1668 Depth=4
	s_andn2_saveexec_b64 s[40:41], s[36:37]
; %bb.2430:                             ;   in Loop: Header=BB2_1668 Depth=4
	v_or_b32_e32 v24, 0x7e, v34
; %bb.2431:                             ;   in Loop: Header=BB2_1668 Depth=4
	s_or_b64 exec, exec, s[40:41]
                                        ; implicit-def: $vgpr8
.LBB2_2432:                             ;   in Loop: Header=BB2_1668 Depth=4
	s_andn2_saveexec_b64 s[40:41], s[34:35]
; %bb.2433:                             ;   in Loop: Header=BB2_1668 Depth=4
	v_or_b32_sdwa v24, v8, s85 dst_sel:DWORD dst_unused:UNUSED_PAD src0_sel:BYTE_3 src1_sel:DWORD
; %bb.2434:                             ;   in Loop: Header=BB2_1668 Depth=4
	s_or_b64 exec, exec, s[40:41]
	v_cmp_lt_u32_e32 vcc, s57, v28
	v_mov_b32_e32 v9, 0
	s_and_saveexec_b64 s[40:41], vcc
	s_cbranch_execz .LBB2_2440
; %bb.2435:                             ;   in Loop: Header=BB2_1668 Depth=4
	v_lshrrev_b32_e32 v8, 24, v28
	v_cmp_ne_u32_sdwa vcc, v28, s87 src0_sel:BYTE_3 src1_sel:DWORD
	v_bfrev_b32_e32 v9, 1
	s_and_saveexec_b64 s[34:35], vcc
	s_cbranch_execz .LBB2_2439
; %bb.2436:                             ;   in Loop: Header=BB2_1668 Depth=4
	v_bfe_u32 v34, v28, 24, 7
	v_cmp_ne_u32_e32 vcc, s85, v34
	v_mov_b32_e32 v9, 0x7f800001
	s_and_saveexec_b64 s[36:37], vcc
	s_cbranch_execz .LBB2_2438
; %bb.2437:                             ;   in Loop: Header=BB2_1668 Depth=4
	v_and_b32_e32 v52, 7, v8
	v_ffbh_u32_e32 v9, v52
	v_lshrrev_b32_e32 v53, 3, v34
	v_cmp_gt_u32_e32 vcc, 8, v34
	v_min_u32_e32 v34, 32, v9
	v_subrev_u32_e32 v9, 28, v34
	v_lshlrev_b64 v[8:9], v9, v[8:9]
	v_sub_u32_e32 v9, 29, v34
	v_and_b32_e32 v8, 7, v8
	v_mov_b32_e32 v34, 24
	v_cndmask_b32_e32 v9, v53, v9, vcc
	v_cndmask_b32_e32 v8, v52, v8, vcc
	v_lshlrev_b32_sdwa v28, v34, v28 dst_sel:DWORD dst_unused:UNUSED_PAD src0_sel:DWORD src1_sel:BYTE_3
	v_lshlrev_b32_e32 v8, 20, v8
	v_and_b32_e32 v28, 0x80000000, v28
	v_lshl_add_u32 v9, v9, 23, v17
	v_or3_b32 v9, v28, v9, v8
.LBB2_2438:                             ;   in Loop: Header=BB2_1668 Depth=4
	s_or_b64 exec, exec, s[36:37]
.LBB2_2439:                             ;   in Loop: Header=BB2_1668 Depth=4
	s_or_b64 exec, exec, s[34:35]
.LBB2_2440:                             ;   in Loop: Header=BB2_1668 Depth=4
	s_or_b64 exec, exec, s[40:41]
	v_bfe_u32 v28, v11, 24, 3
	v_ffbh_u32_e32 v52, v28
	v_min_u32_e32 v55, 32, v52
	v_lshrrev_b32_e32 v8, 24, v11
	v_subrev_u32_e32 v52, 28, v55
	v_lshlrev_b64 v[52:53], v52, v[8:9]
	v_bfe_u32 v34, v11, 24, 7
	v_bfe_u32 v54, v8, 3, 4
	v_sub_u32_e32 v53, 29, v55
	v_and_b32_e32 v52, 7, v52
	v_cmp_gt_u32_e32 vcc, 8, v34
	v_cndmask_b32_e32 v53, v54, v53, vcc
	v_cndmask_b32_e32 v28, v28, v52, vcc
	v_lshlrev_b32_e32 v28, 20, v28
	v_and_b32_e32 v52, 0x80000000, v11
	v_lshl_add_u32 v53, v53, 23, v17
	v_or3_b32 v28, v52, v53, v28
	v_cmp_ne_u32_e32 vcc, s85, v34
	v_cndmask_b32_e32 v28, v4, v28, vcc
	v_cmp_ne_u32_e32 vcc, s87, v8
	v_bfrev_b32_e32 v8, 1
	v_cndmask_b32_e32 v8, v8, v28, vcc
	v_cmp_lt_u64_e32 vcc, s[56:57], v[10:11]
	v_cndmask_b32_e32 v8, 0, v8, vcc
	v_add_f32_e32 v9, v8, v9
	v_and_b32_e32 v28, 0x7f800000, v9
	v_cmp_ne_u64_e32 vcc, s[76:77], v[28:29]
                                        ; implicit-def: $vgpr8
	s_and_saveexec_b64 s[40:41], vcc
	s_xor_b64 s[34:35], exec, s[40:41]
	s_cbranch_execz .LBB2_2454
; %bb.2441:                             ;   in Loop: Header=BB2_1668 Depth=4
	v_and_b32_e32 v28, 0x7fffffff, v9
	v_cmp_gt_u64_e32 vcc, s[78:79], v[28:29]
	v_and_b32_sdwa v11, v9, s87 dst_sel:DWORD dst_unused:UNUSED_PAD src0_sel:BYTE_3 src1_sel:DWORD
                                        ; implicit-def: $vgpr8
	s_and_saveexec_b64 s[40:41], vcc
	s_xor_b64 s[36:37], exec, s[40:41]
	s_cbranch_execz .LBB2_2451
; %bb.2442:                             ;   in Loop: Header=BB2_1668 Depth=4
	v_mov_b32_e32 v8, 0
	v_cmp_ne_u32_e32 vcc, 0, v9
	s_and_saveexec_b64 s[38:39], vcc
	s_cbranch_execz .LBB2_2450
; %bb.2443:                             ;   in Loop: Header=BB2_1668 Depth=4
	v_bfe_u32 v34, v9, 23, 8
	v_and_b32_e32 v8, 0x7fffff, v9
	v_cmp_gt_u32_e64 s[40:41], s96, v34
	v_sub_u32_e32 v9, 0x79, v34
	v_cmp_eq_u32_e32 vcc, 0, v34
	v_cndmask_b32_e64 v9, 0, v9, s[40:41]
	v_or_b32_e32 v10, 0x800000, v8
	v_cndmask_b32_e32 v52, v9, v36, vcc
	v_cndmask_b32_e32 v28, v10, v8, vcc
	v_add_u32_e32 v8, 20, v52
	v_lshlrev_b64 v[8:9], v8, -1
	v_add_u32_e32 v10, 19, v52
	v_lshlrev_b64 v[53:54], v10, 1
	v_bfi_b32 v9, v9, 0, 0
	v_bfi_b32 v8, v8, 0, v28
	v_cmp_eq_u64_e64 s[40:41], v[8:9], v[53:54]
	v_lshrrev_b64 v[8:9], v52, v[28:29]
	v_mov_b32_e32 v10, v9
	v_mov_b32_e32 v9, v8
	s_and_saveexec_b64 s[48:49], s[40:41]
; %bb.2444:                             ;   in Loop: Header=BB2_1668 Depth=4
	v_bfe_u32 v9, v8, 20, 1
	v_add_co_u32_e64 v9, s[40:41], v8, v9
	v_add_co_u32_e64 v9, s[40:41], -1, v9
; %bb.2445:                             ;   in Loop: Header=BB2_1668 Depth=4
	s_or_b64 exec, exec, s[48:49]
	v_add_u32_e32 v10, 0xffffff81, v34
	v_cndmask_b32_e32 v10, v10, v37, vcc
	v_lshrrev_b32_e32 v28, 23, v8
	v_add3_u32 v52, v52, v10, v28
	v_add_u32_e32 v34, 6, v52
	v_and_b32_e32 v9, 0xfffff, v9
	v_add_u32_e32 v28, v9, v8
	v_cmp_ne_u32_e32 vcc, 0, v34
                                        ; implicit-def: $vgpr8_vgpr9
                                        ; implicit-def: $vgpr10
	s_and_saveexec_b64 s[40:41], vcc
	s_xor_b64 s[40:41], exec, s[40:41]
; %bb.2446:                             ;   in Loop: Header=BB2_1668 Depth=4
	v_cmp_lt_u64_e32 vcc, s[88:89], v[28:29]
	v_add_u32_e32 v8, 7, v52
	v_cndmask_b32_e32 v10, v34, v8, vcc
	v_cndmask_b32_e64 v8, 0, 1, vcc
	v_lshrrev_b64 v[8:9], v8, v[28:29]
; %bb.2447:                             ;   in Loop: Header=BB2_1668 Depth=4
	s_andn2_saveexec_b64 s[40:41], s[40:41]
; %bb.2448:                             ;   in Loop: Header=BB2_1668 Depth=4
	v_mov_b32_e32 v8, v28
	v_bfe_u32 v10, v28, 23, 1
	v_mov_b32_e32 v9, v29
; %bb.2449:                             ;   in Loop: Header=BB2_1668 Depth=4
	s_or_b64 exec, exec, s[40:41]
	v_lshrrev_b64 v[8:9], 20, v[8:9]
	v_cmp_gt_i32_e32 vcc, 16, v10
	v_cndmask_b32_e32 v9, 0, v9, vcc
	v_cndmask_b32_e32 v8, 7, v8, vcc
	v_cmp_eq_u64_e64 s[40:41], 0, v[8:9]
	v_min_i32_e32 v9, 15, v10
	v_lshlrev_b32_e32 v9, 3, v9
	v_cmp_eq_u32_e32 vcc, 0, v10
	v_and_b32_e32 v9, 0xf8, v9
	v_and_or_b32 v8, v8, 7, v9
	s_and_b64 s[40:41], vcc, s[40:41]
	v_cndmask_b32_e64 v8, v8, 0, s[40:41]
	v_or_b32_e32 v8, v8, v11
.LBB2_2450:                             ;   in Loop: Header=BB2_1668 Depth=4
	s_or_b64 exec, exec, s[38:39]
                                        ; implicit-def: $vgpr11
.LBB2_2451:                             ;   in Loop: Header=BB2_1668 Depth=4
	s_andn2_saveexec_b64 s[40:41], s[36:37]
; %bb.2452:                             ;   in Loop: Header=BB2_1668 Depth=4
	v_or_b32_e32 v8, 0x7e, v11
; %bb.2453:                             ;   in Loop: Header=BB2_1668 Depth=4
	s_or_b64 exec, exec, s[40:41]
                                        ; implicit-def: $vgpr9
.LBB2_2454:                             ;   in Loop: Header=BB2_1668 Depth=4
	s_andn2_saveexec_b64 s[40:41], s[34:35]
	s_cbranch_execz .LBB2_1667
; %bb.2455:                             ;   in Loop: Header=BB2_1668 Depth=4
	v_or_b32_sdwa v8, v9, s85 dst_sel:DWORD dst_unused:UNUSED_PAD src0_sel:BYTE_3 src1_sel:DWORD
	s_branch .LBB2_1667
.LBB2_2456:                             ;   in Loop: Header=BB2_1668 Depth=4
	s_or_saveexec_b64 vcc, vcc
	v_bfrev_b32_e32 v2, 1
	s_xor_b64 exec, exec, vcc
	s_cbranch_execz .LBB2_2038
.LBB2_2457:                             ;   in Loop: Header=BB2_1668 Depth=4
	v_cmp_ne_u16_sdwa s[34:35], v8, v29 src0_sel:BYTE_0 src1_sel:DWORD
	s_andn2_b64 s[40:41], s[40:41], exec
	s_and_b64 s[34:35], s[34:35], exec
	v_mov_b32_e32 v2, 0
	s_or_b64 s[40:41], s[40:41], s[34:35]
	s_or_b64 exec, exec, vcc
	s_and_saveexec_b64 s[34:35], s[40:41]
	s_cbranch_execnz .LBB2_2039
	s_branch .LBB2_2040
.LBB2_2458:                             ;   in Loop: Header=BB2_1668 Depth=4
	s_or_saveexec_b64 s[34:35], s[34:35]
	v_bfrev_b32_e32 v6, 1
	s_xor_b64 exec, exec, s[34:35]
	s_cbranch_execz .LBB2_2066
.LBB2_2459:                             ;   in Loop: Header=BB2_1668 Depth=4
	v_cmp_ne_u16_e32 vcc, 0, v56
	s_andn2_b64 s[40:41], s[40:41], exec
	s_and_b64 vcc, vcc, exec
	v_mov_b32_e32 v6, 0
	s_or_b64 s[40:41], s[40:41], vcc
	s_or_b64 exec, exec, s[34:35]
	s_and_saveexec_b64 s[34:35], s[40:41]
	s_cbranch_execnz .LBB2_2067
	s_branch .LBB2_2068
.LBB2_2460:                             ;   in Loop: Header=BB2_1668 Depth=4
	s_or_saveexec_b64 vcc, vcc
	v_bfrev_b32_e32 v31, 1
	s_xor_b64 exec, exec, vcc
	s_cbranch_execz .LBB2_2094
.LBB2_2461:                             ;   in Loop: Header=BB2_1668 Depth=4
	v_cmp_ne_u16_sdwa s[34:35], v30, v29 src0_sel:BYTE_0 src1_sel:DWORD
	s_andn2_b64 s[40:41], s[40:41], exec
	s_and_b64 s[34:35], s[34:35], exec
	v_mov_b32_e32 v31, 0
	s_or_b64 s[40:41], s[40:41], s[34:35]
	s_or_b64 exec, exec, vcc
	s_and_saveexec_b64 s[34:35], s[40:41]
	s_cbranch_execnz .LBB2_2095
	s_branch .LBB2_2096
.LBB2_2462:                             ;   in Loop: Header=BB2_1668 Depth=4
	s_or_saveexec_b64 s[34:35], s[34:35]
	v_bfrev_b32_e32 v30, 1
	s_xor_b64 exec, exec, s[34:35]
	s_cbranch_execz .LBB2_2174
.LBB2_2463:                             ;   in Loop: Header=BB2_1668 Depth=4
	v_cmp_ne_u16_e32 vcc, 0, v56
	s_andn2_b64 s[40:41], s[40:41], exec
	s_and_b64 vcc, vcc, exec
	v_mov_b32_e32 v30, 0
	s_or_b64 s[40:41], s[40:41], vcc
	s_or_b64 exec, exec, s[34:35]
	s_and_saveexec_b64 s[34:35], s[40:41]
	s_cbranch_execnz .LBB2_2175
	s_branch .LBB2_2176
.LBB2_2464:                             ;   in Loop: Header=BB2_1668 Depth=4
	s_or_saveexec_b64 vcc, vcc
	v_bfrev_b32_e32 v52, 1
	s_xor_b64 exec, exec, vcc
	s_cbranch_execz .LBB2_2202
.LBB2_2465:                             ;   in Loop: Header=BB2_1668 Depth=4
	v_cmp_ne_u16_sdwa s[34:35], v30, v29 src0_sel:BYTE_0 src1_sel:DWORD
	s_andn2_b64 s[40:41], s[40:41], exec
	s_and_b64 s[34:35], s[34:35], exec
	v_mov_b32_e32 v52, 0
	s_or_b64 s[40:41], s[40:41], s[34:35]
	s_or_b64 exec, exec, vcc
	s_and_saveexec_b64 s[34:35], s[40:41]
	s_cbranch_execnz .LBB2_2203
	s_branch .LBB2_2204
.LBB2_2466:                             ;   in Loop: Header=BB2_1668 Depth=4
	s_or_saveexec_b64 vcc, vcc
	v_bfrev_b32_e32 v7, 1
	s_xor_b64 exec, exec, vcc
	s_cbranch_execz .LBB2_2252
.LBB2_2467:                             ;   in Loop: Header=BB2_1668 Depth=4
	v_cmp_ne_u16_sdwa s[34:35], v10, v29 src0_sel:BYTE_0 src1_sel:DWORD
	s_andn2_b64 s[40:41], s[40:41], exec
	s_and_b64 s[34:35], s[34:35], exec
	v_mov_b32_e32 v7, 0
	s_or_b64 s[40:41], s[40:41], s[34:35]
	s_or_b64 exec, exec, vcc
	s_and_saveexec_b64 s[34:35], s[40:41]
	s_cbranch_execnz .LBB2_2253
	s_branch .LBB2_2254
.LBB2_2468:                             ;   in Loop: Header=BB2_1668 Depth=4
	s_or_saveexec_b64 s[34:35], s[34:35]
	v_bfrev_b32_e32 v9, 1
	s_xor_b64 exec, exec, s[34:35]
	s_cbranch_execz .LBB2_2280
.LBB2_2469:                             ;   in Loop: Header=BB2_1668 Depth=4
	v_cmp_ne_u16_e32 vcc, 0, v8
	s_andn2_b64 s[40:41], s[40:41], exec
	s_and_b64 vcc, vcc, exec
	v_mov_b32_e32 v9, 0
	s_or_b64 s[40:41], s[40:41], vcc
	s_or_b64 exec, exec, s[34:35]
	s_and_saveexec_b64 s[34:35], s[40:41]
	s_cbranch_execnz .LBB2_2281
	s_branch .LBB2_2282
.LBB2_2470:                             ;   in Loop: Header=BB2_1668 Depth=4
	s_or_saveexec_b64 vcc, vcc
	v_bfrev_b32_e32 v18, 1
	s_xor_b64 exec, exec, vcc
	s_cbranch_execz .LBB2_2308
.LBB2_2471:                             ;   in Loop: Header=BB2_1668 Depth=4
	v_cmp_ne_u16_sdwa s[34:35], v8, v29 src0_sel:BYTE_0 src1_sel:DWORD
	s_andn2_b64 s[40:41], s[40:41], exec
	s_and_b64 s[34:35], s[34:35], exec
	v_mov_b32_e32 v18, 0
	s_or_b64 s[40:41], s[40:41], s[34:35]
	s_or_b64 exec, exec, vcc
	s_and_saveexec_b64 s[34:35], s[40:41]
	s_cbranch_execnz .LBB2_2309
	s_branch .LBB2_2310
.LBB2_2472:                             ;   in Loop: Header=BB2_1668 Depth=4
	s_or_saveexec_b64 s[34:35], s[34:35]
	v_bfrev_b32_e32 v9, 1
	s_xor_b64 exec, exec, s[34:35]
	s_cbranch_execz .LBB2_2388
.LBB2_2473:                             ;   in Loop: Header=BB2_1668 Depth=4
	v_cmp_ne_u16_e32 vcc, 0, v8
	s_andn2_b64 s[40:41], s[40:41], exec
	s_and_b64 vcc, vcc, exec
	v_mov_b32_e32 v9, 0
	s_or_b64 s[40:41], s[40:41], vcc
	s_or_b64 exec, exec, s[34:35]
	s_and_saveexec_b64 s[34:35], s[40:41]
	s_cbranch_execnz .LBB2_2389
	s_branch .LBB2_2390
.LBB2_2474:                             ;   in Loop: Header=BB2_1668 Depth=4
	s_or_saveexec_b64 vcc, vcc
	v_bfrev_b32_e32 v24, 1
	s_xor_b64 exec, exec, vcc
	s_cbranch_execz .LBB2_2416
.LBB2_2475:                             ;   in Loop: Header=BB2_1668 Depth=4
	v_cmp_ne_u16_sdwa s[34:35], v8, v29 src0_sel:BYTE_0 src1_sel:DWORD
	s_andn2_b64 s[40:41], s[40:41], exec
	s_and_b64 s[34:35], s[34:35], exec
	v_mov_b32_e32 v24, 0
	s_or_b64 s[40:41], s[40:41], s[34:35]
	s_or_b64 exec, exec, vcc
	s_and_saveexec_b64 s[34:35], s[40:41]
	s_cbranch_execnz .LBB2_2417
	s_branch .LBB2_2418
.LBB2_2476:                             ;   in Loop: Header=BB2_1590 Depth=3
	s_or_b64 exec, exec, s[30:31]
	buffer_load_dword v22, off, s[0:3], s33 offset:156 ; 4-byte Folded Reload
	buffer_load_dword v23, off, s[0:3], s33 offset:160 ; 4-byte Folded Reload
	;; [unrolled: 1-line block ×4, first 2 shown]
.LBB2_2477:                             ;   in Loop: Header=BB2_1590 Depth=3
	s_or_b64 exec, exec, s[94:95]
	v_and_b32_e32 v2, 15, v51
	s_waitcnt vmcnt(0)
	v_cndmask_b32_e64 v0, v5, v2, s[28:29]
	v_mov_b32_e32 v24, 0
	v_cmp_ne_u32_e32 vcc, 0, v0
	s_mov_b64 s[30:31], 0
                                        ; implicit-def: $vgpr1
                                        ; implicit-def: $vgpr19
	s_and_saveexec_b64 s[94:95], vcc
	s_cbranch_execz .LBB2_3291
; %bb.2478:                             ;   in Loop: Header=BB2_1590 Depth=3
	v_sub_u32_e32 v1, v5, v2
	buffer_load_dword v2, off, s[0:3], s33 offset:176 ; 4-byte Folded Reload
	v_cndmask_b32_e64 v1, 0, v1, s[28:29]
	v_cmp_lt_i32_e32 vcc, 0, v35
	v_add_u32_e32 v6, v1, v3
	v_cndmask_b32_e32 v1, 0, v14, vcc
	v_sub_u32_e32 v1, v1, v35
	s_waitcnt vmcnt(0)
	v_lshl_or_b32 v1, v1, 6, v2
	v_ashrrev_i32_e32 v2, 31, v1
	v_lshrrev_b32_e32 v2, 26, v2
	v_add_u32_e32 v2, v1, v2
	v_ashrrev_i32_e32 v3, 6, v2
	v_and_b32_e32 v2, 0xffffffc0, v2
	v_sub_u32_e32 v7, v1, v2
	v_ashrrev_i32_e32 v2, 31, v0
	v_lshrrev_b32_e32 v2, 22, v2
	v_add_u32_e32 v2, v0, v2
	v_and_b32_e32 v8, 0xfffffc00, v2
	v_lshlrev_b32_e32 v1, 4, v7
	v_sub_u32_e32 v9, v0, v8
	v_lshl_add_u32 v1, v3, 10, v1
	v_ashrrev_i32_e32 v5, 10, v2
	v_cmp_lt_i32_e64 s[28:29], 15, v9
	v_sub_u32_e32 v18, v0, v1
	v_addc_co_u32_e64 v2, vcc, 0, v5, s[28:29]
	v_sub_u32_e32 v19, v2, v3
	v_cmp_lt_i32_e32 vcc, 15, v18
	s_and_saveexec_b64 s[30:31], vcc
	s_cbranch_execz .LBB2_3290
; %bb.2479:                             ;   in Loop: Header=BB2_1590 Depth=3
	buffer_store_dword v9, off, s[0:3], s33 offset:196 ; 4-byte Folded Spill
	buffer_store_dword v8, off, s[0:3], s33 offset:172 ; 4-byte Folded Spill
	;; [unrolled: 1-line block ×4, first 2 shown]
	v_add_u32_e32 v3, v1, v6
	s_trap 2
	ds_read_b64 v[1:2], v0
	v_ashrrev_i32_e32 v5, 31, v3
	v_add_co_u32_e32 v42, vcc, v3, v40
	v_addc_co_u32_e32 v43, vcc, v5, v41, vcc
	s_waitcnt lgkmcnt(0)
	v_add_co_u32_e32 v44, vcc, v1, v3
	v_addc_co_u32_e32 v45, vcc, v2, v5, vcc
	v_add_co_u32_e32 v46, vcc, v3, v22
	buffer_store_dword v22, off, s[0:3], s33 offset:156 ; 4-byte Folded Spill
	s_nop 0
	buffer_store_dword v23, off, s[0:3], s33 offset:160 ; 4-byte Folded Spill
	v_readfirstlane_b32 s40, v1
	s_and_b32 s41, s40, 7
	s_flbit_i32_b32 s41, s41
	s_min_u32 s41, s41, 32
	s_and_b32 s45, s40, 0x7f
	s_mov_b64 s[34:35], 0
	v_addc_co_u32_e32 v47, vcc, v5, v23, vcc
	s_bfe_u32 vcc_lo, s40, 0x40003
	s_sub_i32 vcc_hi, s41, 28
	s_sub_i32 s41, 29, s41
	s_cmp_lt_u32 s45, 8
	s_cselect_b32 vcc_hi, vcc_hi, 0
	s_cselect_b32 s41, s41, vcc_lo
	v_lshlrev_b64 v[1:2], vcc_hi, v[1:2]
	s_lshl_b32 vcc_lo, s40, 24
	s_lshl_b32 s41, s41, 23
	s_and_b32 vcc_lo, vcc_lo, 0x80000000
	s_add_i32 s41, s41, 0x3c000000
	v_lshlrev_b32_e32 v1, 20, v1
	s_or_b32 s41, vcc_lo, s41
	v_and_b32_e32 v1, 0x700000, v1
	s_cmpk_lg_i32 s45, 0x7f
	v_or_b32_e32 v1, s41, v1
	s_cselect_b64 vcc, -1, 0
	v_cndmask_b32_e32 v24, v4, v1, vcc
	s_and_b32 s45, s40, 0xff
	s_branch .LBB2_2481
.LBB2_2480:                             ;   in Loop: Header=BB2_2481 Depth=4
	s_or_b64 exec, exec, s[40:41]
	v_lshl_or_b32 v9, v33, 8, v22
	v_lshlrev_b32_e32 v10, 16, v52
	v_lshlrev_b32_e32 v11, 24, v30
	v_or3_b32 v57, v9, v10, v11
	v_lshl_or_b32 v7, v7, 8, v25
	v_lshlrev_b32_e32 v5, 16, v5
	v_lshlrev_b32_e32 v9, 24, v31
	v_add_co_u32_e32 v42, vcc, v42, v15
	v_or3_b32 v56, v7, v5, v9
	v_lshl_or_b32 v1, v3, 8, v1
	v_lshlrev_b32_e32 v3, 16, v16
	v_lshlrev_b32_e32 v5, 24, v23
	v_addc_co_u32_e32 v43, vcc, 0, v43, vcc
	v_or3_b32 v58, v1, v3, v5
	v_lshlrev_b32_e32 v1, 24, v8
	v_lshlrev_b32_e32 v3, 16, v34
	v_lshl_or_b32 v2, v6, 8, v2
	v_add_co_u32_e32 v44, vcc, v44, v15
	v_or3_b32 v59, v2, v3, v1
	v_addc_co_u32_e32 v45, vcc, 0, v45, vcc
	global_store_dwordx4 v[46:47], v[56:59], off glc slc
	v_add_co_u32_e32 v46, vcc, v46, v15
	v_addc_co_u32_e32 v47, vcc, 0, v47, vcc
	v_sub_u32_e32 v18, v18, v15
	v_cmp_gt_i32_e32 vcc, 16, v18
	s_or_b64 s[34:35], vcc, s[34:35]
	v_sub_u32_e32 v19, v19, v14
	s_andn2_b64 exec, exec, s[34:35]
	s_cbranch_execz .LBB2_3289
.LBB2_2481:                             ;   Parent Loop BB2_47 Depth=1
                                        ;     Parent Loop BB2_1587 Depth=2
                                        ;       Parent Loop BB2_1590 Depth=3
                                        ; =>      This Inner Loop Header: Depth=4
	s_cmpk_lt_i32 s45, 0x80
	s_cbranch_scc1 .LBB2_2485
; %bb.2482:                             ;   in Loop: Header=BB2_2481 Depth=4
	s_and_b32 vcc_lo, 0xffff, s45
	s_mov_b64 s[40:41], -1
	s_cmpk_eq_i32 vcc_lo, 0x80
	s_cbranch_scc0 .LBB2_2484
; %bb.2483:                             ;   in Loop: Header=BB2_2481 Depth=4
	s_mov_b64 s[40:41], 0
.LBB2_2484:                             ;   in Loop: Header=BB2_2481 Depth=4
	s_brev_b32 s36, 1
	s_branch .LBB2_2487
.LBB2_2485:                             ;   in Loop: Header=BB2_2481 Depth=4
	s_mov_b64 s[40:41], 0
	s_brev_b32 s36, 1
	s_cbranch_execz .LBB2_2487
; %bb.2486:                             ;   in Loop: Header=BB2_2481 Depth=4
	s_and_b32 s40, 0xffff, s45
	s_cmp_lg_u32 s40, 0
	s_mov_b32 s36, 0
	s_cselect_b64 s[40:41], -1, 0
.LBB2_2487:                             ;   in Loop: Header=BB2_2481 Depth=4
	s_andn2_b64 vcc, exec, s[40:41]
	v_mov_b32_e32 v7, s36
	s_cbranch_vccnz .LBB2_2489
; %bb.2488:                             ;   in Loop: Header=BB2_2481 Depth=4
	v_mov_b32_e32 v7, v24
.LBB2_2489:                             ;   in Loop: Header=BB2_2481 Depth=4
	global_load_dwordx4 v[8:11], v[42:43], off glc slc
	v_mov_b32_e32 v1, 0
	s_waitcnt vmcnt(0)
	v_cmp_ne_u16_sdwa vcc, v8, v29 src0_sel:BYTE_0 src1_sel:DWORD
	s_and_saveexec_b64 s[40:41], vcc
	s_cbranch_execz .LBB2_2495
; %bb.2490:                             ;   in Loop: Header=BB2_2481 Depth=4
	v_cmp_ne_u16_sdwa vcc, v8, s87 src0_sel:BYTE_0 src1_sel:DWORD
	v_bfrev_b32_e32 v1, 1
	s_and_saveexec_b64 s[36:37], vcc
	s_cbranch_execz .LBB2_2494
; %bb.2491:                             ;   in Loop: Header=BB2_2481 Depth=4
	v_and_b32_e32 v2, 0x7f, v8
	v_cmp_ne_u32_e32 vcc, s85, v2
	v_mov_b32_e32 v1, 0x7f800001
	s_and_saveexec_b64 s[38:39], vcc
	s_cbranch_execz .LBB2_2493
; %bb.2492:                             ;   in Loop: Header=BB2_2481 Depth=4
	v_and_b32_e32 v1, 7, v8
	v_ffbh_u32_e32 v1, v1
	v_min_u32_e32 v1, 32, v1
	v_lshrrev_b32_e32 v3, 3, v2
	v_cmp_gt_u32_e32 vcc, 8, v2
	v_subrev_u32_e32 v2, 28, v1
	v_sub_u32_e32 v1, 29, v1
	v_cndmask_b32_e32 v3, v3, v1, vcc
	v_cndmask_b32_e32 v1, 0, v2, vcc
	v_lshlrev_b64 v[1:2], v1, v[8:9]
	v_lshlrev_b32_e32 v2, 24, v8
	v_lshlrev_b32_e32 v1, 20, v1
	v_and_b32_e32 v1, 0x700000, v1
	v_and_b32_e32 v2, 0x80000000, v2
	v_lshl_add_u32 v3, v3, 23, v17
	v_or3_b32 v1, v2, v3, v1
.LBB2_2493:                             ;   in Loop: Header=BB2_2481 Depth=4
	s_or_b64 exec, exec, s[38:39]
.LBB2_2494:                             ;   in Loop: Header=BB2_2481 Depth=4
	s_or_b64 exec, exec, s[36:37]
.LBB2_2495:                             ;   in Loop: Header=BB2_2481 Depth=4
	s_or_b64 exec, exec, s[40:41]
	v_mul_f32_e32 v2, v7, v1
	v_and_b32_e32 v28, 0x7f800000, v2
	v_cmp_ne_u64_e32 vcc, s[76:77], v[28:29]
                                        ; implicit-def: $vgpr5
	s_and_saveexec_b64 s[40:41], vcc
	s_xor_b64 s[36:37], exec, s[40:41]
	s_cbranch_execz .LBB2_2509
; %bb.2496:                             ;   in Loop: Header=BB2_2481 Depth=4
	v_and_b32_e32 v28, 0x7fffffff, v2
	v_cmp_gt_u64_e32 vcc, s[78:79], v[28:29]
	v_and_b32_sdwa v1, v2, s87 dst_sel:DWORD dst_unused:UNUSED_PAD src0_sel:BYTE_3 src1_sel:DWORD
                                        ; implicit-def: $vgpr5
	s_and_saveexec_b64 s[40:41], vcc
	s_xor_b64 s[38:39], exec, s[40:41]
	s_cbranch_execz .LBB2_2506
; %bb.2497:                             ;   in Loop: Header=BB2_2481 Depth=4
	v_mov_b32_e32 v5, 0
	v_cmp_ne_u32_e32 vcc, 0, v2
	s_and_saveexec_b64 s[48:49], vcc
	s_cbranch_execz .LBB2_2505
; %bb.2498:                             ;   in Loop: Header=BB2_2481 Depth=4
	v_and_b32_e32 v5, 0x7fffff, v2
	v_bfe_u32 v2, v2, 23, 8
	v_cmp_gt_u32_e64 s[40:41], s96, v2
	v_sub_u32_e32 v3, 0x79, v2
	v_cmp_eq_u32_e32 vcc, 0, v2
	v_cndmask_b32_e64 v3, 0, v3, s[40:41]
	v_or_b32_e32 v6, 0x800000, v5
	v_cndmask_b32_e32 v3, v3, v36, vcc
	v_cndmask_b32_e32 v28, v6, v5, vcc
	v_add_u32_e32 v5, 20, v3
	v_lshlrev_b64 v[5:6], v5, -1
	v_add_u32_e32 v16, 19, v3
	v_lshlrev_b64 v[22:23], v16, 1
	v_lshrrev_b64 v[56:57], v3, v[28:29]
	v_bfi_b32 v6, v6, 0, 0
	v_bfi_b32 v5, v5, 0, v28
	v_cmp_eq_u64_e64 s[40:41], v[5:6], v[22:23]
	v_mov_b32_e32 v58, v57
	v_mov_b32_e32 v57, v56
	s_and_saveexec_b64 s[50:51], s[40:41]
; %bb.2499:                             ;   in Loop: Header=BB2_2481 Depth=4
	v_bfe_u32 v5, v56, 20, 1
	v_add_co_u32_e64 v5, s[40:41], v56, v5
	v_add_co_u32_e64 v57, s[40:41], -1, v5
; %bb.2500:                             ;   in Loop: Header=BB2_2481 Depth=4
	s_or_b64 exec, exec, s[50:51]
	v_add_u32_e32 v2, 0xffffff81, v2
	v_cndmask_b32_e32 v2, v2, v37, vcc
	v_lshrrev_b32_e32 v5, 23, v56
	v_add3_u32 v5, v3, v2, v5
	v_add_u32_e32 v3, 6, v5
	v_and_b32_e32 v2, 0xfffff, v57
	v_add_u32_e32 v28, v2, v56
	v_cmp_ne_u32_e32 vcc, 0, v3
                                        ; implicit-def: $vgpr56_vgpr57
                                        ; implicit-def: $vgpr2
	s_and_saveexec_b64 s[40:41], vcc
	s_xor_b64 s[40:41], exec, s[40:41]
; %bb.2501:                             ;   in Loop: Header=BB2_2481 Depth=4
	v_cmp_lt_u64_e32 vcc, s[88:89], v[28:29]
	v_add_u32_e32 v2, 7, v5
	v_cndmask_b32_e32 v2, v3, v2, vcc
	v_cndmask_b32_e64 v3, 0, 1, vcc
	v_lshrrev_b64 v[56:57], v3, v[28:29]
; %bb.2502:                             ;   in Loop: Header=BB2_2481 Depth=4
	s_andn2_saveexec_b64 s[40:41], s[40:41]
; %bb.2503:                             ;   in Loop: Header=BB2_2481 Depth=4
	v_mov_b32_e32 v57, v29
	v_bfe_u32 v2, v28, 23, 1
	v_mov_b32_e32 v56, v28
; %bb.2504:                             ;   in Loop: Header=BB2_2481 Depth=4
	s_or_b64 exec, exec, s[40:41]
	v_lshrrev_b64 v[5:6], 20, v[56:57]
	v_cmp_gt_i32_e32 vcc, 16, v2
	v_cndmask_b32_e32 v6, 0, v6, vcc
	v_cndmask_b32_e32 v5, 7, v5, vcc
	v_cmp_eq_u32_e32 vcc, 0, v2
	v_min_i32_e32 v2, 15, v2
	v_cmp_eq_u64_e64 s[40:41], 0, v[5:6]
	v_lshlrev_b32_e32 v2, 3, v2
	v_and_b32_e32 v2, 0xf8, v2
	v_and_or_b32 v2, v5, 7, v2
	s_and_b64 s[40:41], vcc, s[40:41]
	v_cndmask_b32_e64 v2, v2, 0, s[40:41]
	v_or_b32_e32 v5, v2, v1
.LBB2_2505:                             ;   in Loop: Header=BB2_2481 Depth=4
	s_or_b64 exec, exec, s[48:49]
                                        ; implicit-def: $vgpr1
.LBB2_2506:                             ;   in Loop: Header=BB2_2481 Depth=4
	s_andn2_saveexec_b64 s[40:41], s[38:39]
; %bb.2507:                             ;   in Loop: Header=BB2_2481 Depth=4
	v_or_b32_e32 v5, 0x7e, v1
; %bb.2508:                             ;   in Loop: Header=BB2_2481 Depth=4
	s_or_b64 exec, exec, s[40:41]
                                        ; implicit-def: $vgpr2
.LBB2_2509:                             ;   in Loop: Header=BB2_2481 Depth=4
	s_andn2_saveexec_b64 s[40:41], s[36:37]
; %bb.2510:                             ;   in Loop: Header=BB2_2481 Depth=4
	v_or_b32_sdwa v5, v2, s85 dst_sel:DWORD dst_unused:UNUSED_PAD src0_sel:BYTE_3 src1_sel:DWORD
; %bb.2511:                             ;   in Loop: Header=BB2_2481 Depth=4
	s_or_b64 exec, exec, s[40:41]
	v_lshrrev_b16_e32 v28, 8, v8
	v_cmp_ne_u16_e32 vcc, 0, v28
	v_mov_b32_e32 v1, 0
	s_and_saveexec_b64 s[40:41], vcc
	s_cbranch_execz .LBB2_2517
; %bb.2512:                             ;   in Loop: Header=BB2_2481 Depth=4
	v_cmp_ne_u16_e32 vcc, s87, v28
	v_bfrev_b32_e32 v1, 1
	s_and_saveexec_b64 s[36:37], vcc
	s_cbranch_execz .LBB2_2516
; %bb.2513:                             ;   in Loop: Header=BB2_2481 Depth=4
	v_and_b32_e32 v2, 0x7f, v28
	v_cmp_ne_u32_e32 vcc, s85, v2
	v_mov_b32_e32 v1, 0x7f800001
	s_and_saveexec_b64 s[38:39], vcc
	s_cbranch_execz .LBB2_2515
; %bb.2514:                             ;   in Loop: Header=BB2_2481 Depth=4
	v_and_b32_e32 v3, 7, v28
	v_ffbh_u32_e32 v1, v3
	v_min_u32_e32 v16, 32, v1
	v_subrev_u32_e32 v1, 28, v16
	v_lshrrev_b32_e32 v6, 3, v2
	v_cmp_gt_u32_e32 vcc, 8, v2
	v_lshlrev_b64 v[1:2], v1, v[28:29]
	v_sub_u32_e32 v2, 29, v16
	v_and_b32_e32 v1, 7, v1
	v_cndmask_b32_e32 v2, v6, v2, vcc
	v_cndmask_b32_e32 v1, v3, v1, vcc
	v_lshlrev_b32_e32 v3, 16, v8
	v_lshlrev_b32_e32 v1, 20, v1
	v_and_b32_e32 v3, 0x80000000, v3
	v_lshl_add_u32 v2, v2, 23, v17
	v_or3_b32 v1, v3, v2, v1
.LBB2_2515:                             ;   in Loop: Header=BB2_2481 Depth=4
	s_or_b64 exec, exec, s[38:39]
.LBB2_2516:                             ;   in Loop: Header=BB2_2481 Depth=4
	s_or_b64 exec, exec, s[36:37]
.LBB2_2517:                             ;   in Loop: Header=BB2_2481 Depth=4
	s_or_b64 exec, exec, s[40:41]
	v_mul_f32_e32 v2, v7, v1
	v_and_b32_e32 v28, 0x7f800000, v2
	v_cmp_ne_u64_e32 vcc, s[76:77], v[28:29]
                                        ; implicit-def: $vgpr25
	s_and_saveexec_b64 s[40:41], vcc
	s_xor_b64 s[36:37], exec, s[40:41]
	s_cbranch_execz .LBB2_2531
; %bb.2518:                             ;   in Loop: Header=BB2_2481 Depth=4
	v_and_b32_e32 v28, 0x7fffffff, v2
	v_cmp_gt_u64_e32 vcc, s[78:79], v[28:29]
	v_and_b32_sdwa v1, v2, s87 dst_sel:DWORD dst_unused:UNUSED_PAD src0_sel:BYTE_3 src1_sel:DWORD
                                        ; implicit-def: $vgpr25
	s_and_saveexec_b64 s[40:41], vcc
	s_xor_b64 s[38:39], exec, s[40:41]
	s_cbranch_execz .LBB2_2528
; %bb.2519:                             ;   in Loop: Header=BB2_2481 Depth=4
	v_mov_b32_e32 v25, 0
	v_cmp_ne_u32_e32 vcc, 0, v2
	s_and_saveexec_b64 s[48:49], vcc
	s_cbranch_execz .LBB2_2527
; %bb.2520:                             ;   in Loop: Header=BB2_2481 Depth=4
	v_and_b32_e32 v6, 0x7fffff, v2
	v_bfe_u32 v2, v2, 23, 8
	v_cmp_gt_u32_e64 s[40:41], s96, v2
	v_sub_u32_e32 v3, 0x79, v2
	v_cmp_eq_u32_e32 vcc, 0, v2
	v_cndmask_b32_e64 v3, 0, v3, s[40:41]
	v_or_b32_e32 v16, 0x800000, v6
	v_cndmask_b32_e32 v3, v3, v36, vcc
	v_cndmask_b32_e32 v28, v16, v6, vcc
	v_add_u32_e32 v6, 20, v3
	v_lshlrev_b64 v[22:23], v6, -1
	v_add_u32_e32 v6, 19, v3
	v_lshlrev_b64 v[30:31], v6, 1
	v_lshrrev_b64 v[56:57], v3, v[28:29]
	v_bfi_b32 v23, v23, 0, 0
	v_bfi_b32 v22, v22, 0, v28
	v_cmp_eq_u64_e64 s[40:41], v[22:23], v[30:31]
	v_mov_b32_e32 v58, v57
	v_mov_b32_e32 v57, v56
	s_and_saveexec_b64 s[50:51], s[40:41]
; %bb.2521:                             ;   in Loop: Header=BB2_2481 Depth=4
	v_bfe_u32 v6, v56, 20, 1
	v_add_co_u32_e64 v6, s[40:41], v56, v6
	v_add_co_u32_e64 v57, s[40:41], -1, v6
; %bb.2522:                             ;   in Loop: Header=BB2_2481 Depth=4
	s_or_b64 exec, exec, s[50:51]
	v_add_u32_e32 v2, 0xffffff81, v2
	v_cndmask_b32_e32 v2, v2, v37, vcc
	v_lshrrev_b32_e32 v6, 23, v56
	v_add3_u32 v6, v3, v2, v6
	v_add_u32_e32 v3, 6, v6
	v_and_b32_e32 v2, 0xfffff, v57
	v_add_u32_e32 v28, v2, v56
	v_cmp_ne_u32_e32 vcc, 0, v3
                                        ; implicit-def: $vgpr56_vgpr57
                                        ; implicit-def: $vgpr2
	s_and_saveexec_b64 s[40:41], vcc
	s_xor_b64 s[40:41], exec, s[40:41]
; %bb.2523:                             ;   in Loop: Header=BB2_2481 Depth=4
	v_cmp_lt_u64_e32 vcc, s[88:89], v[28:29]
	v_add_u32_e32 v2, 7, v6
	v_cndmask_b32_e32 v2, v3, v2, vcc
	v_cndmask_b32_e64 v3, 0, 1, vcc
	v_lshrrev_b64 v[56:57], v3, v[28:29]
; %bb.2524:                             ;   in Loop: Header=BB2_2481 Depth=4
	s_andn2_saveexec_b64 s[40:41], s[40:41]
; %bb.2525:                             ;   in Loop: Header=BB2_2481 Depth=4
	v_mov_b32_e32 v57, v29
	v_bfe_u32 v2, v28, 23, 1
	v_mov_b32_e32 v56, v28
; %bb.2526:                             ;   in Loop: Header=BB2_2481 Depth=4
	s_or_b64 exec, exec, s[40:41]
	v_lshrrev_b64 v[22:23], 20, v[56:57]
	v_cmp_gt_i32_e32 vcc, 16, v2
	v_cndmask_b32_e32 v23, 0, v23, vcc
	v_cndmask_b32_e32 v22, 7, v22, vcc
	v_cmp_eq_u32_e32 vcc, 0, v2
	v_min_i32_e32 v2, 15, v2
	v_cmp_eq_u64_e64 s[40:41], 0, v[22:23]
	v_lshlrev_b32_e32 v2, 3, v2
	v_and_b32_e32 v2, 0xf8, v2
	v_and_or_b32 v2, v22, 7, v2
	s_and_b64 s[40:41], vcc, s[40:41]
	v_cndmask_b32_e64 v2, v2, 0, s[40:41]
	v_or_b32_e32 v25, v2, v1
.LBB2_2527:                             ;   in Loop: Header=BB2_2481 Depth=4
	s_or_b64 exec, exec, s[48:49]
                                        ; implicit-def: $vgpr1
.LBB2_2528:                             ;   in Loop: Header=BB2_2481 Depth=4
	s_andn2_saveexec_b64 s[40:41], s[38:39]
; %bb.2529:                             ;   in Loop: Header=BB2_2481 Depth=4
	v_or_b32_e32 v25, 0x7e, v1
; %bb.2530:                             ;   in Loop: Header=BB2_2481 Depth=4
	s_or_b64 exec, exec, s[40:41]
                                        ; implicit-def: $vgpr2
.LBB2_2531:                             ;   in Loop: Header=BB2_2481 Depth=4
	s_andn2_saveexec_b64 s[40:41], s[36:37]
; %bb.2532:                             ;   in Loop: Header=BB2_2481 Depth=4
	v_or_b32_sdwa v25, v2, s85 dst_sel:DWORD dst_unused:UNUSED_PAD src0_sel:BYTE_3 src1_sel:DWORD
; %bb.2533:                             ;   in Loop: Header=BB2_2481 Depth=4
	s_or_b64 exec, exec, s[40:41]
	v_lshrrev_b32_e32 v28, 16, v8
	v_cmp_ne_u16_sdwa vcc, v28, v29 src0_sel:BYTE_0 src1_sel:DWORD
	v_mov_b32_e32 v1, 0
	s_and_saveexec_b64 s[40:41], vcc
	s_cbranch_execz .LBB2_2539
; %bb.2534:                             ;   in Loop: Header=BB2_2481 Depth=4
	v_cmp_ne_u16_sdwa vcc, v28, s87 src0_sel:BYTE_0 src1_sel:DWORD
	v_bfrev_b32_e32 v1, 1
	s_and_saveexec_b64 s[36:37], vcc
	s_cbranch_execz .LBB2_2538
; %bb.2535:                             ;   in Loop: Header=BB2_2481 Depth=4
	v_bfe_u32 v2, v8, 16, 7
	v_cmp_ne_u32_e32 vcc, s85, v2
	v_mov_b32_e32 v1, 0x7f800001
	s_and_saveexec_b64 s[38:39], vcc
	s_cbranch_execz .LBB2_2537
; %bb.2536:                             ;   in Loop: Header=BB2_2481 Depth=4
	v_and_b32_e32 v3, 7, v28
	v_ffbh_u32_e32 v1, v3
	v_min_u32_e32 v16, 32, v1
	v_subrev_u32_e32 v1, 28, v16
	v_lshrrev_b32_e32 v6, 3, v2
	v_cmp_gt_u32_e32 vcc, 8, v2
	v_lshlrev_b64 v[1:2], v1, v[28:29]
	v_sub_u32_e32 v2, 29, v16
	v_and_b32_e32 v1, 7, v1
	v_cndmask_b32_e32 v2, v6, v2, vcc
	v_cndmask_b32_e32 v1, v3, v1, vcc
	v_lshlrev_b32_e32 v3, 24, v28
	v_lshlrev_b32_e32 v1, 20, v1
	v_and_b32_e32 v3, 0x80000000, v3
	v_lshl_add_u32 v2, v2, 23, v17
	v_or3_b32 v1, v3, v2, v1
.LBB2_2537:                             ;   in Loop: Header=BB2_2481 Depth=4
	s_or_b64 exec, exec, s[38:39]
.LBB2_2538:                             ;   in Loop: Header=BB2_2481 Depth=4
	s_or_b64 exec, exec, s[36:37]
.LBB2_2539:                             ;   in Loop: Header=BB2_2481 Depth=4
	s_or_b64 exec, exec, s[40:41]
	v_mul_f32_e32 v2, v7, v1
	v_and_b32_e32 v28, 0x7f800000, v2
	v_cmp_ne_u64_e32 vcc, s[76:77], v[28:29]
                                        ; implicit-def: $vgpr31
	s_and_saveexec_b64 s[40:41], vcc
	s_xor_b64 s[36:37], exec, s[40:41]
	s_cbranch_execz .LBB2_2553
; %bb.2540:                             ;   in Loop: Header=BB2_2481 Depth=4
	v_and_b32_e32 v28, 0x7fffffff, v2
	v_cmp_gt_u64_e32 vcc, s[78:79], v[28:29]
	v_and_b32_sdwa v1, v2, s87 dst_sel:DWORD dst_unused:UNUSED_PAD src0_sel:BYTE_3 src1_sel:DWORD
                                        ; implicit-def: $vgpr31
	s_and_saveexec_b64 s[40:41], vcc
	s_xor_b64 s[38:39], exec, s[40:41]
	s_cbranch_execz .LBB2_2550
; %bb.2541:                             ;   in Loop: Header=BB2_2481 Depth=4
	v_mov_b32_e32 v31, 0
	v_cmp_ne_u32_e32 vcc, 0, v2
	s_and_saveexec_b64 s[48:49], vcc
	s_cbranch_execz .LBB2_2549
; %bb.2542:                             ;   in Loop: Header=BB2_2481 Depth=4
	v_and_b32_e32 v6, 0x7fffff, v2
	v_bfe_u32 v2, v2, 23, 8
	v_cmp_gt_u32_e64 s[40:41], s96, v2
	v_sub_u32_e32 v3, 0x79, v2
	v_cmp_eq_u32_e32 vcc, 0, v2
	v_cndmask_b32_e64 v3, 0, v3, s[40:41]
	v_or_b32_e32 v16, 0x800000, v6
	v_cndmask_b32_e32 v3, v3, v36, vcc
	v_cndmask_b32_e32 v28, v16, v6, vcc
	v_add_u32_e32 v6, 20, v3
	v_lshlrev_b64 v[22:23], v6, -1
	v_add_u32_e32 v6, 19, v3
	v_lshlrev_b64 v[30:31], v6, 1
	v_lshrrev_b64 v[56:57], v3, v[28:29]
	v_bfi_b32 v23, v23, 0, 0
	v_bfi_b32 v22, v22, 0, v28
	v_cmp_eq_u64_e64 s[40:41], v[22:23], v[30:31]
	v_mov_b32_e32 v58, v57
	v_mov_b32_e32 v57, v56
	s_and_saveexec_b64 s[50:51], s[40:41]
; %bb.2543:                             ;   in Loop: Header=BB2_2481 Depth=4
	v_bfe_u32 v6, v56, 20, 1
	v_add_co_u32_e64 v6, s[40:41], v56, v6
	v_add_co_u32_e64 v57, s[40:41], -1, v6
; %bb.2544:                             ;   in Loop: Header=BB2_2481 Depth=4
	s_or_b64 exec, exec, s[50:51]
	v_add_u32_e32 v2, 0xffffff81, v2
	v_cndmask_b32_e32 v2, v2, v37, vcc
	v_lshrrev_b32_e32 v6, 23, v56
	v_add3_u32 v6, v3, v2, v6
	v_add_u32_e32 v3, 6, v6
	v_and_b32_e32 v2, 0xfffff, v57
	v_add_u32_e32 v28, v2, v56
	v_cmp_ne_u32_e32 vcc, 0, v3
                                        ; implicit-def: $vgpr56_vgpr57
                                        ; implicit-def: $vgpr2
	s_and_saveexec_b64 s[40:41], vcc
	s_xor_b64 s[40:41], exec, s[40:41]
; %bb.2545:                             ;   in Loop: Header=BB2_2481 Depth=4
	v_cmp_lt_u64_e32 vcc, s[88:89], v[28:29]
	v_add_u32_e32 v2, 7, v6
	v_cndmask_b32_e32 v2, v3, v2, vcc
	v_cndmask_b32_e64 v3, 0, 1, vcc
	v_lshrrev_b64 v[56:57], v3, v[28:29]
; %bb.2546:                             ;   in Loop: Header=BB2_2481 Depth=4
	s_andn2_saveexec_b64 s[40:41], s[40:41]
; %bb.2547:                             ;   in Loop: Header=BB2_2481 Depth=4
	v_mov_b32_e32 v57, v29
	v_bfe_u32 v2, v28, 23, 1
	v_mov_b32_e32 v56, v28
; %bb.2548:                             ;   in Loop: Header=BB2_2481 Depth=4
	s_or_b64 exec, exec, s[40:41]
	v_lshrrev_b64 v[22:23], 20, v[56:57]
	v_cmp_gt_i32_e32 vcc, 16, v2
	v_cndmask_b32_e32 v23, 0, v23, vcc
	v_cndmask_b32_e32 v22, 7, v22, vcc
	v_cmp_eq_u32_e32 vcc, 0, v2
	v_min_i32_e32 v2, 15, v2
	v_cmp_eq_u64_e64 s[40:41], 0, v[22:23]
	v_lshlrev_b32_e32 v2, 3, v2
	v_and_b32_e32 v2, 0xf8, v2
	v_and_or_b32 v2, v22, 7, v2
	s_and_b64 s[40:41], vcc, s[40:41]
	v_cndmask_b32_e64 v2, v2, 0, s[40:41]
	v_or_b32_e32 v31, v2, v1
.LBB2_2549:                             ;   in Loop: Header=BB2_2481 Depth=4
	s_or_b64 exec, exec, s[48:49]
                                        ; implicit-def: $vgpr1
.LBB2_2550:                             ;   in Loop: Header=BB2_2481 Depth=4
	s_andn2_saveexec_b64 s[40:41], s[38:39]
; %bb.2551:                             ;   in Loop: Header=BB2_2481 Depth=4
	v_or_b32_e32 v31, 0x7e, v1
; %bb.2552:                             ;   in Loop: Header=BB2_2481 Depth=4
	s_or_b64 exec, exec, s[40:41]
                                        ; implicit-def: $vgpr2
.LBB2_2553:                             ;   in Loop: Header=BB2_2481 Depth=4
	s_andn2_saveexec_b64 s[40:41], s[36:37]
; %bb.2554:                             ;   in Loop: Header=BB2_2481 Depth=4
	v_or_b32_sdwa v31, v2, s85 dst_sel:DWORD dst_unused:UNUSED_PAD src0_sel:BYTE_3 src1_sel:DWORD
; %bb.2555:                             ;   in Loop: Header=BB2_2481 Depth=4
	s_or_b64 exec, exec, s[40:41]
	v_cmp_lt_u32_e32 vcc, s57, v8
	v_mov_b32_e32 v1, 0
	s_and_saveexec_b64 s[40:41], vcc
	s_cbranch_execz .LBB2_2561
; %bb.2556:                             ;   in Loop: Header=BB2_2481 Depth=4
	v_lshrrev_b32_e32 v28, 24, v8
	v_cmp_ne_u32_e32 vcc, s87, v28
	v_bfrev_b32_e32 v1, 1
	s_and_saveexec_b64 s[36:37], vcc
	s_cbranch_execz .LBB2_2560
; %bb.2557:                             ;   in Loop: Header=BB2_2481 Depth=4
	v_bfe_u32 v2, v8, 24, 7
	v_cmp_ne_u32_e32 vcc, s85, v2
	v_mov_b32_e32 v1, 0x7f800001
	s_and_saveexec_b64 s[38:39], vcc
	s_cbranch_execz .LBB2_2559
; %bb.2558:                             ;   in Loop: Header=BB2_2481 Depth=4
	v_and_b32_e32 v3, 7, v28
	v_ffbh_u32_e32 v1, v3
	v_min_u32_e32 v16, 32, v1
	v_subrev_u32_e32 v1, 28, v16
	v_lshrrev_b32_e32 v6, 3, v2
	v_cmp_gt_u32_e32 vcc, 8, v2
	v_lshlrev_b64 v[1:2], v1, v[28:29]
	v_sub_u32_e32 v2, 29, v16
	v_and_b32_e32 v1, 7, v1
	v_cndmask_b32_e32 v2, v6, v2, vcc
	v_cndmask_b32_e32 v1, v3, v1, vcc
	v_lshlrev_b32_e32 v3, 24, v28
	v_lshlrev_b32_e32 v1, 20, v1
	v_and_b32_e32 v3, 0x80000000, v3
	v_lshl_add_u32 v2, v2, 23, v17
	v_or3_b32 v1, v3, v2, v1
.LBB2_2559:                             ;   in Loop: Header=BB2_2481 Depth=4
	s_or_b64 exec, exec, s[38:39]
.LBB2_2560:                             ;   in Loop: Header=BB2_2481 Depth=4
	s_or_b64 exec, exec, s[36:37]
.LBB2_2561:                             ;   in Loop: Header=BB2_2481 Depth=4
	s_or_b64 exec, exec, s[40:41]
	v_mul_f32_e32 v2, v7, v1
	v_and_b32_e32 v28, 0x7f800000, v2
	v_cmp_ne_u64_e32 vcc, s[76:77], v[28:29]
                                        ; implicit-def: $vgpr53
	s_and_saveexec_b64 s[40:41], vcc
	s_xor_b64 s[36:37], exec, s[40:41]
	s_cbranch_execz .LBB2_2575
; %bb.2562:                             ;   in Loop: Header=BB2_2481 Depth=4
	v_and_b32_e32 v28, 0x7fffffff, v2
	v_cmp_gt_u64_e32 vcc, s[78:79], v[28:29]
	v_and_b32_sdwa v1, v2, s87 dst_sel:DWORD dst_unused:UNUSED_PAD src0_sel:BYTE_3 src1_sel:DWORD
                                        ; implicit-def: $vgpr53
	s_and_saveexec_b64 s[40:41], vcc
	s_xor_b64 s[38:39], exec, s[40:41]
	s_cbranch_execz .LBB2_2572
; %bb.2563:                             ;   in Loop: Header=BB2_2481 Depth=4
	v_mov_b32_e32 v53, 0
	v_cmp_ne_u32_e32 vcc, 0, v2
	s_and_saveexec_b64 s[48:49], vcc
	s_cbranch_execz .LBB2_2571
; %bb.2564:                             ;   in Loop: Header=BB2_2481 Depth=4
	v_and_b32_e32 v6, 0x7fffff, v2
	v_bfe_u32 v2, v2, 23, 8
	v_cmp_gt_u32_e64 s[40:41], s96, v2
	v_sub_u32_e32 v3, 0x79, v2
	v_cmp_eq_u32_e32 vcc, 0, v2
	v_cndmask_b32_e64 v3, 0, v3, s[40:41]
	v_or_b32_e32 v16, 0x800000, v6
	v_cndmask_b32_e32 v3, v3, v36, vcc
	v_cndmask_b32_e32 v28, v16, v6, vcc
	v_add_u32_e32 v6, 20, v3
	v_lshlrev_b64 v[22:23], v6, -1
	v_add_u32_e32 v6, 19, v3
	v_lshlrev_b64 v[33:34], v6, 1
	v_lshrrev_b64 v[56:57], v3, v[28:29]
	v_bfi_b32 v23, v23, 0, 0
	v_bfi_b32 v22, v22, 0, v28
	v_cmp_eq_u64_e64 s[40:41], v[22:23], v[33:34]
	v_mov_b32_e32 v58, v57
	v_mov_b32_e32 v57, v56
	s_and_saveexec_b64 s[50:51], s[40:41]
; %bb.2565:                             ;   in Loop: Header=BB2_2481 Depth=4
	v_bfe_u32 v6, v56, 20, 1
	v_add_co_u32_e64 v6, s[40:41], v56, v6
	v_add_co_u32_e64 v57, s[40:41], -1, v6
; %bb.2566:                             ;   in Loop: Header=BB2_2481 Depth=4
	s_or_b64 exec, exec, s[50:51]
	v_add_u32_e32 v2, 0xffffff81, v2
	v_cndmask_b32_e32 v2, v2, v37, vcc
	v_lshrrev_b32_e32 v6, 23, v56
	v_add3_u32 v6, v3, v2, v6
	v_add_u32_e32 v3, 6, v6
	v_and_b32_e32 v2, 0xfffff, v57
	v_add_u32_e32 v28, v2, v56
	v_cmp_ne_u32_e32 vcc, 0, v3
                                        ; implicit-def: $vgpr56_vgpr57
                                        ; implicit-def: $vgpr2
	s_and_saveexec_b64 s[40:41], vcc
	s_xor_b64 s[40:41], exec, s[40:41]
; %bb.2567:                             ;   in Loop: Header=BB2_2481 Depth=4
	v_cmp_lt_u64_e32 vcc, s[88:89], v[28:29]
	v_add_u32_e32 v2, 7, v6
	v_cndmask_b32_e32 v2, v3, v2, vcc
	v_cndmask_b32_e64 v3, 0, 1, vcc
	v_lshrrev_b64 v[56:57], v3, v[28:29]
; %bb.2568:                             ;   in Loop: Header=BB2_2481 Depth=4
	s_andn2_saveexec_b64 s[40:41], s[40:41]
; %bb.2569:                             ;   in Loop: Header=BB2_2481 Depth=4
	v_mov_b32_e32 v57, v29
	v_bfe_u32 v2, v28, 23, 1
	v_mov_b32_e32 v56, v28
; %bb.2570:                             ;   in Loop: Header=BB2_2481 Depth=4
	s_or_b64 exec, exec, s[40:41]
	v_lshrrev_b64 v[22:23], 20, v[56:57]
	v_cmp_gt_i32_e32 vcc, 16, v2
	v_cndmask_b32_e32 v23, 0, v23, vcc
	v_cndmask_b32_e32 v22, 7, v22, vcc
	v_cmp_eq_u32_e32 vcc, 0, v2
	v_min_i32_e32 v2, 15, v2
	v_cmp_eq_u64_e64 s[40:41], 0, v[22:23]
	v_lshlrev_b32_e32 v2, 3, v2
	v_and_b32_e32 v2, 0xf8, v2
	v_and_or_b32 v2, v22, 7, v2
	s_and_b64 s[40:41], vcc, s[40:41]
	v_cndmask_b32_e64 v2, v2, 0, s[40:41]
	v_or_b32_e32 v53, v2, v1
.LBB2_2571:                             ;   in Loop: Header=BB2_2481 Depth=4
	s_or_b64 exec, exec, s[48:49]
                                        ; implicit-def: $vgpr1
.LBB2_2572:                             ;   in Loop: Header=BB2_2481 Depth=4
	s_andn2_saveexec_b64 s[40:41], s[38:39]
; %bb.2573:                             ;   in Loop: Header=BB2_2481 Depth=4
	v_or_b32_e32 v53, 0x7e, v1
; %bb.2574:                             ;   in Loop: Header=BB2_2481 Depth=4
	s_or_b64 exec, exec, s[40:41]
                                        ; implicit-def: $vgpr2
.LBB2_2575:                             ;   in Loop: Header=BB2_2481 Depth=4
	s_andn2_saveexec_b64 s[40:41], s[36:37]
; %bb.2576:                             ;   in Loop: Header=BB2_2481 Depth=4
	v_or_b32_sdwa v53, v2, s85 dst_sel:DWORD dst_unused:UNUSED_PAD src0_sel:BYTE_3 src1_sel:DWORD
; %bb.2577:                             ;   in Loop: Header=BB2_2481 Depth=4
	s_or_b64 exec, exec, s[40:41]
	v_mov_b32_e32 v28, v9
	v_cmp_ne_u16_sdwa vcc, v9, v29 src0_sel:BYTE_0 src1_sel:DWORD
	v_mov_b32_e32 v1, 0
	s_and_saveexec_b64 s[40:41], vcc
	s_cbranch_execz .LBB2_2583
; %bb.2578:                             ;   in Loop: Header=BB2_2481 Depth=4
	v_cmp_ne_u16_sdwa vcc, v9, s87 src0_sel:BYTE_0 src1_sel:DWORD
	v_bfrev_b32_e32 v1, 1
	s_and_saveexec_b64 s[36:37], vcc
	s_cbranch_execz .LBB2_2582
; %bb.2579:                             ;   in Loop: Header=BB2_2481 Depth=4
	v_and_b32_e32 v2, 0x7f, v9
	v_cmp_ne_u32_e32 vcc, s85, v2
	v_mov_b32_e32 v1, 0x7f800001
	s_and_saveexec_b64 s[38:39], vcc
	s_cbranch_execz .LBB2_2581
; %bb.2580:                             ;   in Loop: Header=BB2_2481 Depth=4
	v_and_b32_e32 v1, 7, v9
	v_ffbh_u32_e32 v1, v1
	v_min_u32_e32 v1, 32, v1
	v_lshrrev_b32_e32 v3, 3, v2
	v_cmp_gt_u32_e32 vcc, 8, v2
	v_subrev_u32_e32 v2, 28, v1
	v_sub_u32_e32 v1, 29, v1
	v_cndmask_b32_e32 v3, v3, v1, vcc
	v_cndmask_b32_e32 v1, 0, v2, vcc
	v_lshlrev_b64 v[1:2], v1, v[28:29]
	v_lshlrev_b32_e32 v2, 24, v28
	v_lshlrev_b32_e32 v1, 20, v1
	v_and_b32_e32 v1, 0x700000, v1
	v_and_b32_e32 v2, 0x80000000, v2
	v_lshl_add_u32 v3, v3, 23, v17
	v_or3_b32 v1, v2, v3, v1
.LBB2_2581:                             ;   in Loop: Header=BB2_2481 Depth=4
	s_or_b64 exec, exec, s[38:39]
.LBB2_2582:                             ;   in Loop: Header=BB2_2481 Depth=4
	s_or_b64 exec, exec, s[36:37]
.LBB2_2583:                             ;   in Loop: Header=BB2_2481 Depth=4
	s_or_b64 exec, exec, s[40:41]
	v_mul_f32_e32 v2, v7, v1
	v_and_b32_e32 v22, 0x7f800000, v2
	v_mov_b32_e32 v23, v29
	v_cmp_ne_u64_e32 vcc, s[76:77], v[22:23]
                                        ; implicit-def: $vgpr59
	s_and_saveexec_b64 s[40:41], vcc
	s_xor_b64 s[36:37], exec, s[40:41]
	s_cbranch_execz .LBB2_2597
; %bb.2584:                             ;   in Loop: Header=BB2_2481 Depth=4
	v_and_b32_e32 v22, 0x7fffffff, v2
	v_mov_b32_e32 v23, v29
	v_cmp_gt_u64_e32 vcc, s[78:79], v[22:23]
	v_and_b32_sdwa v1, v2, s87 dst_sel:DWORD dst_unused:UNUSED_PAD src0_sel:BYTE_3 src1_sel:DWORD
                                        ; implicit-def: $vgpr59
	s_and_saveexec_b64 s[40:41], vcc
	s_xor_b64 s[38:39], exec, s[40:41]
	s_cbranch_execz .LBB2_2594
; %bb.2585:                             ;   in Loop: Header=BB2_2481 Depth=4
	v_mov_b32_e32 v59, 0
	v_cmp_ne_u32_e32 vcc, 0, v2
	s_and_saveexec_b64 s[48:49], vcc
	s_cbranch_execz .LBB2_2593
; %bb.2586:                             ;   in Loop: Header=BB2_2481 Depth=4
	v_and_b32_e32 v6, 0x7fffff, v2
	v_bfe_u32 v2, v2, 23, 8
	v_cmp_gt_u32_e64 s[40:41], s96, v2
	v_sub_u32_e32 v3, 0x79, v2
	v_cmp_eq_u32_e32 vcc, 0, v2
	v_cndmask_b32_e64 v3, 0, v3, s[40:41]
	v_or_b32_e32 v16, 0x800000, v6
	v_cndmask_b32_e32 v3, v3, v36, vcc
	v_cndmask_b32_e32 v22, v16, v6, vcc
	v_add_u32_e32 v6, 20, v3
	v_mov_b32_e32 v23, v29
	v_lshlrev_b64 v[33:34], v6, -1
	v_add_u32_e32 v6, 19, v3
	v_lshlrev_b64 v[54:55], v6, 1
	v_lshrrev_b64 v[56:57], v3, v[22:23]
	v_bfi_b32 v34, v34, 0, 0
	v_bfi_b32 v33, v33, 0, v22
	v_cmp_eq_u64_e64 s[40:41], v[33:34], v[54:55]
	v_mov_b32_e32 v58, v57
	v_mov_b32_e32 v57, v56
	s_and_saveexec_b64 s[50:51], s[40:41]
; %bb.2587:                             ;   in Loop: Header=BB2_2481 Depth=4
	v_bfe_u32 v6, v56, 20, 1
	v_add_co_u32_e64 v6, s[40:41], v56, v6
	v_add_co_u32_e64 v57, s[40:41], -1, v6
; %bb.2588:                             ;   in Loop: Header=BB2_2481 Depth=4
	s_or_b64 exec, exec, s[50:51]
	v_add_u32_e32 v2, 0xffffff81, v2
	v_cndmask_b32_e32 v2, v2, v37, vcc
	v_lshrrev_b32_e32 v6, 23, v56
	v_add3_u32 v6, v3, v2, v6
	v_add_u32_e32 v3, 6, v6
	v_and_b32_e32 v2, 0xfffff, v57
	v_add_u32_e32 v56, v2, v56
	v_mov_b32_e32 v57, v29
	v_cmp_ne_u32_e32 vcc, 0, v3
                                        ; implicit-def: $vgpr2
	s_and_saveexec_b64 s[40:41], vcc
	s_xor_b64 s[40:41], exec, s[40:41]
; %bb.2589:                             ;   in Loop: Header=BB2_2481 Depth=4
	v_cmp_lt_u64_e32 vcc, s[88:89], v[56:57]
	v_add_u32_e32 v2, 7, v6
	v_cndmask_b32_e32 v2, v3, v2, vcc
	v_cndmask_b32_e64 v3, 0, 1, vcc
	v_lshrrev_b64 v[56:57], v3, v[56:57]
; %bb.2590:                             ;   in Loop: Header=BB2_2481 Depth=4
	s_andn2_saveexec_b64 s[40:41], s[40:41]
; %bb.2591:                             ;   in Loop: Header=BB2_2481 Depth=4
	v_bfe_u32 v2, v56, 23, 1
; %bb.2592:                             ;   in Loop: Header=BB2_2481 Depth=4
	s_or_b64 exec, exec, s[40:41]
	v_lshrrev_b64 v[22:23], 20, v[56:57]
	v_cmp_gt_i32_e32 vcc, 16, v2
	v_cndmask_b32_e32 v23, 0, v23, vcc
	v_cndmask_b32_e32 v22, 7, v22, vcc
	v_cmp_eq_u32_e32 vcc, 0, v2
	v_min_i32_e32 v2, 15, v2
	v_cmp_eq_u64_e64 s[40:41], 0, v[22:23]
	v_lshlrev_b32_e32 v2, 3, v2
	v_and_b32_e32 v2, 0xf8, v2
	v_and_or_b32 v2, v22, 7, v2
	s_and_b64 s[40:41], vcc, s[40:41]
	v_cndmask_b32_e64 v2, v2, 0, s[40:41]
	v_or_b32_e32 v59, v2, v1
.LBB2_2593:                             ;   in Loop: Header=BB2_2481 Depth=4
	s_or_b64 exec, exec, s[48:49]
                                        ; implicit-def: $vgpr1
.LBB2_2594:                             ;   in Loop: Header=BB2_2481 Depth=4
	s_andn2_saveexec_b64 s[40:41], s[38:39]
; %bb.2595:                             ;   in Loop: Header=BB2_2481 Depth=4
	v_or_b32_e32 v59, 0x7e, v1
; %bb.2596:                             ;   in Loop: Header=BB2_2481 Depth=4
	s_or_b64 exec, exec, s[40:41]
                                        ; implicit-def: $vgpr2
.LBB2_2597:                             ;   in Loop: Header=BB2_2481 Depth=4
	s_andn2_saveexec_b64 s[40:41], s[36:37]
; %bb.2598:                             ;   in Loop: Header=BB2_2481 Depth=4
	v_or_b32_sdwa v59, v2, s85 dst_sel:DWORD dst_unused:UNUSED_PAD src0_sel:BYTE_3 src1_sel:DWORD
; %bb.2599:                             ;   in Loop: Header=BB2_2481 Depth=4
	s_or_b64 exec, exec, s[40:41]
	v_lshrrev_b16_e32 v30, 8, v28
	v_cmp_ne_u16_e32 vcc, 0, v30
	v_mov_b32_e32 v1, 0
	s_and_saveexec_b64 s[40:41], vcc
	s_cbranch_execz .LBB2_2605
; %bb.2600:                             ;   in Loop: Header=BB2_2481 Depth=4
	v_cmp_ne_u16_e32 vcc, s87, v30
	v_bfrev_b32_e32 v1, 1
	s_and_saveexec_b64 s[36:37], vcc
	s_cbranch_execz .LBB2_2604
; %bb.2601:                             ;   in Loop: Header=BB2_2481 Depth=4
	v_and_b32_e32 v2, 0x7f, v30
	v_cmp_ne_u32_e32 vcc, s85, v2
	v_mov_b32_e32 v1, 0x7f800001
	s_and_saveexec_b64 s[38:39], vcc
	s_cbranch_execz .LBB2_2603
; %bb.2602:                             ;   in Loop: Header=BB2_2481 Depth=4
	v_and_b32_e32 v3, 7, v30
	v_ffbh_u32_e32 v1, v3
	v_min_u32_e32 v16, 32, v1
	v_subrev_u32_e32 v1, 28, v16
	v_lshrrev_b32_e32 v6, 3, v2
	v_cmp_gt_u32_e32 vcc, 8, v2
	v_lshlrev_b64 v[1:2], v1, v[30:31]
	v_sub_u32_e32 v2, 29, v16
	v_and_b32_e32 v1, 7, v1
	v_cndmask_b32_e32 v2, v6, v2, vcc
	v_cndmask_b32_e32 v1, v3, v1, vcc
	v_lshlrev_b32_e32 v3, 16, v28
	v_lshlrev_b32_e32 v1, 20, v1
	v_and_b32_e32 v3, 0x80000000, v3
	v_lshl_add_u32 v2, v2, 23, v17
	v_or3_b32 v1, v3, v2, v1
.LBB2_2603:                             ;   in Loop: Header=BB2_2481 Depth=4
	s_or_b64 exec, exec, s[38:39]
.LBB2_2604:                             ;   in Loop: Header=BB2_2481 Depth=4
	s_or_b64 exec, exec, s[36:37]
.LBB2_2605:                             ;   in Loop: Header=BB2_2481 Depth=4
	s_or_b64 exec, exec, s[40:41]
	v_mul_f32_e32 v2, v7, v1
	v_and_b32_e32 v28, 0x7f800000, v2
	v_cmp_ne_u64_e32 vcc, s[76:77], v[28:29]
                                        ; implicit-def: $vgpr22
	s_and_saveexec_b64 s[40:41], vcc
	s_xor_b64 s[36:37], exec, s[40:41]
	s_cbranch_execz .LBB2_2619
; %bb.2606:                             ;   in Loop: Header=BB2_2481 Depth=4
	v_and_b32_e32 v28, 0x7fffffff, v2
	v_cmp_gt_u64_e32 vcc, s[78:79], v[28:29]
	v_and_b32_sdwa v1, v2, s87 dst_sel:DWORD dst_unused:UNUSED_PAD src0_sel:BYTE_3 src1_sel:DWORD
                                        ; implicit-def: $vgpr22
	s_and_saveexec_b64 s[40:41], vcc
	s_xor_b64 s[38:39], exec, s[40:41]
	s_cbranch_execz .LBB2_2616
; %bb.2607:                             ;   in Loop: Header=BB2_2481 Depth=4
	v_mov_b32_e32 v22, 0
	v_cmp_ne_u32_e32 vcc, 0, v2
	s_and_saveexec_b64 s[48:49], vcc
	s_cbranch_execz .LBB2_2615
; %bb.2608:                             ;   in Loop: Header=BB2_2481 Depth=4
	v_and_b32_e32 v6, 0x7fffff, v2
	v_bfe_u32 v2, v2, 23, 8
	v_cmp_gt_u32_e64 s[40:41], s96, v2
	v_sub_u32_e32 v3, 0x79, v2
	v_cmp_eq_u32_e32 vcc, 0, v2
	v_cndmask_b32_e64 v3, 0, v3, s[40:41]
	v_or_b32_e32 v16, 0x800000, v6
	v_cndmask_b32_e32 v3, v3, v36, vcc
	v_cndmask_b32_e32 v28, v16, v6, vcc
	v_add_u32_e32 v6, 20, v3
	v_lshlrev_b64 v[22:23], v6, -1
	v_add_u32_e32 v6, 19, v3
	v_lshlrev_b64 v[33:34], v6, 1
	v_lshrrev_b64 v[56:57], v3, v[28:29]
	v_bfi_b32 v23, v23, 0, 0
	v_bfi_b32 v22, v22, 0, v28
	v_cmp_eq_u64_e64 s[40:41], v[22:23], v[33:34]
	v_mov_b32_e32 v58, v57
	v_mov_b32_e32 v57, v56
	s_and_saveexec_b64 s[50:51], s[40:41]
; %bb.2609:                             ;   in Loop: Header=BB2_2481 Depth=4
	v_bfe_u32 v6, v56, 20, 1
	v_add_co_u32_e64 v6, s[40:41], v56, v6
	v_add_co_u32_e64 v57, s[40:41], -1, v6
; %bb.2610:                             ;   in Loop: Header=BB2_2481 Depth=4
	s_or_b64 exec, exec, s[50:51]
	v_add_u32_e32 v2, 0xffffff81, v2
	v_cndmask_b32_e32 v2, v2, v37, vcc
	v_lshrrev_b32_e32 v6, 23, v56
	v_add3_u32 v6, v3, v2, v6
	v_add_u32_e32 v3, 6, v6
	v_and_b32_e32 v2, 0xfffff, v57
	v_add_u32_e32 v28, v2, v56
	v_cmp_ne_u32_e32 vcc, 0, v3
                                        ; implicit-def: $vgpr56_vgpr57
                                        ; implicit-def: $vgpr2
	s_and_saveexec_b64 s[40:41], vcc
	s_xor_b64 s[40:41], exec, s[40:41]
; %bb.2611:                             ;   in Loop: Header=BB2_2481 Depth=4
	v_cmp_lt_u64_e32 vcc, s[88:89], v[28:29]
	v_add_u32_e32 v2, 7, v6
	v_cndmask_b32_e32 v2, v3, v2, vcc
	v_cndmask_b32_e64 v3, 0, 1, vcc
	v_lshrrev_b64 v[56:57], v3, v[28:29]
; %bb.2612:                             ;   in Loop: Header=BB2_2481 Depth=4
	s_andn2_saveexec_b64 s[40:41], s[40:41]
; %bb.2613:                             ;   in Loop: Header=BB2_2481 Depth=4
	v_mov_b32_e32 v57, v29
	v_bfe_u32 v2, v28, 23, 1
	v_mov_b32_e32 v56, v28
; %bb.2614:                             ;   in Loop: Header=BB2_2481 Depth=4
	s_or_b64 exec, exec, s[40:41]
	v_lshrrev_b64 v[22:23], 20, v[56:57]
	v_cmp_gt_i32_e32 vcc, 16, v2
	v_cndmask_b32_e32 v23, 0, v23, vcc
	v_cndmask_b32_e32 v22, 7, v22, vcc
	v_cmp_eq_u32_e32 vcc, 0, v2
	v_min_i32_e32 v2, 15, v2
	v_cmp_eq_u64_e64 s[40:41], 0, v[22:23]
	v_lshlrev_b32_e32 v2, 3, v2
	v_and_b32_e32 v2, 0xf8, v2
	v_and_or_b32 v2, v22, 7, v2
	s_and_b64 s[40:41], vcc, s[40:41]
	v_cndmask_b32_e64 v2, v2, 0, s[40:41]
	v_or_b32_e32 v22, v2, v1
.LBB2_2615:                             ;   in Loop: Header=BB2_2481 Depth=4
	s_or_b64 exec, exec, s[48:49]
                                        ; implicit-def: $vgpr1
.LBB2_2616:                             ;   in Loop: Header=BB2_2481 Depth=4
	s_andn2_saveexec_b64 s[40:41], s[38:39]
; %bb.2617:                             ;   in Loop: Header=BB2_2481 Depth=4
	v_or_b32_e32 v22, 0x7e, v1
; %bb.2618:                             ;   in Loop: Header=BB2_2481 Depth=4
	s_or_b64 exec, exec, s[40:41]
                                        ; implicit-def: $vgpr2
.LBB2_2619:                             ;   in Loop: Header=BB2_2481 Depth=4
	s_andn2_saveexec_b64 s[40:41], s[36:37]
; %bb.2620:                             ;   in Loop: Header=BB2_2481 Depth=4
	v_or_b32_sdwa v22, v2, s85 dst_sel:DWORD dst_unused:UNUSED_PAD src0_sel:BYTE_3 src1_sel:DWORD
; %bb.2621:                             ;   in Loop: Header=BB2_2481 Depth=4
	s_or_b64 exec, exec, s[40:41]
	v_lshrrev_b32_e32 v28, 16, v9
	v_cmp_ne_u16_sdwa vcc, v28, v29 src0_sel:BYTE_0 src1_sel:DWORD
	v_mov_b32_e32 v1, 0
	s_and_saveexec_b64 s[40:41], vcc
	s_cbranch_execz .LBB2_2627
; %bb.2622:                             ;   in Loop: Header=BB2_2481 Depth=4
	v_cmp_ne_u16_sdwa vcc, v28, s87 src0_sel:BYTE_0 src1_sel:DWORD
	v_bfrev_b32_e32 v1, 1
	s_and_saveexec_b64 s[36:37], vcc
	s_cbranch_execz .LBB2_2626
; %bb.2623:                             ;   in Loop: Header=BB2_2481 Depth=4
	v_bfe_u32 v2, v9, 16, 7
	v_cmp_ne_u32_e32 vcc, s85, v2
	v_mov_b32_e32 v1, 0x7f800001
	s_and_saveexec_b64 s[38:39], vcc
	s_cbranch_execz .LBB2_2625
; %bb.2624:                             ;   in Loop: Header=BB2_2481 Depth=4
	v_and_b32_e32 v3, 7, v28
	v_ffbh_u32_e32 v1, v3
	v_min_u32_e32 v16, 32, v1
	v_subrev_u32_e32 v1, 28, v16
	v_lshrrev_b32_e32 v6, 3, v2
	v_cmp_gt_u32_e32 vcc, 8, v2
	v_lshlrev_b64 v[1:2], v1, v[28:29]
	v_sub_u32_e32 v2, 29, v16
	v_and_b32_e32 v1, 7, v1
	v_cndmask_b32_e32 v2, v6, v2, vcc
	v_cndmask_b32_e32 v1, v3, v1, vcc
	v_lshlrev_b32_e32 v3, 24, v28
	v_lshlrev_b32_e32 v1, 20, v1
	v_and_b32_e32 v3, 0x80000000, v3
	v_lshl_add_u32 v2, v2, 23, v17
	v_or3_b32 v1, v3, v2, v1
.LBB2_2625:                             ;   in Loop: Header=BB2_2481 Depth=4
	s_or_b64 exec, exec, s[38:39]
.LBB2_2626:                             ;   in Loop: Header=BB2_2481 Depth=4
	s_or_b64 exec, exec, s[36:37]
.LBB2_2627:                             ;   in Loop: Header=BB2_2481 Depth=4
	s_or_b64 exec, exec, s[40:41]
	v_mul_f32_e32 v2, v7, v1
	v_and_b32_e32 v28, 0x7f800000, v2
	v_cmp_ne_u64_e32 vcc, s[76:77], v[28:29]
                                        ; implicit-def: $vgpr33
	s_and_saveexec_b64 s[40:41], vcc
	s_xor_b64 s[36:37], exec, s[40:41]
	s_cbranch_execz .LBB2_2641
; %bb.2628:                             ;   in Loop: Header=BB2_2481 Depth=4
	v_and_b32_e32 v28, 0x7fffffff, v2
	v_cmp_gt_u64_e32 vcc, s[78:79], v[28:29]
	v_and_b32_sdwa v1, v2, s87 dst_sel:DWORD dst_unused:UNUSED_PAD src0_sel:BYTE_3 src1_sel:DWORD
                                        ; implicit-def: $vgpr33
	s_and_saveexec_b64 s[40:41], vcc
	s_xor_b64 s[38:39], exec, s[40:41]
	s_cbranch_execz .LBB2_2638
; %bb.2629:                             ;   in Loop: Header=BB2_2481 Depth=4
	v_mov_b32_e32 v33, 0
	v_cmp_ne_u32_e32 vcc, 0, v2
	s_and_saveexec_b64 s[48:49], vcc
	s_cbranch_execz .LBB2_2637
; %bb.2630:                             ;   in Loop: Header=BB2_2481 Depth=4
	v_and_b32_e32 v6, 0x7fffff, v2
	v_bfe_u32 v2, v2, 23, 8
	v_cmp_gt_u32_e64 s[40:41], s96, v2
	v_sub_u32_e32 v3, 0x79, v2
	v_cmp_eq_u32_e32 vcc, 0, v2
	v_cndmask_b32_e64 v3, 0, v3, s[40:41]
	v_or_b32_e32 v16, 0x800000, v6
	v_cndmask_b32_e32 v3, v3, v36, vcc
	v_cndmask_b32_e32 v28, v16, v6, vcc
	v_add_u32_e32 v6, 20, v3
	v_lshlrev_b64 v[33:34], v6, -1
	v_add_u32_e32 v6, 19, v3
	v_lshlrev_b64 v[54:55], v6, 1
	v_lshrrev_b64 v[56:57], v3, v[28:29]
	v_bfi_b32 v34, v34, 0, 0
	v_bfi_b32 v33, v33, 0, v28
	v_cmp_eq_u64_e64 s[40:41], v[33:34], v[54:55]
	v_mov_b32_e32 v58, v57
	v_mov_b32_e32 v57, v56
	s_and_saveexec_b64 s[50:51], s[40:41]
; %bb.2631:                             ;   in Loop: Header=BB2_2481 Depth=4
	v_bfe_u32 v6, v56, 20, 1
	v_add_co_u32_e64 v6, s[40:41], v56, v6
	v_add_co_u32_e64 v57, s[40:41], -1, v6
; %bb.2632:                             ;   in Loop: Header=BB2_2481 Depth=4
	s_or_b64 exec, exec, s[50:51]
	v_add_u32_e32 v2, 0xffffff81, v2
	v_cndmask_b32_e32 v2, v2, v37, vcc
	v_lshrrev_b32_e32 v6, 23, v56
	v_add3_u32 v6, v3, v2, v6
	v_add_u32_e32 v3, 6, v6
	v_and_b32_e32 v2, 0xfffff, v57
	v_add_u32_e32 v28, v2, v56
	v_cmp_ne_u32_e32 vcc, 0, v3
                                        ; implicit-def: $vgpr56_vgpr57
                                        ; implicit-def: $vgpr2
	s_and_saveexec_b64 s[40:41], vcc
	s_xor_b64 s[40:41], exec, s[40:41]
; %bb.2633:                             ;   in Loop: Header=BB2_2481 Depth=4
	v_cmp_lt_u64_e32 vcc, s[88:89], v[28:29]
	v_add_u32_e32 v2, 7, v6
	v_cndmask_b32_e32 v2, v3, v2, vcc
	v_cndmask_b32_e64 v3, 0, 1, vcc
	v_lshrrev_b64 v[56:57], v3, v[28:29]
; %bb.2634:                             ;   in Loop: Header=BB2_2481 Depth=4
	s_andn2_saveexec_b64 s[40:41], s[40:41]
; %bb.2635:                             ;   in Loop: Header=BB2_2481 Depth=4
	v_mov_b32_e32 v57, v29
	v_bfe_u32 v2, v28, 23, 1
	v_mov_b32_e32 v56, v28
; %bb.2636:                             ;   in Loop: Header=BB2_2481 Depth=4
	s_or_b64 exec, exec, s[40:41]
	v_lshrrev_b64 v[33:34], 20, v[56:57]
	v_cmp_gt_i32_e32 vcc, 16, v2
	v_cndmask_b32_e32 v34, 0, v34, vcc
	v_cndmask_b32_e32 v33, 7, v33, vcc
	v_cmp_eq_u32_e32 vcc, 0, v2
	v_min_i32_e32 v2, 15, v2
	v_cmp_eq_u64_e64 s[40:41], 0, v[33:34]
	v_lshlrev_b32_e32 v2, 3, v2
	v_and_b32_e32 v2, 0xf8, v2
	v_and_or_b32 v2, v33, 7, v2
	s_and_b64 s[40:41], vcc, s[40:41]
	v_cndmask_b32_e64 v2, v2, 0, s[40:41]
	v_or_b32_e32 v33, v2, v1
.LBB2_2637:                             ;   in Loop: Header=BB2_2481 Depth=4
	s_or_b64 exec, exec, s[48:49]
                                        ; implicit-def: $vgpr1
.LBB2_2638:                             ;   in Loop: Header=BB2_2481 Depth=4
	s_andn2_saveexec_b64 s[40:41], s[38:39]
; %bb.2639:                             ;   in Loop: Header=BB2_2481 Depth=4
	v_or_b32_e32 v33, 0x7e, v1
; %bb.2640:                             ;   in Loop: Header=BB2_2481 Depth=4
	s_or_b64 exec, exec, s[40:41]
                                        ; implicit-def: $vgpr2
.LBB2_2641:                             ;   in Loop: Header=BB2_2481 Depth=4
	s_andn2_saveexec_b64 s[40:41], s[36:37]
; %bb.2642:                             ;   in Loop: Header=BB2_2481 Depth=4
	v_or_b32_sdwa v33, v2, s85 dst_sel:DWORD dst_unused:UNUSED_PAD src0_sel:BYTE_3 src1_sel:DWORD
; %bb.2643:                             ;   in Loop: Header=BB2_2481 Depth=4
	s_or_b64 exec, exec, s[40:41]
	v_cmp_lt_u64_e32 vcc, s[56:57], v[8:9]
	v_mov_b32_e32 v1, 0
	s_and_saveexec_b64 s[40:41], vcc
	s_cbranch_execz .LBB2_2649
; %bb.2644:                             ;   in Loop: Header=BB2_2481 Depth=4
	v_lshrrev_b32_e32 v8, 24, v9
	v_cmp_ne_u32_e32 vcc, s87, v8
	v_bfrev_b32_e32 v1, 1
	s_and_saveexec_b64 s[36:37], vcc
	s_cbranch_execz .LBB2_2648
; %bb.2645:                             ;   in Loop: Header=BB2_2481 Depth=4
	v_bfe_u32 v2, v9, 24, 7
	v_cmp_ne_u32_e32 vcc, s85, v2
	v_mov_b32_e32 v1, 0x7f800001
	s_and_saveexec_b64 s[38:39], vcc
	s_cbranch_execz .LBB2_2647
; %bb.2646:                             ;   in Loop: Header=BB2_2481 Depth=4
	v_and_b32_e32 v3, 7, v8
	v_ffbh_u32_e32 v1, v3
	v_min_u32_e32 v9, 32, v1
	v_subrev_u32_e32 v1, 28, v9
	v_lshrrev_b32_e32 v6, 3, v2
	v_cmp_gt_u32_e32 vcc, 8, v2
	v_lshlrev_b64 v[1:2], v1, v[8:9]
	v_sub_u32_e32 v2, 29, v9
	v_and_b32_e32 v1, 7, v1
	v_cndmask_b32_e32 v2, v6, v2, vcc
	v_cndmask_b32_e32 v1, v3, v1, vcc
	v_lshlrev_b32_e32 v3, 24, v8
	v_lshlrev_b32_e32 v1, 20, v1
	v_and_b32_e32 v3, 0x80000000, v3
	v_lshl_add_u32 v2, v2, 23, v17
	v_or3_b32 v1, v3, v2, v1
.LBB2_2647:                             ;   in Loop: Header=BB2_2481 Depth=4
	s_or_b64 exec, exec, s[38:39]
.LBB2_2648:                             ;   in Loop: Header=BB2_2481 Depth=4
	s_or_b64 exec, exec, s[36:37]
.LBB2_2649:                             ;   in Loop: Header=BB2_2481 Depth=4
	s_or_b64 exec, exec, s[40:41]
	v_mul_f32_e32 v2, v7, v1
	v_and_b32_e32 v28, 0x7f800000, v2
	v_cmp_ne_u64_e32 vcc, s[76:77], v[28:29]
                                        ; implicit-def: $vgpr52
	s_and_saveexec_b64 s[40:41], vcc
	s_xor_b64 s[36:37], exec, s[40:41]
	s_cbranch_execz .LBB2_2663
; %bb.2650:                             ;   in Loop: Header=BB2_2481 Depth=4
	v_and_b32_e32 v28, 0x7fffffff, v2
	v_cmp_gt_u64_e32 vcc, s[78:79], v[28:29]
	v_and_b32_sdwa v1, v2, s87 dst_sel:DWORD dst_unused:UNUSED_PAD src0_sel:BYTE_3 src1_sel:DWORD
                                        ; implicit-def: $vgpr52
	s_and_saveexec_b64 s[40:41], vcc
	s_xor_b64 s[38:39], exec, s[40:41]
	s_cbranch_execz .LBB2_2660
; %bb.2651:                             ;   in Loop: Header=BB2_2481 Depth=4
	v_mov_b32_e32 v52, 0
	v_cmp_ne_u32_e32 vcc, 0, v2
	s_and_saveexec_b64 s[48:49], vcc
	s_cbranch_execz .LBB2_2659
; %bb.2652:                             ;   in Loop: Header=BB2_2481 Depth=4
	v_and_b32_e32 v6, 0x7fffff, v2
	v_bfe_u32 v2, v2, 23, 8
	v_cmp_gt_u32_e64 s[40:41], s96, v2
	v_sub_u32_e32 v3, 0x79, v2
	v_cmp_eq_u32_e32 vcc, 0, v2
	v_cndmask_b32_e64 v3, 0, v3, s[40:41]
	v_or_b32_e32 v8, 0x800000, v6
	v_cndmask_b32_e32 v3, v3, v36, vcc
	v_cndmask_b32_e32 v28, v8, v6, vcc
	v_add_u32_e32 v6, 20, v3
	v_lshlrev_b64 v[8:9], v6, -1
	v_add_u32_e32 v6, 19, v3
	v_lshlrev_b64 v[34:35], v6, 1
	v_bfi_b32 v9, v9, 0, 0
	v_bfi_b32 v8, v8, 0, v28
	v_cmp_eq_u64_e64 s[40:41], v[8:9], v[34:35]
	v_lshrrev_b64 v[8:9], v3, v[28:29]
	v_mov_b32_e32 v57, v9
	v_mov_b32_e32 v56, v8
	s_and_saveexec_b64 s[50:51], s[40:41]
; %bb.2653:                             ;   in Loop: Header=BB2_2481 Depth=4
	v_bfe_u32 v6, v8, 20, 1
	v_add_co_u32_e64 v6, s[40:41], v8, v6
	v_add_co_u32_e64 v56, s[40:41], -1, v6
; %bb.2654:                             ;   in Loop: Header=BB2_2481 Depth=4
	s_or_b64 exec, exec, s[50:51]
	v_add_u32_e32 v2, 0xffffff81, v2
	v_cndmask_b32_e32 v2, v2, v37, vcc
	v_lshrrev_b32_e32 v6, 23, v8
	v_add3_u32 v6, v3, v2, v6
	v_add_u32_e32 v3, 6, v6
	v_and_b32_e32 v2, 0xfffff, v56
	v_add_u32_e32 v28, v2, v8
	v_cmp_ne_u32_e32 vcc, 0, v3
                                        ; implicit-def: $vgpr8_vgpr9
                                        ; implicit-def: $vgpr2
	s_and_saveexec_b64 s[40:41], vcc
	s_xor_b64 s[40:41], exec, s[40:41]
; %bb.2655:                             ;   in Loop: Header=BB2_2481 Depth=4
	v_cmp_lt_u64_e32 vcc, s[88:89], v[28:29]
	v_add_u32_e32 v2, 7, v6
	v_cndmask_b32_e32 v2, v3, v2, vcc
	v_cndmask_b32_e64 v3, 0, 1, vcc
	v_lshrrev_b64 v[8:9], v3, v[28:29]
; %bb.2656:                             ;   in Loop: Header=BB2_2481 Depth=4
	s_andn2_saveexec_b64 s[40:41], s[40:41]
; %bb.2657:                             ;   in Loop: Header=BB2_2481 Depth=4
	v_mov_b32_e32 v8, v28
	v_bfe_u32 v2, v28, 23, 1
	v_mov_b32_e32 v9, v29
; %bb.2658:                             ;   in Loop: Header=BB2_2481 Depth=4
	s_or_b64 exec, exec, s[40:41]
	v_lshrrev_b64 v[8:9], 20, v[8:9]
	v_cmp_gt_i32_e32 vcc, 16, v2
	v_cndmask_b32_e32 v9, 0, v9, vcc
	v_cndmask_b32_e32 v8, 7, v8, vcc
	v_cmp_eq_u32_e32 vcc, 0, v2
	v_min_i32_e32 v2, 15, v2
	v_cmp_eq_u64_e64 s[40:41], 0, v[8:9]
	v_lshlrev_b32_e32 v2, 3, v2
	v_and_b32_e32 v2, 0xf8, v2
	v_and_or_b32 v2, v8, 7, v2
	s_and_b64 s[40:41], vcc, s[40:41]
	v_cndmask_b32_e64 v2, v2, 0, s[40:41]
	v_or_b32_e32 v52, v2, v1
.LBB2_2659:                             ;   in Loop: Header=BB2_2481 Depth=4
	s_or_b64 exec, exec, s[48:49]
                                        ; implicit-def: $vgpr1
.LBB2_2660:                             ;   in Loop: Header=BB2_2481 Depth=4
	s_andn2_saveexec_b64 s[40:41], s[38:39]
; %bb.2661:                             ;   in Loop: Header=BB2_2481 Depth=4
	v_or_b32_e32 v52, 0x7e, v1
; %bb.2662:                             ;   in Loop: Header=BB2_2481 Depth=4
	s_or_b64 exec, exec, s[40:41]
                                        ; implicit-def: $vgpr2
.LBB2_2663:                             ;   in Loop: Header=BB2_2481 Depth=4
	s_andn2_saveexec_b64 s[40:41], s[36:37]
; %bb.2664:                             ;   in Loop: Header=BB2_2481 Depth=4
	v_or_b32_sdwa v52, v2, s85 dst_sel:DWORD dst_unused:UNUSED_PAD src0_sel:BYTE_3 src1_sel:DWORD
; %bb.2665:                             ;   in Loop: Header=BB2_2481 Depth=4
	s_or_b64 exec, exec, s[40:41]
	v_cmp_ne_u16_sdwa vcc, v10, v29 src0_sel:BYTE_0 src1_sel:DWORD
	v_mov_b32_e32 v1, 0
	s_and_saveexec_b64 s[40:41], vcc
	s_cbranch_execz .LBB2_2671
; %bb.2666:                             ;   in Loop: Header=BB2_2481 Depth=4
	v_cmp_ne_u16_sdwa vcc, v10, s87 src0_sel:BYTE_0 src1_sel:DWORD
	v_bfrev_b32_e32 v1, 1
	s_and_saveexec_b64 s[36:37], vcc
	s_cbranch_execz .LBB2_2670
; %bb.2667:                             ;   in Loop: Header=BB2_2481 Depth=4
	v_and_b32_e32 v2, 0x7f, v10
	v_cmp_ne_u32_e32 vcc, s85, v2
	v_mov_b32_e32 v1, 0x7f800001
	s_and_saveexec_b64 s[38:39], vcc
	s_cbranch_execz .LBB2_2669
; %bb.2668:                             ;   in Loop: Header=BB2_2481 Depth=4
	v_and_b32_e32 v1, 7, v10
	v_ffbh_u32_e32 v1, v1
	v_min_u32_e32 v1, 32, v1
	v_lshrrev_b32_e32 v3, 3, v2
	v_cmp_gt_u32_e32 vcc, 8, v2
	v_subrev_u32_e32 v2, 28, v1
	v_sub_u32_e32 v1, 29, v1
	v_cndmask_b32_e32 v3, v3, v1, vcc
	v_cndmask_b32_e32 v1, 0, v2, vcc
	v_lshlrev_b64 v[1:2], v1, v[10:11]
	v_lshlrev_b32_e32 v2, 24, v10
	v_lshlrev_b32_e32 v1, 20, v1
	v_and_b32_e32 v1, 0x700000, v1
	v_and_b32_e32 v2, 0x80000000, v2
	v_lshl_add_u32 v3, v3, 23, v17
	v_or3_b32 v1, v2, v3, v1
.LBB2_2669:                             ;   in Loop: Header=BB2_2481 Depth=4
	s_or_b64 exec, exec, s[38:39]
.LBB2_2670:                             ;   in Loop: Header=BB2_2481 Depth=4
	s_or_b64 exec, exec, s[36:37]
.LBB2_2671:                             ;   in Loop: Header=BB2_2481 Depth=4
	s_or_b64 exec, exec, s[40:41]
	v_mul_f32_e32 v2, v7, v1
	v_and_b32_e32 v28, 0x7f800000, v2
	v_cmp_ne_u64_e32 vcc, s[76:77], v[28:29]
                                        ; implicit-def: $vgpr16
	s_and_saveexec_b64 s[40:41], vcc
	s_xor_b64 s[36:37], exec, s[40:41]
	s_cbranch_execz .LBB2_2685
; %bb.2672:                             ;   in Loop: Header=BB2_2481 Depth=4
	v_and_b32_e32 v28, 0x7fffffff, v2
	v_cmp_gt_u64_e32 vcc, s[78:79], v[28:29]
	v_and_b32_sdwa v1, v2, s87 dst_sel:DWORD dst_unused:UNUSED_PAD src0_sel:BYTE_3 src1_sel:DWORD
                                        ; implicit-def: $vgpr16
	s_and_saveexec_b64 s[40:41], vcc
	s_xor_b64 s[38:39], exec, s[40:41]
	s_cbranch_execz .LBB2_2682
; %bb.2673:                             ;   in Loop: Header=BB2_2481 Depth=4
	v_mov_b32_e32 v16, 0
	v_cmp_ne_u32_e32 vcc, 0, v2
	s_and_saveexec_b64 s[48:49], vcc
	s_cbranch_execz .LBB2_2681
; %bb.2674:                             ;   in Loop: Header=BB2_2481 Depth=4
	v_and_b32_e32 v6, 0x7fffff, v2
	v_bfe_u32 v2, v2, 23, 8
	v_cmp_gt_u32_e64 s[40:41], s96, v2
	v_sub_u32_e32 v3, 0x79, v2
	v_cmp_eq_u32_e32 vcc, 0, v2
	v_cndmask_b32_e64 v3, 0, v3, s[40:41]
	v_or_b32_e32 v8, 0x800000, v6
	v_cndmask_b32_e32 v3, v3, v36, vcc
	v_cndmask_b32_e32 v28, v8, v6, vcc
	v_add_u32_e32 v6, 20, v3
	v_lshlrev_b64 v[8:9], v6, -1
	v_add_u32_e32 v6, 19, v3
	v_lshlrev_b64 v[34:35], v6, 1
	v_bfi_b32 v9, v9, 0, 0
	v_bfi_b32 v8, v8, 0, v28
	v_cmp_eq_u64_e64 s[40:41], v[8:9], v[34:35]
	v_lshrrev_b64 v[8:9], v3, v[28:29]
	v_mov_b32_e32 v57, v9
	v_mov_b32_e32 v56, v8
	s_and_saveexec_b64 s[50:51], s[40:41]
; %bb.2675:                             ;   in Loop: Header=BB2_2481 Depth=4
	v_bfe_u32 v6, v8, 20, 1
	v_add_co_u32_e64 v6, s[40:41], v8, v6
	v_add_co_u32_e64 v56, s[40:41], -1, v6
; %bb.2676:                             ;   in Loop: Header=BB2_2481 Depth=4
	s_or_b64 exec, exec, s[50:51]
	v_add_u32_e32 v2, 0xffffff81, v2
	v_cndmask_b32_e32 v2, v2, v37, vcc
	v_lshrrev_b32_e32 v6, 23, v8
	v_add3_u32 v6, v3, v2, v6
	v_add_u32_e32 v3, 6, v6
	v_and_b32_e32 v2, 0xfffff, v56
	v_add_u32_e32 v28, v2, v8
	v_cmp_ne_u32_e32 vcc, 0, v3
                                        ; implicit-def: $vgpr8_vgpr9
                                        ; implicit-def: $vgpr2
	s_and_saveexec_b64 s[40:41], vcc
	s_xor_b64 s[40:41], exec, s[40:41]
; %bb.2677:                             ;   in Loop: Header=BB2_2481 Depth=4
	v_cmp_lt_u64_e32 vcc, s[88:89], v[28:29]
	v_add_u32_e32 v2, 7, v6
	v_cndmask_b32_e32 v2, v3, v2, vcc
	v_cndmask_b32_e64 v3, 0, 1, vcc
	v_lshrrev_b64 v[8:9], v3, v[28:29]
; %bb.2678:                             ;   in Loop: Header=BB2_2481 Depth=4
	s_andn2_saveexec_b64 s[40:41], s[40:41]
; %bb.2679:                             ;   in Loop: Header=BB2_2481 Depth=4
	v_mov_b32_e32 v8, v28
	v_bfe_u32 v2, v28, 23, 1
	v_mov_b32_e32 v9, v29
; %bb.2680:                             ;   in Loop: Header=BB2_2481 Depth=4
	s_or_b64 exec, exec, s[40:41]
	v_lshrrev_b64 v[8:9], 20, v[8:9]
	v_cmp_gt_i32_e32 vcc, 16, v2
	v_cndmask_b32_e32 v9, 0, v9, vcc
	v_cndmask_b32_e32 v8, 7, v8, vcc
	v_cmp_eq_u32_e32 vcc, 0, v2
	v_min_i32_e32 v2, 15, v2
	v_cmp_eq_u64_e64 s[40:41], 0, v[8:9]
	v_lshlrev_b32_e32 v2, 3, v2
	v_and_b32_e32 v2, 0xf8, v2
	v_and_or_b32 v2, v8, 7, v2
	s_and_b64 s[40:41], vcc, s[40:41]
	v_cndmask_b32_e64 v2, v2, 0, s[40:41]
	v_or_b32_e32 v16, v2, v1
.LBB2_2681:                             ;   in Loop: Header=BB2_2481 Depth=4
	s_or_b64 exec, exec, s[48:49]
                                        ; implicit-def: $vgpr1
.LBB2_2682:                             ;   in Loop: Header=BB2_2481 Depth=4
	s_andn2_saveexec_b64 s[40:41], s[38:39]
; %bb.2683:                             ;   in Loop: Header=BB2_2481 Depth=4
	v_or_b32_e32 v16, 0x7e, v1
; %bb.2684:                             ;   in Loop: Header=BB2_2481 Depth=4
	s_or_b64 exec, exec, s[40:41]
                                        ; implicit-def: $vgpr2
.LBB2_2685:                             ;   in Loop: Header=BB2_2481 Depth=4
	s_andn2_saveexec_b64 s[40:41], s[36:37]
; %bb.2686:                             ;   in Loop: Header=BB2_2481 Depth=4
	v_or_b32_sdwa v16, v2, s85 dst_sel:DWORD dst_unused:UNUSED_PAD src0_sel:BYTE_3 src1_sel:DWORD
; %bb.2687:                             ;   in Loop: Header=BB2_2481 Depth=4
	s_or_b64 exec, exec, s[40:41]
	v_lshrrev_b16_e32 v8, 8, v10
	v_cmp_ne_u16_e32 vcc, 0, v8
	v_mov_b32_e32 v1, 0
	s_and_saveexec_b64 s[40:41], vcc
	s_cbranch_execz .LBB2_2693
; %bb.2688:                             ;   in Loop: Header=BB2_2481 Depth=4
	v_cmp_ne_u16_e32 vcc, s87, v8
	v_bfrev_b32_e32 v1, 1
	s_and_saveexec_b64 s[36:37], vcc
	s_cbranch_execz .LBB2_2692
; %bb.2689:                             ;   in Loop: Header=BB2_2481 Depth=4
	v_and_b32_e32 v2, 0x7f, v8
	v_cmp_ne_u32_e32 vcc, s85, v2
	v_mov_b32_e32 v1, 0x7f800001
	s_and_saveexec_b64 s[38:39], vcc
	s_cbranch_execz .LBB2_2691
; %bb.2690:                             ;   in Loop: Header=BB2_2481 Depth=4
	v_and_b32_e32 v3, 7, v8
	v_ffbh_u32_e32 v1, v3
	v_min_u32_e32 v9, 32, v1
	v_subrev_u32_e32 v1, 28, v9
	v_lshrrev_b32_e32 v6, 3, v2
	v_cmp_gt_u32_e32 vcc, 8, v2
	v_lshlrev_b64 v[1:2], v1, v[8:9]
	v_sub_u32_e32 v2, 29, v9
	v_and_b32_e32 v1, 7, v1
	v_cndmask_b32_e32 v2, v6, v2, vcc
	v_cndmask_b32_e32 v1, v3, v1, vcc
	v_lshlrev_b32_e32 v3, 16, v10
	v_lshlrev_b32_e32 v1, 20, v1
	v_and_b32_e32 v3, 0x80000000, v3
	v_lshl_add_u32 v2, v2, 23, v17
	v_or3_b32 v1, v3, v2, v1
.LBB2_2691:                             ;   in Loop: Header=BB2_2481 Depth=4
	s_or_b64 exec, exec, s[38:39]
.LBB2_2692:                             ;   in Loop: Header=BB2_2481 Depth=4
	s_or_b64 exec, exec, s[36:37]
.LBB2_2693:                             ;   in Loop: Header=BB2_2481 Depth=4
	s_or_b64 exec, exec, s[40:41]
	v_mul_f32_e32 v2, v7, v1
	v_and_b32_e32 v28, 0x7f800000, v2
	v_cmp_ne_u64_e32 vcc, s[76:77], v[28:29]
                                        ; implicit-def: $vgpr3
	s_and_saveexec_b64 s[40:41], vcc
	s_xor_b64 s[36:37], exec, s[40:41]
	s_cbranch_execz .LBB2_2707
; %bb.2694:                             ;   in Loop: Header=BB2_2481 Depth=4
	v_and_b32_e32 v28, 0x7fffffff, v2
	v_cmp_gt_u64_e32 vcc, s[78:79], v[28:29]
	v_and_b32_sdwa v1, v2, s87 dst_sel:DWORD dst_unused:UNUSED_PAD src0_sel:BYTE_3 src1_sel:DWORD
                                        ; implicit-def: $vgpr3
	s_and_saveexec_b64 s[40:41], vcc
	s_xor_b64 s[38:39], exec, s[40:41]
	s_cbranch_execz .LBB2_2704
; %bb.2695:                             ;   in Loop: Header=BB2_2481 Depth=4
	v_mov_b32_e32 v3, 0
	v_cmp_ne_u32_e32 vcc, 0, v2
	s_and_saveexec_b64 s[48:49], vcc
	s_cbranch_execz .LBB2_2703
; %bb.2696:                             ;   in Loop: Header=BB2_2481 Depth=4
	v_and_b32_e32 v6, 0x7fffff, v2
	v_bfe_u32 v2, v2, 23, 8
	v_cmp_gt_u32_e64 s[40:41], s96, v2
	v_sub_u32_e32 v3, 0x79, v2
	v_cmp_eq_u32_e32 vcc, 0, v2
	v_cndmask_b32_e64 v3, 0, v3, s[40:41]
	v_or_b32_e32 v8, 0x800000, v6
	v_cndmask_b32_e32 v3, v3, v36, vcc
	v_cndmask_b32_e32 v28, v8, v6, vcc
	v_add_u32_e32 v6, 20, v3
	v_lshlrev_b64 v[8:9], v6, -1
	v_add_u32_e32 v6, 19, v3
	v_lshlrev_b64 v[34:35], v6, 1
	v_bfi_b32 v9, v9, 0, 0
	v_bfi_b32 v8, v8, 0, v28
	v_cmp_eq_u64_e64 s[40:41], v[8:9], v[34:35]
	v_lshrrev_b64 v[8:9], v3, v[28:29]
	v_mov_b32_e32 v57, v9
	v_mov_b32_e32 v56, v8
	s_and_saveexec_b64 s[50:51], s[40:41]
; %bb.2697:                             ;   in Loop: Header=BB2_2481 Depth=4
	v_bfe_u32 v6, v8, 20, 1
	v_add_co_u32_e64 v6, s[40:41], v8, v6
	v_add_co_u32_e64 v56, s[40:41], -1, v6
; %bb.2698:                             ;   in Loop: Header=BB2_2481 Depth=4
	s_or_b64 exec, exec, s[50:51]
	v_add_u32_e32 v2, 0xffffff81, v2
	v_cndmask_b32_e32 v2, v2, v37, vcc
	v_lshrrev_b32_e32 v6, 23, v8
	v_add3_u32 v6, v3, v2, v6
	v_add_u32_e32 v3, 6, v6
	v_and_b32_e32 v2, 0xfffff, v56
	v_add_u32_e32 v28, v2, v8
	v_cmp_ne_u32_e32 vcc, 0, v3
                                        ; implicit-def: $vgpr8_vgpr9
                                        ; implicit-def: $vgpr2
	s_and_saveexec_b64 s[40:41], vcc
	s_xor_b64 s[40:41], exec, s[40:41]
; %bb.2699:                             ;   in Loop: Header=BB2_2481 Depth=4
	v_cmp_lt_u64_e32 vcc, s[88:89], v[28:29]
	v_add_u32_e32 v2, 7, v6
	v_cndmask_b32_e32 v2, v3, v2, vcc
	v_cndmask_b32_e64 v3, 0, 1, vcc
	v_lshrrev_b64 v[8:9], v3, v[28:29]
; %bb.2700:                             ;   in Loop: Header=BB2_2481 Depth=4
	s_andn2_saveexec_b64 s[40:41], s[40:41]
; %bb.2701:                             ;   in Loop: Header=BB2_2481 Depth=4
	v_mov_b32_e32 v8, v28
	v_bfe_u32 v2, v28, 23, 1
	v_mov_b32_e32 v9, v29
; %bb.2702:                             ;   in Loop: Header=BB2_2481 Depth=4
	s_or_b64 exec, exec, s[40:41]
	v_lshrrev_b64 v[8:9], 20, v[8:9]
	v_cmp_gt_i32_e32 vcc, 16, v2
	v_cndmask_b32_e32 v9, 0, v9, vcc
	v_cndmask_b32_e32 v8, 7, v8, vcc
	v_cmp_eq_u32_e32 vcc, 0, v2
	v_min_i32_e32 v2, 15, v2
	v_cmp_eq_u64_e64 s[40:41], 0, v[8:9]
	v_lshlrev_b32_e32 v2, 3, v2
	v_and_b32_e32 v2, 0xf8, v2
	v_and_or_b32 v2, v8, 7, v2
	s_and_b64 s[40:41], vcc, s[40:41]
	v_cndmask_b32_e64 v2, v2, 0, s[40:41]
	v_or_b32_e32 v3, v2, v1
.LBB2_2703:                             ;   in Loop: Header=BB2_2481 Depth=4
	s_or_b64 exec, exec, s[48:49]
                                        ; implicit-def: $vgpr1
.LBB2_2704:                             ;   in Loop: Header=BB2_2481 Depth=4
	s_andn2_saveexec_b64 s[40:41], s[38:39]
; %bb.2705:                             ;   in Loop: Header=BB2_2481 Depth=4
	v_or_b32_e32 v3, 0x7e, v1
; %bb.2706:                             ;   in Loop: Header=BB2_2481 Depth=4
	s_or_b64 exec, exec, s[40:41]
                                        ; implicit-def: $vgpr2
.LBB2_2707:                             ;   in Loop: Header=BB2_2481 Depth=4
	s_andn2_saveexec_b64 s[40:41], s[36:37]
; %bb.2708:                             ;   in Loop: Header=BB2_2481 Depth=4
	v_or_b32_sdwa v3, v2, s85 dst_sel:DWORD dst_unused:UNUSED_PAD src0_sel:BYTE_3 src1_sel:DWORD
; %bb.2709:                             ;   in Loop: Header=BB2_2481 Depth=4
	s_or_b64 exec, exec, s[40:41]
	v_lshrrev_b32_e32 v8, 16, v10
	v_cmp_ne_u16_sdwa vcc, v8, v29 src0_sel:BYTE_0 src1_sel:DWORD
	v_mov_b32_e32 v1, 0
	s_and_saveexec_b64 s[40:41], vcc
	s_cbranch_execz .LBB2_2715
; %bb.2710:                             ;   in Loop: Header=BB2_2481 Depth=4
	v_cmp_ne_u16_sdwa vcc, v8, s87 src0_sel:BYTE_0 src1_sel:DWORD
	v_bfrev_b32_e32 v1, 1
	s_and_saveexec_b64 s[36:37], vcc
	s_cbranch_execz .LBB2_2714
; %bb.2711:                             ;   in Loop: Header=BB2_2481 Depth=4
	v_bfe_u32 v2, v10, 16, 7
	v_cmp_ne_u32_e32 vcc, s85, v2
	v_mov_b32_e32 v1, 0x7f800001
	s_and_saveexec_b64 s[38:39], vcc
	s_cbranch_execz .LBB2_2713
; %bb.2712:                             ;   in Loop: Header=BB2_2481 Depth=4
	v_and_b32_e32 v6, 7, v8
	v_ffbh_u32_e32 v1, v6
	v_min_u32_e32 v23, 32, v1
	v_lshrrev_b32_e32 v9, 3, v2
	v_subrev_u32_e32 v1, 28, v23
	v_cmp_gt_u32_e32 vcc, 8, v2
	v_lshlrev_b64 v[1:2], v1, v[8:9]
	v_sub_u32_e32 v2, 29, v23
	v_and_b32_e32 v1, 7, v1
	v_cndmask_b32_e32 v2, v9, v2, vcc
	v_cndmask_b32_e32 v1, v6, v1, vcc
	v_lshlrev_b32_e32 v6, 24, v8
	v_lshlrev_b32_e32 v1, 20, v1
	v_and_b32_e32 v6, 0x80000000, v6
	v_lshl_add_u32 v2, v2, 23, v17
	v_or3_b32 v1, v6, v2, v1
.LBB2_2713:                             ;   in Loop: Header=BB2_2481 Depth=4
	s_or_b64 exec, exec, s[38:39]
.LBB2_2714:                             ;   in Loop: Header=BB2_2481 Depth=4
	s_or_b64 exec, exec, s[36:37]
.LBB2_2715:                             ;   in Loop: Header=BB2_2481 Depth=4
	s_or_b64 exec, exec, s[40:41]
	v_mul_f32_e32 v6, v7, v1
	v_and_b32_e32 v28, 0x7f800000, v6
	v_cmp_ne_u64_e32 vcc, s[76:77], v[28:29]
                                        ; implicit-def: $vgpr1
	s_and_saveexec_b64 s[40:41], vcc
	s_xor_b64 s[36:37], exec, s[40:41]
	s_cbranch_execz .LBB2_2729
; %bb.2716:                             ;   in Loop: Header=BB2_2481 Depth=4
	v_and_b32_e32 v28, 0x7fffffff, v6
	v_cmp_gt_u64_e32 vcc, s[78:79], v[28:29]
	v_and_b32_sdwa v2, v6, s87 dst_sel:DWORD dst_unused:UNUSED_PAD src0_sel:BYTE_3 src1_sel:DWORD
                                        ; implicit-def: $vgpr1
	s_and_saveexec_b64 s[40:41], vcc
	s_xor_b64 s[38:39], exec, s[40:41]
	s_cbranch_execz .LBB2_2726
; %bb.2717:                             ;   in Loop: Header=BB2_2481 Depth=4
	v_mov_b32_e32 v1, 0
	v_cmp_ne_u32_e32 vcc, 0, v6
	s_and_saveexec_b64 s[48:49], vcc
	s_cbranch_execz .LBB2_2725
; %bb.2718:                             ;   in Loop: Header=BB2_2481 Depth=4
	v_bfe_u32 v1, v6, 23, 8
	v_and_b32_e32 v8, 0x7fffff, v6
	v_cmp_gt_u32_e64 s[40:41], s96, v1
	v_sub_u32_e32 v6, 0x79, v1
	v_cmp_eq_u32_e32 vcc, 0, v1
	v_cndmask_b32_e64 v6, 0, v6, s[40:41]
	v_or_b32_e32 v9, 0x800000, v8
	v_cndmask_b32_e32 v6, v6, v36, vcc
	v_cndmask_b32_e32 v28, v9, v8, vcc
	v_add_u32_e32 v8, 20, v6
	v_lshlrev_b64 v[8:9], v8, -1
	v_add_u32_e32 v23, 19, v6
	v_lshlrev_b64 v[34:35], v23, 1
	v_bfi_b32 v9, v9, 0, 0
	v_bfi_b32 v8, v8, 0, v28
	v_cmp_eq_u64_e64 s[40:41], v[8:9], v[34:35]
	v_lshrrev_b64 v[8:9], v6, v[28:29]
	v_mov_b32_e32 v57, v9
	v_mov_b32_e32 v56, v8
	s_and_saveexec_b64 s[50:51], s[40:41]
; %bb.2719:                             ;   in Loop: Header=BB2_2481 Depth=4
	v_bfe_u32 v9, v8, 20, 1
	v_add_co_u32_e64 v9, s[40:41], v8, v9
	v_add_co_u32_e64 v56, s[40:41], -1, v9
; %bb.2720:                             ;   in Loop: Header=BB2_2481 Depth=4
	s_or_b64 exec, exec, s[50:51]
	v_add_u32_e32 v1, 0xffffff81, v1
	v_cndmask_b32_e32 v1, v1, v37, vcc
	v_lshrrev_b32_e32 v9, 23, v8
	v_add3_u32 v23, v6, v1, v9
	v_add_u32_e32 v6, 6, v23
	v_and_b32_e32 v1, 0xfffff, v56
	v_add_u32_e32 v28, v1, v8
	v_cmp_ne_u32_e32 vcc, 0, v6
                                        ; implicit-def: $vgpr8_vgpr9
                                        ; implicit-def: $vgpr1
	s_and_saveexec_b64 s[40:41], vcc
	s_xor_b64 s[40:41], exec, s[40:41]
; %bb.2721:                             ;   in Loop: Header=BB2_2481 Depth=4
	v_cmp_lt_u64_e32 vcc, s[88:89], v[28:29]
	v_add_u32_e32 v1, 7, v23
	v_cndmask_b32_e32 v1, v6, v1, vcc
	v_cndmask_b32_e64 v6, 0, 1, vcc
	v_lshrrev_b64 v[8:9], v6, v[28:29]
; %bb.2722:                             ;   in Loop: Header=BB2_2481 Depth=4
	s_andn2_saveexec_b64 s[40:41], s[40:41]
; %bb.2723:                             ;   in Loop: Header=BB2_2481 Depth=4
	v_mov_b32_e32 v8, v28
	v_bfe_u32 v1, v28, 23, 1
	v_mov_b32_e32 v9, v29
; %bb.2724:                             ;   in Loop: Header=BB2_2481 Depth=4
	s_or_b64 exec, exec, s[40:41]
	v_lshrrev_b64 v[8:9], 20, v[8:9]
	v_cmp_gt_i32_e32 vcc, 16, v1
	v_cndmask_b32_e32 v9, 0, v9, vcc
	v_cndmask_b32_e32 v8, 7, v8, vcc
	v_cmp_eq_u32_e32 vcc, 0, v1
	v_min_i32_e32 v1, 15, v1
	v_cmp_eq_u64_e64 s[40:41], 0, v[8:9]
	v_lshlrev_b32_e32 v1, 3, v1
	v_and_b32_e32 v1, 0xf8, v1
	v_and_or_b32 v1, v8, 7, v1
	s_and_b64 s[40:41], vcc, s[40:41]
	v_cndmask_b32_e64 v1, v1, 0, s[40:41]
	v_or_b32_e32 v1, v1, v2
.LBB2_2725:                             ;   in Loop: Header=BB2_2481 Depth=4
	s_or_b64 exec, exec, s[48:49]
                                        ; implicit-def: $vgpr2
.LBB2_2726:                             ;   in Loop: Header=BB2_2481 Depth=4
	s_andn2_saveexec_b64 s[40:41], s[38:39]
; %bb.2727:                             ;   in Loop: Header=BB2_2481 Depth=4
	v_or_b32_e32 v1, 0x7e, v2
; %bb.2728:                             ;   in Loop: Header=BB2_2481 Depth=4
	s_or_b64 exec, exec, s[40:41]
                                        ; implicit-def: $vgpr6
.LBB2_2729:                             ;   in Loop: Header=BB2_2481 Depth=4
	s_andn2_saveexec_b64 s[40:41], s[36:37]
; %bb.2730:                             ;   in Loop: Header=BB2_2481 Depth=4
	v_or_b32_sdwa v1, v6, s85 dst_sel:DWORD dst_unused:UNUSED_PAD src0_sel:BYTE_3 src1_sel:DWORD
; %bb.2731:                             ;   in Loop: Header=BB2_2481 Depth=4
	s_or_b64 exec, exec, s[40:41]
	v_cmp_lt_u32_e32 vcc, s57, v10
	v_mov_b32_e32 v2, 0
	s_and_saveexec_b64 s[40:41], vcc
	s_cbranch_execz .LBB2_2737
; %bb.2732:                             ;   in Loop: Header=BB2_2481 Depth=4
	v_lshrrev_b32_e32 v8, 24, v10
	v_cmp_ne_u32_e32 vcc, s87, v8
	v_bfrev_b32_e32 v2, 1
	s_and_saveexec_b64 s[36:37], vcc
	s_cbranch_execz .LBB2_2736
; %bb.2733:                             ;   in Loop: Header=BB2_2481 Depth=4
	v_bfe_u32 v6, v10, 24, 7
	v_cmp_ne_u32_e32 vcc, s85, v6
	v_mov_b32_e32 v2, 0x7f800001
	s_and_saveexec_b64 s[38:39], vcc
	s_cbranch_execz .LBB2_2735
; %bb.2734:                             ;   in Loop: Header=BB2_2481 Depth=4
	v_and_b32_e32 v2, 7, v8
	v_lshrrev_b32_e32 v9, 3, v6
	v_cmp_gt_u32_e32 vcc, 8, v6
	v_ffbh_u32_e32 v6, v2
	v_min_u32_e32 v6, 32, v6
	v_subrev_u32_e32 v23, 28, v6
	v_lshlrev_b64 v[34:35], v23, v[8:9]
	v_sub_u32_e32 v6, 29, v6
	v_and_b32_e32 v23, 7, v34
	v_cndmask_b32_e32 v6, v9, v6, vcc
	v_cndmask_b32_e32 v2, v2, v23, vcc
	v_lshlrev_b32_e32 v8, 24, v8
	v_lshlrev_b32_e32 v2, 20, v2
	v_and_b32_e32 v8, 0x80000000, v8
	v_lshl_add_u32 v6, v6, 23, v17
	v_or3_b32 v2, v8, v6, v2
.LBB2_2735:                             ;   in Loop: Header=BB2_2481 Depth=4
	s_or_b64 exec, exec, s[38:39]
.LBB2_2736:                             ;   in Loop: Header=BB2_2481 Depth=4
	s_or_b64 exec, exec, s[36:37]
.LBB2_2737:                             ;   in Loop: Header=BB2_2481 Depth=4
	s_or_b64 exec, exec, s[40:41]
	v_mul_f32_e32 v6, v7, v2
	v_and_b32_e32 v28, 0x7f800000, v6
	v_cmp_ne_u64_e32 vcc, s[76:77], v[28:29]
                                        ; implicit-def: $vgpr23
	s_and_saveexec_b64 s[40:41], vcc
	s_xor_b64 s[36:37], exec, s[40:41]
	s_cbranch_execz .LBB2_2751
; %bb.2738:                             ;   in Loop: Header=BB2_2481 Depth=4
	v_and_b32_e32 v28, 0x7fffffff, v6
	v_cmp_gt_u64_e32 vcc, s[78:79], v[28:29]
	v_and_b32_sdwa v2, v6, s87 dst_sel:DWORD dst_unused:UNUSED_PAD src0_sel:BYTE_3 src1_sel:DWORD
                                        ; implicit-def: $vgpr23
	s_and_saveexec_b64 s[40:41], vcc
	s_xor_b64 s[38:39], exec, s[40:41]
	s_cbranch_execz .LBB2_2748
; %bb.2739:                             ;   in Loop: Header=BB2_2481 Depth=4
	v_mov_b32_e32 v23, 0
	v_cmp_ne_u32_e32 vcc, 0, v6
	s_and_saveexec_b64 s[48:49], vcc
	s_cbranch_execz .LBB2_2747
; %bb.2740:                             ;   in Loop: Header=BB2_2481 Depth=4
	v_and_b32_e32 v8, 0x7fffff, v6
	v_bfe_u32 v6, v6, 23, 8
	v_cmp_gt_u32_e64 s[40:41], s96, v6
	v_sub_u32_e32 v9, 0x79, v6
	v_cmp_eq_u32_e32 vcc, 0, v6
	v_cndmask_b32_e64 v9, 0, v9, s[40:41]
	v_or_b32_e32 v28, 0x800000, v8
	v_cndmask_b32_e32 v23, v9, v36, vcc
	v_cndmask_b32_e32 v28, v28, v8, vcc
	v_add_u32_e32 v8, 20, v23
	v_lshlrev_b64 v[8:9], v8, -1
	v_add_u32_e32 v30, 19, v23
	v_lshlrev_b64 v[34:35], v30, 1
	v_bfi_b32 v9, v9, 0, 0
	v_bfi_b32 v8, v8, 0, v28
	v_cmp_eq_u64_e64 s[40:41], v[8:9], v[34:35]
	v_lshrrev_b64 v[8:9], v23, v[28:29]
	v_mov_b32_e32 v57, v9
	v_mov_b32_e32 v56, v8
	s_and_saveexec_b64 s[50:51], s[40:41]
; %bb.2741:                             ;   in Loop: Header=BB2_2481 Depth=4
	v_bfe_u32 v9, v8, 20, 1
	v_add_co_u32_e64 v9, s[40:41], v8, v9
	v_add_co_u32_e64 v56, s[40:41], -1, v9
; %bb.2742:                             ;   in Loop: Header=BB2_2481 Depth=4
	s_or_b64 exec, exec, s[50:51]
	v_add_u32_e32 v6, 0xffffff81, v6
	v_cndmask_b32_e32 v6, v6, v37, vcc
	v_lshrrev_b32_e32 v9, 23, v8
	v_add3_u32 v30, v23, v6, v9
	v_add_u32_e32 v23, 6, v30
	v_and_b32_e32 v6, 0xfffff, v56
	v_add_u32_e32 v28, v6, v8
	v_cmp_ne_u32_e32 vcc, 0, v23
                                        ; implicit-def: $vgpr8_vgpr9
                                        ; implicit-def: $vgpr6
	s_and_saveexec_b64 s[40:41], vcc
	s_xor_b64 s[40:41], exec, s[40:41]
; %bb.2743:                             ;   in Loop: Header=BB2_2481 Depth=4
	v_cmp_lt_u64_e32 vcc, s[88:89], v[28:29]
	v_add_u32_e32 v6, 7, v30
	v_cndmask_b32_e64 v8, 0, 1, vcc
	v_cndmask_b32_e32 v6, v23, v6, vcc
	v_lshrrev_b64 v[8:9], v8, v[28:29]
; %bb.2744:                             ;   in Loop: Header=BB2_2481 Depth=4
	s_andn2_saveexec_b64 s[40:41], s[40:41]
; %bb.2745:                             ;   in Loop: Header=BB2_2481 Depth=4
	v_mov_b32_e32 v8, v28
	v_bfe_u32 v6, v28, 23, 1
	v_mov_b32_e32 v9, v29
; %bb.2746:                             ;   in Loop: Header=BB2_2481 Depth=4
	s_or_b64 exec, exec, s[40:41]
	v_lshrrev_b64 v[8:9], 20, v[8:9]
	v_cmp_gt_i32_e32 vcc, 16, v6
	v_cndmask_b32_e32 v9, 0, v9, vcc
	v_cndmask_b32_e32 v8, 7, v8, vcc
	v_cmp_eq_u32_e32 vcc, 0, v6
	v_min_i32_e32 v6, 15, v6
	v_cmp_eq_u64_e64 s[40:41], 0, v[8:9]
	v_lshlrev_b32_e32 v6, 3, v6
	v_and_b32_e32 v6, 0xf8, v6
	v_and_or_b32 v6, v8, 7, v6
	s_and_b64 s[40:41], vcc, s[40:41]
	v_cndmask_b32_e64 v6, v6, 0, s[40:41]
	v_or_b32_e32 v23, v6, v2
.LBB2_2747:                             ;   in Loop: Header=BB2_2481 Depth=4
	s_or_b64 exec, exec, s[48:49]
                                        ; implicit-def: $vgpr2
.LBB2_2748:                             ;   in Loop: Header=BB2_2481 Depth=4
	s_andn2_saveexec_b64 s[40:41], s[38:39]
; %bb.2749:                             ;   in Loop: Header=BB2_2481 Depth=4
	v_or_b32_e32 v23, 0x7e, v2
; %bb.2750:                             ;   in Loop: Header=BB2_2481 Depth=4
	s_or_b64 exec, exec, s[40:41]
                                        ; implicit-def: $vgpr6
.LBB2_2751:                             ;   in Loop: Header=BB2_2481 Depth=4
	s_andn2_saveexec_b64 s[40:41], s[36:37]
; %bb.2752:                             ;   in Loop: Header=BB2_2481 Depth=4
	v_or_b32_sdwa v23, v6, s85 dst_sel:DWORD dst_unused:UNUSED_PAD src0_sel:BYTE_3 src1_sel:DWORD
; %bb.2753:                             ;   in Loop: Header=BB2_2481 Depth=4
	s_or_b64 exec, exec, s[40:41]
	v_mov_b32_e32 v28, v11
	v_cmp_ne_u16_sdwa vcc, v11, v29 src0_sel:BYTE_0 src1_sel:DWORD
	v_mov_b32_e32 v2, 0
	s_and_saveexec_b64 s[40:41], vcc
	s_cbranch_execz .LBB2_2759
; %bb.2754:                             ;   in Loop: Header=BB2_2481 Depth=4
	v_cmp_ne_u16_sdwa vcc, v11, s87 src0_sel:BYTE_0 src1_sel:DWORD
	v_bfrev_b32_e32 v2, 1
	s_and_saveexec_b64 s[36:37], vcc
	s_cbranch_execz .LBB2_2758
; %bb.2755:                             ;   in Loop: Header=BB2_2481 Depth=4
	v_and_b32_e32 v6, 0x7f, v11
	v_cmp_ne_u32_e32 vcc, s85, v6
	v_mov_b32_e32 v2, 0x7f800001
	s_and_saveexec_b64 s[38:39], vcc
	s_cbranch_execz .LBB2_2757
; %bb.2756:                             ;   in Loop: Header=BB2_2481 Depth=4
	v_and_b32_e32 v2, 7, v11
	v_ffbh_u32_e32 v2, v2
	v_min_u32_e32 v2, 32, v2
	v_lshrrev_b32_e32 v8, 3, v6
	v_cmp_gt_u32_e32 vcc, 8, v6
	v_subrev_u32_e32 v6, 28, v2
	v_sub_u32_e32 v2, 29, v2
	v_cndmask_b32_e32 v6, 0, v6, vcc
	v_cndmask_b32_e32 v2, v8, v2, vcc
	v_lshlrev_b64 v[8:9], v6, v[28:29]
	v_lshl_add_u32 v2, v2, 23, v17
	v_lshlrev_b32_e32 v6, 20, v8
	v_lshlrev_b32_e32 v8, 24, v28
	v_and_b32_e32 v6, 0x700000, v6
	v_and_b32_e32 v8, 0x80000000, v8
	v_or3_b32 v2, v8, v2, v6
.LBB2_2757:                             ;   in Loop: Header=BB2_2481 Depth=4
	s_or_b64 exec, exec, s[38:39]
.LBB2_2758:                             ;   in Loop: Header=BB2_2481 Depth=4
	s_or_b64 exec, exec, s[36:37]
.LBB2_2759:                             ;   in Loop: Header=BB2_2481 Depth=4
	s_or_b64 exec, exec, s[40:41]
	v_mul_f32_e32 v8, v7, v2
	v_and_b32_e32 v34, 0x7f800000, v8
	v_mov_b32_e32 v35, v29
	v_cmp_ne_u64_e32 vcc, s[76:77], v[34:35]
                                        ; implicit-def: $vgpr6
	s_and_saveexec_b64 s[40:41], vcc
	s_xor_b64 s[36:37], exec, s[40:41]
	s_cbranch_execz .LBB2_2773
; %bb.2760:                             ;   in Loop: Header=BB2_2481 Depth=4
	v_and_b32_e32 v34, 0x7fffffff, v8
	v_mov_b32_e32 v35, v29
	v_cmp_gt_u64_e32 vcc, s[78:79], v[34:35]
	v_and_b32_sdwa v2, v8, s87 dst_sel:DWORD dst_unused:UNUSED_PAD src0_sel:BYTE_3 src1_sel:DWORD
                                        ; implicit-def: $vgpr6
	s_and_saveexec_b64 s[40:41], vcc
	s_xor_b64 s[38:39], exec, s[40:41]
	s_cbranch_execz .LBB2_2770
; %bb.2761:                             ;   in Loop: Header=BB2_2481 Depth=4
	v_mov_b32_e32 v6, 0
	v_cmp_ne_u32_e32 vcc, 0, v8
	s_and_saveexec_b64 s[48:49], vcc
	s_cbranch_execz .LBB2_2769
; %bb.2762:                             ;   in Loop: Header=BB2_2481 Depth=4
	v_bfe_u32 v6, v8, 23, 8
	v_and_b32_e32 v9, 0x7fffff, v8
	v_cmp_gt_u32_e64 s[40:41], s96, v6
	v_sub_u32_e32 v8, 0x79, v6
	v_cmp_eq_u32_e32 vcc, 0, v6
	v_cndmask_b32_e64 v8, 0, v8, s[40:41]
	v_or_b32_e32 v34, 0x800000, v9
	v_cndmask_b32_e32 v30, v8, v36, vcc
	v_cndmask_b32_e32 v8, v34, v9, vcc
	v_add_u32_e32 v34, 20, v30
	v_lshlrev_b64 v[34:35], v34, -1
	v_mov_b32_e32 v9, v29
	v_add_u32_e32 v54, 19, v30
	v_bfi_b32 v34, v34, 0, v8
	v_lshlrev_b64 v[54:55], v54, 1
	v_lshrrev_b64 v[8:9], v30, v[8:9]
	v_bfi_b32 v35, v35, 0, 0
	v_cmp_eq_u64_e64 s[40:41], v[34:35], v[54:55]
	v_mov_b32_e32 v57, v9
	v_mov_b32_e32 v56, v8
	s_and_saveexec_b64 s[50:51], s[40:41]
; %bb.2763:                             ;   in Loop: Header=BB2_2481 Depth=4
	v_bfe_u32 v9, v8, 20, 1
	v_add_co_u32_e64 v9, s[40:41], v8, v9
	v_add_co_u32_e64 v56, s[40:41], -1, v9
; %bb.2764:                             ;   in Loop: Header=BB2_2481 Depth=4
	s_or_b64 exec, exec, s[50:51]
	v_add_u32_e32 v6, 0xffffff81, v6
	v_cndmask_b32_e32 v6, v6, v37, vcc
	v_lshrrev_b32_e32 v9, 23, v8
	v_add3_u32 v34, v30, v6, v9
	v_add_u32_e32 v30, 6, v34
	v_and_b32_e32 v6, 0xfffff, v56
	v_add_u32_e32 v8, v6, v8
	v_mov_b32_e32 v9, v29
	v_cmp_ne_u32_e32 vcc, 0, v30
                                        ; implicit-def: $vgpr6
	s_and_saveexec_b64 s[40:41], vcc
	s_xor_b64 s[40:41], exec, s[40:41]
; %bb.2765:                             ;   in Loop: Header=BB2_2481 Depth=4
	v_cmp_lt_u64_e32 vcc, s[88:89], v[8:9]
	v_add_u32_e32 v6, 7, v34
	v_cndmask_b32_e32 v6, v30, v6, vcc
	v_cndmask_b32_e64 v30, 0, 1, vcc
	v_lshrrev_b64 v[8:9], v30, v[8:9]
; %bb.2766:                             ;   in Loop: Header=BB2_2481 Depth=4
	s_andn2_saveexec_b64 s[40:41], s[40:41]
; %bb.2767:                             ;   in Loop: Header=BB2_2481 Depth=4
	v_bfe_u32 v6, v8, 23, 1
; %bb.2768:                             ;   in Loop: Header=BB2_2481 Depth=4
	s_or_b64 exec, exec, s[40:41]
	v_lshrrev_b64 v[8:9], 20, v[8:9]
	v_cmp_gt_i32_e32 vcc, 16, v6
	v_cndmask_b32_e32 v9, 0, v9, vcc
	v_cndmask_b32_e32 v8, 7, v8, vcc
	v_cmp_eq_u32_e32 vcc, 0, v6
	v_min_i32_e32 v6, 15, v6
	v_cmp_eq_u64_e64 s[40:41], 0, v[8:9]
	v_lshlrev_b32_e32 v6, 3, v6
	v_and_b32_e32 v6, 0xf8, v6
	v_and_or_b32 v6, v8, 7, v6
	s_and_b64 s[40:41], vcc, s[40:41]
	v_cndmask_b32_e64 v6, v6, 0, s[40:41]
	v_or_b32_e32 v6, v6, v2
.LBB2_2769:                             ;   in Loop: Header=BB2_2481 Depth=4
	s_or_b64 exec, exec, s[48:49]
                                        ; implicit-def: $vgpr2
.LBB2_2770:                             ;   in Loop: Header=BB2_2481 Depth=4
	s_andn2_saveexec_b64 s[40:41], s[38:39]
; %bb.2771:                             ;   in Loop: Header=BB2_2481 Depth=4
	v_or_b32_e32 v6, 0x7e, v2
; %bb.2772:                             ;   in Loop: Header=BB2_2481 Depth=4
	s_or_b64 exec, exec, s[40:41]
                                        ; implicit-def: $vgpr8
.LBB2_2773:                             ;   in Loop: Header=BB2_2481 Depth=4
	s_andn2_saveexec_b64 s[40:41], s[36:37]
; %bb.2774:                             ;   in Loop: Header=BB2_2481 Depth=4
	v_or_b32_sdwa v6, v8, s85 dst_sel:DWORD dst_unused:UNUSED_PAD src0_sel:BYTE_3 src1_sel:DWORD
; %bb.2775:                             ;   in Loop: Header=BB2_2481 Depth=4
	s_or_b64 exec, exec, s[40:41]
	v_lshrrev_b16_e32 v8, 8, v28
	v_cmp_ne_u16_e32 vcc, 0, v8
	v_mov_b32_e32 v2, 0
	s_and_saveexec_b64 s[40:41], vcc
	s_cbranch_execz .LBB2_2781
; %bb.2776:                             ;   in Loop: Header=BB2_2481 Depth=4
	v_cmp_ne_u16_e32 vcc, s87, v8
	v_bfrev_b32_e32 v2, 1
	s_and_saveexec_b64 s[36:37], vcc
	s_cbranch_execz .LBB2_2780
; %bb.2777:                             ;   in Loop: Header=BB2_2481 Depth=4
	v_and_b32_e32 v9, 0x7f, v8
	v_cmp_ne_u32_e32 vcc, s85, v9
	v_mov_b32_e32 v2, 0x7f800001
	s_and_saveexec_b64 s[38:39], vcc
	s_cbranch_execz .LBB2_2779
; %bb.2778:                             ;   in Loop: Header=BB2_2481 Depth=4
	v_and_b32_e32 v2, 7, v8
	v_lshrrev_b32_e32 v30, 3, v9
	v_cmp_gt_u32_e32 vcc, 8, v9
	v_ffbh_u32_e32 v9, v2
	v_min_u32_e32 v34, 32, v9
	v_subrev_u32_e32 v9, 28, v34
	v_lshlrev_b64 v[8:9], v9, v[8:9]
	v_sub_u32_e32 v9, 29, v34
	v_and_b32_e32 v8, 7, v8
	v_cndmask_b32_e32 v9, v30, v9, vcc
	v_cndmask_b32_e32 v2, v2, v8, vcc
	v_lshlrev_b32_e32 v8, 16, v28
	v_lshlrev_b32_e32 v2, 20, v2
	v_and_b32_e32 v8, 0x80000000, v8
	v_lshl_add_u32 v9, v9, 23, v17
	v_or3_b32 v2, v8, v9, v2
.LBB2_2779:                             ;   in Loop: Header=BB2_2481 Depth=4
	s_or_b64 exec, exec, s[38:39]
.LBB2_2780:                             ;   in Loop: Header=BB2_2481 Depth=4
	s_or_b64 exec, exec, s[36:37]
.LBB2_2781:                             ;   in Loop: Header=BB2_2481 Depth=4
	s_or_b64 exec, exec, s[40:41]
	v_mul_f32_e32 v8, v7, v2
	v_and_b32_e32 v28, 0x7f800000, v8
	v_cmp_ne_u64_e32 vcc, s[76:77], v[28:29]
                                        ; implicit-def: $vgpr2
	s_and_saveexec_b64 s[40:41], vcc
	s_xor_b64 s[36:37], exec, s[40:41]
	s_cbranch_execz .LBB2_2795
; %bb.2782:                             ;   in Loop: Header=BB2_2481 Depth=4
	v_and_b32_e32 v28, 0x7fffffff, v8
	v_cmp_gt_u64_e32 vcc, s[78:79], v[28:29]
	v_and_b32_sdwa v30, v8, s87 dst_sel:DWORD dst_unused:UNUSED_PAD src0_sel:BYTE_3 src1_sel:DWORD
                                        ; implicit-def: $vgpr2
	s_and_saveexec_b64 s[40:41], vcc
	s_xor_b64 s[38:39], exec, s[40:41]
	s_cbranch_execz .LBB2_2792
; %bb.2783:                             ;   in Loop: Header=BB2_2481 Depth=4
	v_mov_b32_e32 v2, 0
	v_cmp_ne_u32_e32 vcc, 0, v8
	s_and_saveexec_b64 s[48:49], vcc
	s_cbranch_execz .LBB2_2791
; %bb.2784:                             ;   in Loop: Header=BB2_2481 Depth=4
	v_bfe_u32 v2, v8, 23, 8
	v_and_b32_e32 v9, 0x7fffff, v8
	v_cmp_gt_u32_e64 s[40:41], s96, v2
	v_sub_u32_e32 v8, 0x79, v2
	v_cmp_eq_u32_e32 vcc, 0, v2
	v_cndmask_b32_e64 v8, 0, v8, s[40:41]
	v_cndmask_b32_e32 v34, v8, v36, vcc
	v_or_b32_e32 v28, 0x800000, v9
	v_add_u32_e32 v8, 20, v34
	v_cndmask_b32_e32 v28, v28, v9, vcc
	v_lshlrev_b64 v[8:9], v8, -1
	v_add_u32_e32 v35, 19, v34
	v_lshlrev_b64 v[54:55], v35, 1
	v_bfi_b32 v9, v9, 0, 0
	v_bfi_b32 v8, v8, 0, v28
	v_cmp_eq_u64_e64 s[40:41], v[8:9], v[54:55]
	v_lshrrev_b64 v[8:9], v34, v[28:29]
	v_mov_b32_e32 v57, v9
	v_mov_b32_e32 v56, v8
	s_and_saveexec_b64 s[50:51], s[40:41]
; %bb.2785:                             ;   in Loop: Header=BB2_2481 Depth=4
	v_bfe_u32 v9, v8, 20, 1
	v_add_co_u32_e64 v9, s[40:41], v8, v9
	v_add_co_u32_e64 v56, s[40:41], -1, v9
; %bb.2786:                             ;   in Loop: Header=BB2_2481 Depth=4
	s_or_b64 exec, exec, s[50:51]
	v_add_u32_e32 v2, 0xffffff81, v2
	v_cndmask_b32_e32 v2, v2, v37, vcc
	v_lshrrev_b32_e32 v9, 23, v8
	v_add3_u32 v35, v34, v2, v9
	v_add_u32_e32 v34, 6, v35
	v_and_b32_e32 v2, 0xfffff, v56
	v_add_u32_e32 v28, v2, v8
	v_cmp_ne_u32_e32 vcc, 0, v34
                                        ; implicit-def: $vgpr8_vgpr9
                                        ; implicit-def: $vgpr2
	s_and_saveexec_b64 s[40:41], vcc
	s_xor_b64 s[40:41], exec, s[40:41]
; %bb.2787:                             ;   in Loop: Header=BB2_2481 Depth=4
	v_cmp_lt_u64_e32 vcc, s[88:89], v[28:29]
	v_add_u32_e32 v2, 7, v35
	v_cndmask_b32_e64 v8, 0, 1, vcc
	v_cndmask_b32_e32 v2, v34, v2, vcc
	v_lshrrev_b64 v[8:9], v8, v[28:29]
; %bb.2788:                             ;   in Loop: Header=BB2_2481 Depth=4
	s_andn2_saveexec_b64 s[40:41], s[40:41]
; %bb.2789:                             ;   in Loop: Header=BB2_2481 Depth=4
	v_mov_b32_e32 v8, v28
	v_bfe_u32 v2, v28, 23, 1
	v_mov_b32_e32 v9, v29
; %bb.2790:                             ;   in Loop: Header=BB2_2481 Depth=4
	s_or_b64 exec, exec, s[40:41]
	v_lshrrev_b64 v[8:9], 20, v[8:9]
	v_cmp_gt_i32_e32 vcc, 16, v2
	v_cndmask_b32_e32 v9, 0, v9, vcc
	v_cndmask_b32_e32 v8, 7, v8, vcc
	v_cmp_eq_u32_e32 vcc, 0, v2
	v_min_i32_e32 v2, 15, v2
	v_cmp_eq_u64_e64 s[40:41], 0, v[8:9]
	v_lshlrev_b32_e32 v2, 3, v2
	v_and_b32_e32 v2, 0xf8, v2
	v_and_or_b32 v2, v8, 7, v2
	s_and_b64 s[40:41], vcc, s[40:41]
	v_cndmask_b32_e64 v2, v2, 0, s[40:41]
	v_or_b32_e32 v2, v2, v30
.LBB2_2791:                             ;   in Loop: Header=BB2_2481 Depth=4
	s_or_b64 exec, exec, s[48:49]
                                        ; implicit-def: $vgpr30
.LBB2_2792:                             ;   in Loop: Header=BB2_2481 Depth=4
	s_andn2_saveexec_b64 s[40:41], s[38:39]
; %bb.2793:                             ;   in Loop: Header=BB2_2481 Depth=4
	v_or_b32_e32 v2, 0x7e, v30
; %bb.2794:                             ;   in Loop: Header=BB2_2481 Depth=4
	s_or_b64 exec, exec, s[40:41]
                                        ; implicit-def: $vgpr8
.LBB2_2795:                             ;   in Loop: Header=BB2_2481 Depth=4
	s_andn2_saveexec_b64 s[40:41], s[36:37]
; %bb.2796:                             ;   in Loop: Header=BB2_2481 Depth=4
	v_or_b32_sdwa v2, v8, s85 dst_sel:DWORD dst_unused:UNUSED_PAD src0_sel:BYTE_3 src1_sel:DWORD
; %bb.2797:                             ;   in Loop: Header=BB2_2481 Depth=4
	s_or_b64 exec, exec, s[40:41]
	v_lshrrev_b32_e32 v8, 16, v11
	v_cmp_ne_u16_sdwa vcc, v8, v29 src0_sel:BYTE_0 src1_sel:DWORD
	v_mov_b32_e32 v9, 0
	s_and_saveexec_b64 s[40:41], vcc
	s_cbranch_execz .LBB2_2803
; %bb.2798:                             ;   in Loop: Header=BB2_2481 Depth=4
	v_cmp_ne_u16_sdwa vcc, v8, s87 src0_sel:BYTE_0 src1_sel:DWORD
	v_bfrev_b32_e32 v9, 1
	s_and_saveexec_b64 s[36:37], vcc
	s_cbranch_execz .LBB2_2802
; %bb.2799:                             ;   in Loop: Header=BB2_2481 Depth=4
	v_bfe_u32 v28, v11, 16, 7
	v_cmp_ne_u32_e32 vcc, s85, v28
	v_mov_b32_e32 v9, 0x7f800001
	s_and_saveexec_b64 s[38:39], vcc
	s_cbranch_execz .LBB2_2801
; %bb.2800:                             ;   in Loop: Header=BB2_2481 Depth=4
	v_and_b32_e32 v9, 7, v8
	v_lshrrev_b32_e32 v30, 3, v28
	v_cmp_gt_u32_e32 vcc, 8, v28
	v_ffbh_u32_e32 v28, v9
	v_min_u32_e32 v28, 32, v28
	v_subrev_u32_e32 v34, 28, v28
	v_lshlrev_b64 v[34:35], v34, v[8:9]
	v_sub_u32_e32 v28, 29, v28
	v_and_b32_e32 v34, 7, v34
	v_cndmask_b32_e32 v28, v30, v28, vcc
	v_cndmask_b32_e32 v9, v9, v34, vcc
	v_lshlrev_b32_e32 v8, 24, v8
	v_lshlrev_b32_e32 v9, 20, v9
	v_and_b32_e32 v8, 0x80000000, v8
	v_lshl_add_u32 v28, v28, 23, v17
	v_or3_b32 v9, v8, v28, v9
.LBB2_2801:                             ;   in Loop: Header=BB2_2481 Depth=4
	s_or_b64 exec, exec, s[38:39]
.LBB2_2802:                             ;   in Loop: Header=BB2_2481 Depth=4
	s_or_b64 exec, exec, s[36:37]
.LBB2_2803:                             ;   in Loop: Header=BB2_2481 Depth=4
	s_or_b64 exec, exec, s[40:41]
	v_mul_f32_e32 v8, v7, v9
	v_and_b32_e32 v28, 0x7f800000, v8
	v_cmp_ne_u64_e32 vcc, s[76:77], v[28:29]
                                        ; implicit-def: $vgpr35
	s_and_saveexec_b64 s[40:41], vcc
	s_xor_b64 s[36:37], exec, s[40:41]
	s_cbranch_execz .LBB2_2817
; %bb.2804:                             ;   in Loop: Header=BB2_2481 Depth=4
	v_and_b32_e32 v28, 0x7fffffff, v8
	v_cmp_gt_u64_e32 vcc, s[78:79], v[28:29]
	v_and_b32_sdwa v30, v8, s87 dst_sel:DWORD dst_unused:UNUSED_PAD src0_sel:BYTE_3 src1_sel:DWORD
                                        ; implicit-def: $vgpr35
	s_and_saveexec_b64 s[40:41], vcc
	s_xor_b64 s[38:39], exec, s[40:41]
	s_cbranch_execz .LBB2_2814
; %bb.2805:                             ;   in Loop: Header=BB2_2481 Depth=4
	v_mov_b32_e32 v35, 0
	v_cmp_ne_u32_e32 vcc, 0, v8
	s_and_saveexec_b64 s[48:49], vcc
	s_cbranch_execz .LBB2_2813
; %bb.2806:                             ;   in Loop: Header=BB2_2481 Depth=4
	v_bfe_u32 v34, v8, 23, 8
	v_and_b32_e32 v9, 0x7fffff, v8
	v_cmp_gt_u32_e64 s[40:41], s96, v34
	v_sub_u32_e32 v8, 0x79, v34
	v_cmp_eq_u32_e32 vcc, 0, v34
	v_cndmask_b32_e64 v8, 0, v8, s[40:41]
	v_cndmask_b32_e32 v35, v8, v36, vcc
	v_or_b32_e32 v28, 0x800000, v9
	v_add_u32_e32 v8, 20, v35
	v_cndmask_b32_e32 v28, v28, v9, vcc
	v_lshlrev_b64 v[8:9], v8, -1
	v_add_u32_e32 v54, 19, v35
	v_lshlrev_b64 v[54:55], v54, 1
	v_bfi_b32 v9, v9, 0, 0
	v_bfi_b32 v8, v8, 0, v28
	v_cmp_eq_u64_e64 s[40:41], v[8:9], v[54:55]
	v_lshrrev_b64 v[8:9], v35, v[28:29]
	v_mov_b32_e32 v57, v9
	v_mov_b32_e32 v56, v8
	s_and_saveexec_b64 s[50:51], s[40:41]
; %bb.2807:                             ;   in Loop: Header=BB2_2481 Depth=4
	v_bfe_u32 v9, v8, 20, 1
	v_add_co_u32_e64 v9, s[40:41], v8, v9
	v_add_co_u32_e64 v56, s[40:41], -1, v9
; %bb.2808:                             ;   in Loop: Header=BB2_2481 Depth=4
	s_or_b64 exec, exec, s[50:51]
	v_add_u32_e32 v9, 0xffffff81, v34
	v_cndmask_b32_e32 v9, v9, v37, vcc
	v_lshrrev_b32_e32 v28, 23, v8
	v_add3_u32 v57, v35, v9, v28
	v_add_u32_e32 v35, 6, v57
	v_and_b32_e32 v9, 0xfffff, v56
	v_add_u32_e32 v28, v9, v8
	v_cmp_ne_u32_e32 vcc, 0, v35
                                        ; implicit-def: $vgpr8_vgpr9
                                        ; implicit-def: $vgpr34
	s_and_saveexec_b64 s[40:41], vcc
	s_xor_b64 s[40:41], exec, s[40:41]
; %bb.2809:                             ;   in Loop: Header=BB2_2481 Depth=4
	v_cmp_lt_u64_e32 vcc, s[88:89], v[28:29]
	v_add_u32_e32 v8, 7, v57
	v_cndmask_b32_e32 v34, v35, v8, vcc
	v_cndmask_b32_e64 v8, 0, 1, vcc
	v_lshrrev_b64 v[8:9], v8, v[28:29]
; %bb.2810:                             ;   in Loop: Header=BB2_2481 Depth=4
	s_andn2_saveexec_b64 s[40:41], s[40:41]
; %bb.2811:                             ;   in Loop: Header=BB2_2481 Depth=4
	v_mov_b32_e32 v8, v28
	v_bfe_u32 v34, v28, 23, 1
	v_mov_b32_e32 v9, v29
; %bb.2812:                             ;   in Loop: Header=BB2_2481 Depth=4
	s_or_b64 exec, exec, s[40:41]
	v_lshrrev_b64 v[8:9], 20, v[8:9]
	v_cmp_gt_i32_e32 vcc, 16, v34
	v_cndmask_b32_e32 v9, 0, v9, vcc
	v_cndmask_b32_e32 v8, 7, v8, vcc
	v_cmp_eq_u64_e64 s[40:41], 0, v[8:9]
	v_min_i32_e32 v9, 15, v34
	v_lshlrev_b32_e32 v9, 3, v9
	v_cmp_eq_u32_e32 vcc, 0, v34
	v_and_b32_e32 v9, 0xf8, v9
	v_and_or_b32 v8, v8, 7, v9
	s_and_b64 s[40:41], vcc, s[40:41]
	v_cndmask_b32_e64 v8, v8, 0, s[40:41]
	v_or_b32_e32 v35, v8, v30
.LBB2_2813:                             ;   in Loop: Header=BB2_2481 Depth=4
	s_or_b64 exec, exec, s[48:49]
                                        ; implicit-def: $vgpr30
.LBB2_2814:                             ;   in Loop: Header=BB2_2481 Depth=4
	s_andn2_saveexec_b64 s[40:41], s[38:39]
; %bb.2815:                             ;   in Loop: Header=BB2_2481 Depth=4
	v_or_b32_e32 v35, 0x7e, v30
; %bb.2816:                             ;   in Loop: Header=BB2_2481 Depth=4
	s_or_b64 exec, exec, s[40:41]
                                        ; implicit-def: $vgpr8
.LBB2_2817:                             ;   in Loop: Header=BB2_2481 Depth=4
	s_andn2_saveexec_b64 s[40:41], s[36:37]
; %bb.2818:                             ;   in Loop: Header=BB2_2481 Depth=4
	v_or_b32_sdwa v35, v8, s85 dst_sel:DWORD dst_unused:UNUSED_PAD src0_sel:BYTE_3 src1_sel:DWORD
; %bb.2819:                             ;   in Loop: Header=BB2_2481 Depth=4
	s_or_b64 exec, exec, s[40:41]
	v_cmp_lt_u64_e32 vcc, s[56:57], v[10:11]
	v_mov_b32_e32 v9, 0
	s_and_saveexec_b64 s[40:41], vcc
	s_cbranch_execz .LBB2_2825
; %bb.2820:                             ;   in Loop: Header=BB2_2481 Depth=4
	v_lshrrev_b32_e32 v8, 24, v11
	v_cmp_ne_u32_e32 vcc, s87, v8
	v_bfrev_b32_e32 v9, 1
	s_and_saveexec_b64 s[36:37], vcc
	s_cbranch_execz .LBB2_2824
; %bb.2821:                             ;   in Loop: Header=BB2_2481 Depth=4
	v_bfe_u32 v10, v11, 24, 7
	v_cmp_ne_u32_e32 vcc, s85, v10
	v_mov_b32_e32 v9, 0x7f800001
	s_and_saveexec_b64 s[38:39], vcc
	s_cbranch_execz .LBB2_2823
; %bb.2822:                             ;   in Loop: Header=BB2_2481 Depth=4
	v_and_b32_e32 v11, 7, v8
	v_ffbh_u32_e32 v9, v11
	v_min_u32_e32 v30, 32, v9
	v_subrev_u32_e32 v9, 28, v30
	v_lshrrev_b32_e32 v28, 3, v10
	v_cmp_gt_u32_e32 vcc, 8, v10
	v_lshlrev_b64 v[9:10], v9, v[8:9]
	v_sub_u32_e32 v10, 29, v30
	v_and_b32_e32 v9, 7, v9
	v_cndmask_b32_e32 v10, v28, v10, vcc
	v_cndmask_b32_e32 v9, v11, v9, vcc
	v_lshlrev_b32_e32 v8, 24, v8
	v_lshlrev_b32_e32 v9, 20, v9
	v_and_b32_e32 v8, 0x80000000, v8
	v_lshl_add_u32 v10, v10, 23, v17
	v_or3_b32 v9, v8, v10, v9
.LBB2_2823:                             ;   in Loop: Header=BB2_2481 Depth=4
	s_or_b64 exec, exec, s[38:39]
.LBB2_2824:                             ;   in Loop: Header=BB2_2481 Depth=4
	s_or_b64 exec, exec, s[36:37]
.LBB2_2825:                             ;   in Loop: Header=BB2_2481 Depth=4
	s_or_b64 exec, exec, s[40:41]
	v_mul_f32_e32 v8, v7, v9
	v_and_b32_e32 v28, 0x7f800000, v8
	v_cmp_ne_u64_e32 vcc, s[76:77], v[28:29]
                                        ; implicit-def: $vgpr34
	s_and_saveexec_b64 s[40:41], vcc
	s_xor_b64 s[36:37], exec, s[40:41]
	s_cbranch_execz .LBB2_2839
; %bb.2826:                             ;   in Loop: Header=BB2_2481 Depth=4
	v_and_b32_e32 v28, 0x7fffffff, v8
	v_cmp_gt_u64_e32 vcc, s[78:79], v[28:29]
	v_and_b32_sdwa v7, v8, s87 dst_sel:DWORD dst_unused:UNUSED_PAD src0_sel:BYTE_3 src1_sel:DWORD
                                        ; implicit-def: $vgpr34
	s_and_saveexec_b64 s[40:41], vcc
	s_xor_b64 s[38:39], exec, s[40:41]
	s_cbranch_execz .LBB2_2836
; %bb.2827:                             ;   in Loop: Header=BB2_2481 Depth=4
	v_mov_b32_e32 v34, 0
	v_cmp_ne_u32_e32 vcc, 0, v8
	s_and_saveexec_b64 s[48:49], vcc
	s_cbranch_execz .LBB2_2835
; %bb.2828:                             ;   in Loop: Header=BB2_2481 Depth=4
	v_bfe_u32 v11, v8, 23, 8
	v_and_b32_e32 v9, 0x7fffff, v8
	v_cmp_gt_u32_e64 s[40:41], s96, v11
	v_sub_u32_e32 v8, 0x79, v11
	v_cmp_eq_u32_e32 vcc, 0, v11
	v_cndmask_b32_e64 v8, 0, v8, s[40:41]
	v_cndmask_b32_e32 v30, v8, v36, vcc
	v_or_b32_e32 v10, 0x800000, v9
	v_add_u32_e32 v8, 20, v30
	v_cndmask_b32_e32 v28, v10, v9, vcc
	v_lshlrev_b64 v[8:9], v8, -1
	v_add_u32_e32 v10, 19, v30
	v_lshlrev_b64 v[54:55], v10, 1
	v_bfi_b32 v9, v9, 0, 0
	v_bfi_b32 v8, v8, 0, v28
	v_cmp_eq_u64_e64 s[40:41], v[8:9], v[54:55]
	v_lshrrev_b64 v[8:9], v30, v[28:29]
	v_mov_b32_e32 v10, v9
	v_mov_b32_e32 v9, v8
	s_and_saveexec_b64 s[50:51], s[40:41]
; %bb.2829:                             ;   in Loop: Header=BB2_2481 Depth=4
	v_bfe_u32 v9, v8, 20, 1
	v_add_co_u32_e64 v9, s[40:41], v8, v9
	v_add_co_u32_e64 v9, s[40:41], -1, v9
; %bb.2830:                             ;   in Loop: Header=BB2_2481 Depth=4
	s_or_b64 exec, exec, s[50:51]
	v_add_u32_e32 v10, 0xffffff81, v11
	v_cndmask_b32_e32 v10, v10, v37, vcc
	v_lshrrev_b32_e32 v11, 23, v8
	v_add3_u32 v30, v30, v10, v11
	v_add_u32_e32 v11, 6, v30
	v_and_b32_e32 v9, 0xfffff, v9
	v_add_u32_e32 v28, v9, v8
	v_cmp_ne_u32_e32 vcc, 0, v11
                                        ; implicit-def: $vgpr8_vgpr9
                                        ; implicit-def: $vgpr10
	s_and_saveexec_b64 s[40:41], vcc
	s_xor_b64 s[40:41], exec, s[40:41]
; %bb.2831:                             ;   in Loop: Header=BB2_2481 Depth=4
	v_cmp_lt_u64_e32 vcc, s[88:89], v[28:29]
	v_add_u32_e32 v8, 7, v30
	v_cndmask_b32_e32 v10, v11, v8, vcc
	v_cndmask_b32_e64 v8, 0, 1, vcc
	v_lshrrev_b64 v[8:9], v8, v[28:29]
; %bb.2832:                             ;   in Loop: Header=BB2_2481 Depth=4
	s_andn2_saveexec_b64 s[40:41], s[40:41]
; %bb.2833:                             ;   in Loop: Header=BB2_2481 Depth=4
	v_mov_b32_e32 v8, v28
	v_bfe_u32 v10, v28, 23, 1
	v_mov_b32_e32 v9, v29
; %bb.2834:                             ;   in Loop: Header=BB2_2481 Depth=4
	s_or_b64 exec, exec, s[40:41]
	v_lshrrev_b64 v[8:9], 20, v[8:9]
	v_cmp_gt_i32_e32 vcc, 16, v10
	v_cndmask_b32_e32 v9, 0, v9, vcc
	v_cndmask_b32_e32 v8, 7, v8, vcc
	v_cmp_eq_u64_e64 s[40:41], 0, v[8:9]
	v_min_i32_e32 v9, 15, v10
	v_lshlrev_b32_e32 v9, 3, v9
	v_cmp_eq_u32_e32 vcc, 0, v10
	v_and_b32_e32 v9, 0xf8, v9
	v_and_or_b32 v8, v8, 7, v9
	s_and_b64 s[40:41], vcc, s[40:41]
	v_cndmask_b32_e64 v8, v8, 0, s[40:41]
	v_or_b32_e32 v34, v8, v7
.LBB2_2835:                             ;   in Loop: Header=BB2_2481 Depth=4
	s_or_b64 exec, exec, s[48:49]
                                        ; implicit-def: $vgpr7
.LBB2_2836:                             ;   in Loop: Header=BB2_2481 Depth=4
	s_andn2_saveexec_b64 s[40:41], s[38:39]
; %bb.2837:                             ;   in Loop: Header=BB2_2481 Depth=4
	v_or_b32_e32 v34, 0x7e, v7
; %bb.2838:                             ;   in Loop: Header=BB2_2481 Depth=4
	s_or_b64 exec, exec, s[40:41]
                                        ; implicit-def: $vgpr8
.LBB2_2839:                             ;   in Loop: Header=BB2_2481 Depth=4
	s_andn2_saveexec_b64 s[40:41], s[36:37]
; %bb.2840:                             ;   in Loop: Header=BB2_2481 Depth=4
	v_or_b32_sdwa v34, v8, s85 dst_sel:DWORD dst_unused:UNUSED_PAD src0_sel:BYTE_3 src1_sel:DWORD
; %bb.2841:                             ;   in Loop: Header=BB2_2481 Depth=4
	s_or_b64 exec, exec, s[40:41]
	v_lshl_or_b32 v7, v25, 8, v5
	v_lshlrev_b32_e32 v8, 16, v31
	v_lshlrev_b32_e32 v9, 24, v53
	v_or3_b32 v28, v8, v9, v7
	global_load_dwordx4 v[8:11], v[44:45], off glc slc
	v_cmp_ne_u32_e32 vcc, 0, v5
	v_mov_b32_e32 v25, 0
	s_and_saveexec_b64 s[40:41], vcc
	s_cbranch_execz .LBB2_2847
; %bb.2842:                             ;   in Loop: Header=BB2_2481 Depth=4
	v_cmp_ne_u32_e32 vcc, s87, v5
	v_bfrev_b32_e32 v25, 1
	s_and_saveexec_b64 s[36:37], vcc
	s_cbranch_execz .LBB2_2846
; %bb.2843:                             ;   in Loop: Header=BB2_2481 Depth=4
	v_and_b32_e32 v30, 0x7f, v5
	v_cmp_ne_u32_e32 vcc, s85, v30
	v_mov_b32_e32 v25, 0x7f800001
	s_and_saveexec_b64 s[38:39], vcc
	s_cbranch_execz .LBB2_2845
; %bb.2844:                             ;   in Loop: Header=BB2_2481 Depth=4
	v_and_b32_e32 v5, 7, v5
	v_ffbh_u32_e32 v5, v5
	v_min_u32_e32 v5, 32, v5
	v_lshrrev_b32_e32 v25, 3, v30
	v_cmp_gt_u32_e32 vcc, 8, v30
	v_subrev_u32_e32 v30, 28, v5
	v_sub_u32_e32 v5, 29, v5
	v_cndmask_b32_e32 v5, v25, v5, vcc
	v_cndmask_b32_e32 v25, 0, v30, vcc
	v_lshlrev_b64 v[30:31], v25, v[28:29]
	v_lshl_add_u32 v5, v5, 23, v17
	v_lshlrev_b32_e32 v25, 20, v30
	v_lshlrev_b32_e32 v30, 24, v28
	v_and_b32_e32 v25, 0x700000, v25
	v_and_b32_e32 v30, 0x80000000, v30
	v_or3_b32 v25, v30, v5, v25
.LBB2_2845:                             ;   in Loop: Header=BB2_2481 Depth=4
	s_or_b64 exec, exec, s[38:39]
.LBB2_2846:                             ;   in Loop: Header=BB2_2481 Depth=4
	s_or_b64 exec, exec, s[36:37]
.LBB2_2847:                             ;   in Loop: Header=BB2_2481 Depth=4
	s_or_b64 exec, exec, s[40:41]
	s_waitcnt vmcnt(0)
	v_cmp_gt_i16_sdwa vcc, v8, s85 src0_sel:BYTE_0 src1_sel:DWORD
	s_mov_b64 s[40:41], 0
	s_and_saveexec_b64 s[36:37], vcc
	s_xor_b64 vcc, exec, s[36:37]
	s_cbranch_execz .LBB2_3269
; %bb.2848:                             ;   in Loop: Header=BB2_2481 Depth=4
	v_cmp_eq_u16_sdwa s[38:39], v8, s87 src0_sel:BYTE_0 src1_sel:DWORD
	s_mov_b64 s[40:41], -1
	s_and_saveexec_b64 s[36:37], s[38:39]
; %bb.2849:                             ;   in Loop: Header=BB2_2481 Depth=4
	s_xor_b64 s[40:41], exec, -1
; %bb.2850:                             ;   in Loop: Header=BB2_2481 Depth=4
	s_or_b64 exec, exec, s[36:37]
	s_and_b64 s[40:41], s[40:41], exec
	s_or_saveexec_b64 vcc, vcc
	v_bfrev_b32_e32 v5, 1
	s_xor_b64 exec, exec, vcc
	s_cbranch_execnz .LBB2_3270
.LBB2_2851:                             ;   in Loop: Header=BB2_2481 Depth=4
	s_or_b64 exec, exec, vcc
	s_and_saveexec_b64 s[36:37], s[40:41]
	s_cbranch_execz .LBB2_2853
.LBB2_2852:                             ;   in Loop: Header=BB2_2481 Depth=4
	v_and_b32_e32 v5, 7, v8
	v_ffbh_u32_e32 v5, v5
	v_and_b32_e32 v53, 0x7f, v8
	v_min_u32_e32 v5, 32, v5
	v_bfe_u32 v30, v8, 3, 4
	v_subrev_u32_e32 v31, 28, v5
	v_sub_u32_e32 v5, 29, v5
	v_cmp_gt_u32_e32 vcc, 8, v53
	v_cndmask_b32_e32 v5, v30, v5, vcc
	v_cndmask_b32_e32 v30, 0, v31, vcc
	v_lshlrev_b64 v[30:31], v30, v[8:9]
	v_lshlrev_b32_e32 v31, 24, v8
	v_lshlrev_b32_e32 v30, 20, v30
	v_and_b32_e32 v30, 0x700000, v30
	v_and_b32_e32 v31, 0x80000000, v31
	v_lshl_add_u32 v5, v5, 23, v17
	v_or3_b32 v5, v31, v5, v30
	v_cmp_ne_u32_e32 vcc, s85, v53
	v_cndmask_b32_e32 v5, v4, v5, vcc
.LBB2_2853:                             ;   in Loop: Header=BB2_2481 Depth=4
	s_or_b64 exec, exec, s[36:37]
	v_add_f32_e32 v30, v25, v5
	v_and_b32_e32 v53, 0x7f800000, v30
	v_mov_b32_e32 v54, v29
	v_cmp_ne_u64_e32 vcc, s[76:77], v[53:54]
                                        ; implicit-def: $vgpr25
	s_and_saveexec_b64 s[40:41], vcc
	s_xor_b64 s[36:37], exec, s[40:41]
	s_cbranch_execz .LBB2_2867
; %bb.2854:                             ;   in Loop: Header=BB2_2481 Depth=4
	v_and_b32_e32 v53, 0x7fffffff, v30
	v_mov_b32_e32 v54, v29
	v_cmp_gt_u64_e32 vcc, s[78:79], v[53:54]
	v_and_b32_sdwa v5, v30, s87 dst_sel:DWORD dst_unused:UNUSED_PAD src0_sel:BYTE_3 src1_sel:DWORD
                                        ; implicit-def: $vgpr25
	s_and_saveexec_b64 s[40:41], vcc
	s_xor_b64 s[38:39], exec, s[40:41]
	s_cbranch_execz .LBB2_2864
; %bb.2855:                             ;   in Loop: Header=BB2_2481 Depth=4
	v_mov_b32_e32 v25, 0
	v_cmp_ne_u32_e32 vcc, 0, v30
	s_and_saveexec_b64 s[48:49], vcc
	s_cbranch_execz .LBB2_2863
; %bb.2856:                             ;   in Loop: Header=BB2_2481 Depth=4
	v_bfe_u32 v25, v30, 23, 8
	v_and_b32_e32 v31, 0x7fffff, v30
	v_cmp_gt_u32_e64 s[40:41], s96, v25
	v_sub_u32_e32 v30, 0x79, v25
	v_cmp_eq_u32_e32 vcc, 0, v25
	v_cndmask_b32_e64 v30, 0, v30, s[40:41]
	v_or_b32_e32 v53, 0x800000, v31
	v_cndmask_b32_e32 v30, v30, v36, vcc
	v_cndmask_b32_e32 v53, v53, v31, vcc
	v_add_u32_e32 v31, 20, v30
	v_lshlrev_b64 v[55:56], v31, -1
	v_add_u32_e32 v31, 19, v30
	v_lshlrev_b64 v[57:58], v31, 1
	v_mov_b32_e32 v54, v29
	v_bfi_b32 v56, v56, 0, 0
	v_bfi_b32 v55, v55, 0, v53
	v_cmp_eq_u64_e64 s[40:41], v[55:56], v[57:58]
	v_lshrrev_b64 v[56:57], v30, v[53:54]
	v_mov_b32_e32 v58, v57
	v_mov_b32_e32 v57, v56
	s_and_saveexec_b64 s[50:51], s[40:41]
; %bb.2857:                             ;   in Loop: Header=BB2_2481 Depth=4
	v_bfe_u32 v31, v56, 20, 1
	v_add_co_u32_e64 v31, s[40:41], v56, v31
	v_add_co_u32_e64 v57, s[40:41], -1, v31
; %bb.2858:                             ;   in Loop: Header=BB2_2481 Depth=4
	s_or_b64 exec, exec, s[50:51]
	v_add_u32_e32 v25, 0xffffff81, v25
	v_cndmask_b32_e32 v25, v25, v37, vcc
	v_lshrrev_b32_e32 v31, 23, v56
	v_add3_u32 v31, v30, v25, v31
	v_add_u32_e32 v30, 6, v31
	v_and_b32_e32 v25, 0xfffff, v57
	v_add_u32_e32 v56, v25, v56
	v_mov_b32_e32 v57, v29
	v_cmp_ne_u32_e32 vcc, 0, v30
                                        ; implicit-def: $vgpr25
	s_and_saveexec_b64 s[40:41], vcc
	s_xor_b64 s[40:41], exec, s[40:41]
; %bb.2859:                             ;   in Loop: Header=BB2_2481 Depth=4
	v_cmp_lt_u64_e32 vcc, s[88:89], v[56:57]
	v_add_u32_e32 v25, 7, v31
	v_cndmask_b32_e32 v25, v30, v25, vcc
	v_cndmask_b32_e64 v30, 0, 1, vcc
	v_lshrrev_b64 v[56:57], v30, v[56:57]
; %bb.2860:                             ;   in Loop: Header=BB2_2481 Depth=4
	s_andn2_saveexec_b64 s[40:41], s[40:41]
; %bb.2861:                             ;   in Loop: Header=BB2_2481 Depth=4
	v_bfe_u32 v25, v56, 23, 1
; %bb.2862:                             ;   in Loop: Header=BB2_2481 Depth=4
	s_or_b64 exec, exec, s[40:41]
	v_lshrrev_b64 v[30:31], 20, v[56:57]
	v_cmp_gt_i32_e32 vcc, 16, v25
	v_cndmask_b32_e32 v31, 0, v31, vcc
	v_cndmask_b32_e32 v30, 7, v30, vcc
	v_cmp_eq_u32_e32 vcc, 0, v25
	v_min_i32_e32 v25, 15, v25
	v_cmp_eq_u64_e64 s[40:41], 0, v[30:31]
	v_lshlrev_b32_e32 v25, 3, v25
	v_and_b32_e32 v25, 0xf8, v25
	v_and_or_b32 v25, v30, 7, v25
	s_and_b64 s[40:41], vcc, s[40:41]
	v_cndmask_b32_e64 v25, v25, 0, s[40:41]
	v_or_b32_e32 v25, v25, v5
.LBB2_2863:                             ;   in Loop: Header=BB2_2481 Depth=4
	s_or_b64 exec, exec, s[48:49]
                                        ; implicit-def: $vgpr5
.LBB2_2864:                             ;   in Loop: Header=BB2_2481 Depth=4
	s_andn2_saveexec_b64 s[40:41], s[38:39]
; %bb.2865:                             ;   in Loop: Header=BB2_2481 Depth=4
	v_or_b32_e32 v25, 0x7e, v5
; %bb.2866:                             ;   in Loop: Header=BB2_2481 Depth=4
	s_or_b64 exec, exec, s[40:41]
                                        ; implicit-def: $vgpr30
.LBB2_2867:                             ;   in Loop: Header=BB2_2481 Depth=4
	s_andn2_saveexec_b64 s[40:41], s[36:37]
; %bb.2868:                             ;   in Loop: Header=BB2_2481 Depth=4
	v_or_b32_sdwa v25, v30, s85 dst_sel:DWORD dst_unused:UNUSED_PAD src0_sel:BYTE_3 src1_sel:DWORD
; %bb.2869:                             ;   in Loop: Header=BB2_2481 Depth=4
	s_or_b64 exec, exec, s[40:41]
	v_lshrrev_b16_e32 v30, 8, v7
	v_cmp_ne_u16_e32 vcc, 0, v30
	v_mov_b32_e32 v5, 0
	s_and_saveexec_b64 s[40:41], vcc
	s_cbranch_execz .LBB2_2875
; %bb.2870:                             ;   in Loop: Header=BB2_2481 Depth=4
	v_cmp_ne_u16_e32 vcc, s87, v30
	v_bfrev_b32_e32 v5, 1
	s_and_saveexec_b64 s[36:37], vcc
	s_cbranch_execz .LBB2_2874
; %bb.2871:                             ;   in Loop: Header=BB2_2481 Depth=4
	v_and_b32_e32 v31, 0x7f, v30
	v_cmp_ne_u32_e32 vcc, s85, v31
	v_mov_b32_e32 v5, 0x7f800001
	s_and_saveexec_b64 s[38:39], vcc
	s_cbranch_execz .LBB2_2873
; %bb.2872:                             ;   in Loop: Header=BB2_2481 Depth=4
	v_and_b32_e32 v5, 7, v30
	v_lshrrev_b32_e32 v53, 3, v31
	v_cmp_gt_u32_e32 vcc, 8, v31
	v_ffbh_u32_e32 v31, v5
	v_min_u32_e32 v54, 32, v31
	v_subrev_u32_e32 v31, 28, v54
	v_lshlrev_b64 v[30:31], v31, v[30:31]
	v_sub_u32_e32 v31, 29, v54
	v_and_b32_e32 v30, 7, v30
	v_cndmask_b32_e32 v31, v53, v31, vcc
	v_cndmask_b32_e32 v5, v5, v30, vcc
	v_lshlrev_b32_e32 v7, 16, v7
	v_lshlrev_b32_e32 v5, 20, v5
	v_and_b32_e32 v7, 0x80000000, v7
	v_lshl_add_u32 v30, v31, 23, v17
	v_or3_b32 v5, v7, v30, v5
.LBB2_2873:                             ;   in Loop: Header=BB2_2481 Depth=4
	s_or_b64 exec, exec, s[38:39]
.LBB2_2874:                             ;   in Loop: Header=BB2_2481 Depth=4
	s_or_b64 exec, exec, s[36:37]
.LBB2_2875:                             ;   in Loop: Header=BB2_2481 Depth=4
	s_or_b64 exec, exec, s[40:41]
	v_lshrrev_b16_e32 v56, 8, v8
	v_cmp_lt_i16_e32 vcc, s85, v56
	s_mov_b64 s[40:41], 0
	s_and_saveexec_b64 s[36:37], vcc
	s_xor_b64 s[36:37], exec, s[36:37]
	s_cbranch_execz .LBB2_3271
; %bb.2876:                             ;   in Loop: Header=BB2_2481 Depth=4
	v_cmp_eq_u16_e32 vcc, s87, v56
	s_mov_b64 s[40:41], -1
	s_and_saveexec_b64 s[38:39], vcc
; %bb.2877:                             ;   in Loop: Header=BB2_2481 Depth=4
	s_xor_b64 s[40:41], exec, -1
; %bb.2878:                             ;   in Loop: Header=BB2_2481 Depth=4
	s_or_b64 exec, exec, s[38:39]
	s_and_b64 s[40:41], s[40:41], exec
	s_or_saveexec_b64 s[36:37], s[36:37]
	v_bfrev_b32_e32 v7, 1
	s_xor_b64 exec, exec, s[36:37]
	s_cbranch_execnz .LBB2_3272
.LBB2_2879:                             ;   in Loop: Header=BB2_2481 Depth=4
	s_or_b64 exec, exec, s[36:37]
	s_and_saveexec_b64 s[36:37], s[40:41]
	s_cbranch_execz .LBB2_2881
.LBB2_2880:                             ;   in Loop: Header=BB2_2481 Depth=4
	v_and_b32_e32 v7, 7, v56
	v_ffbh_u32_e32 v30, v7
	v_min_u32_e32 v55, 32, v30
	v_mov_b32_e32 v57, v29
	v_subrev_u32_e32 v30, 28, v55
	v_lshlrev_b64 v[30:31], v30, v[56:57]
	v_and_b32_e32 v53, 0x7f, v56
	v_bfe_u32 v54, v56, 3, 4
	v_sub_u32_e32 v31, 29, v55
	v_and_b32_e32 v30, 7, v30
	v_cmp_gt_u32_e32 vcc, 8, v53
	v_cndmask_b32_e32 v31, v54, v31, vcc
	v_cndmask_b32_e32 v7, v7, v30, vcc
	v_lshlrev_b32_e32 v30, 24, v56
	v_lshlrev_b32_e32 v7, 20, v7
	v_and_b32_e32 v30, 0x80000000, v30
	v_lshl_add_u32 v31, v31, 23, v17
	v_or3_b32 v7, v30, v31, v7
	v_cmp_ne_u32_e32 vcc, s85, v53
	v_cndmask_b32_e32 v7, v4, v7, vcc
.LBB2_2881:                             ;   in Loop: Header=BB2_2481 Depth=4
	s_or_b64 exec, exec, s[36:37]
	v_add_f32_e32 v30, v5, v7
	v_and_b32_e32 v53, 0x7f800000, v30
	v_mov_b32_e32 v54, v29
	v_cmp_ne_u64_e32 vcc, s[76:77], v[53:54]
                                        ; implicit-def: $vgpr7
	s_and_saveexec_b64 s[40:41], vcc
	s_xor_b64 s[36:37], exec, s[40:41]
	s_cbranch_execz .LBB2_2895
; %bb.2882:                             ;   in Loop: Header=BB2_2481 Depth=4
	v_and_b32_e32 v53, 0x7fffffff, v30
	v_mov_b32_e32 v54, v29
	v_cmp_gt_u64_e32 vcc, s[78:79], v[53:54]
	v_and_b32_sdwa v5, v30, s87 dst_sel:DWORD dst_unused:UNUSED_PAD src0_sel:BYTE_3 src1_sel:DWORD
                                        ; implicit-def: $vgpr7
	s_and_saveexec_b64 s[40:41], vcc
	s_xor_b64 s[38:39], exec, s[40:41]
	s_cbranch_execz .LBB2_2892
; %bb.2883:                             ;   in Loop: Header=BB2_2481 Depth=4
	v_mov_b32_e32 v7, 0
	v_cmp_ne_u32_e32 vcc, 0, v30
	s_and_saveexec_b64 s[48:49], vcc
	s_cbranch_execz .LBB2_2891
; %bb.2884:                             ;   in Loop: Header=BB2_2481 Depth=4
	v_bfe_u32 v7, v30, 23, 8
	v_and_b32_e32 v31, 0x7fffff, v30
	v_cmp_gt_u32_e64 s[40:41], s96, v7
	v_sub_u32_e32 v30, 0x79, v7
	v_cmp_eq_u32_e32 vcc, 0, v7
	v_cndmask_b32_e64 v30, 0, v30, s[40:41]
	v_or_b32_e32 v53, 0x800000, v31
	v_cndmask_b32_e32 v30, v30, v36, vcc
	v_cndmask_b32_e32 v53, v53, v31, vcc
	v_add_u32_e32 v31, 20, v30
	v_lshlrev_b64 v[55:56], v31, -1
	v_add_u32_e32 v31, 19, v30
	v_lshlrev_b64 v[57:58], v31, 1
	v_mov_b32_e32 v54, v29
	v_bfi_b32 v56, v56, 0, 0
	v_bfi_b32 v55, v55, 0, v53
	v_cmp_eq_u64_e64 s[40:41], v[55:56], v[57:58]
	v_lshrrev_b64 v[56:57], v30, v[53:54]
	v_mov_b32_e32 v58, v57
	v_mov_b32_e32 v57, v56
	s_and_saveexec_b64 s[50:51], s[40:41]
; %bb.2885:                             ;   in Loop: Header=BB2_2481 Depth=4
	v_bfe_u32 v31, v56, 20, 1
	v_add_co_u32_e64 v31, s[40:41], v56, v31
	v_add_co_u32_e64 v57, s[40:41], -1, v31
; %bb.2886:                             ;   in Loop: Header=BB2_2481 Depth=4
	s_or_b64 exec, exec, s[50:51]
	v_add_u32_e32 v7, 0xffffff81, v7
	v_cndmask_b32_e32 v7, v7, v37, vcc
	v_lshrrev_b32_e32 v31, 23, v56
	v_add3_u32 v31, v30, v7, v31
	v_add_u32_e32 v30, 6, v31
	v_and_b32_e32 v7, 0xfffff, v57
	v_add_u32_e32 v56, v7, v56
	v_mov_b32_e32 v57, v29
	v_cmp_ne_u32_e32 vcc, 0, v30
                                        ; implicit-def: $vgpr7
	s_and_saveexec_b64 s[40:41], vcc
	s_xor_b64 s[40:41], exec, s[40:41]
; %bb.2887:                             ;   in Loop: Header=BB2_2481 Depth=4
	v_cmp_lt_u64_e32 vcc, s[88:89], v[56:57]
	v_add_u32_e32 v7, 7, v31
	v_cndmask_b32_e32 v7, v30, v7, vcc
	v_cndmask_b32_e64 v30, 0, 1, vcc
	v_lshrrev_b64 v[56:57], v30, v[56:57]
; %bb.2888:                             ;   in Loop: Header=BB2_2481 Depth=4
	s_andn2_saveexec_b64 s[40:41], s[40:41]
; %bb.2889:                             ;   in Loop: Header=BB2_2481 Depth=4
	v_bfe_u32 v7, v56, 23, 1
; %bb.2890:                             ;   in Loop: Header=BB2_2481 Depth=4
	s_or_b64 exec, exec, s[40:41]
	v_lshrrev_b64 v[30:31], 20, v[56:57]
	v_cmp_gt_i32_e32 vcc, 16, v7
	v_cndmask_b32_e32 v31, 0, v31, vcc
	v_cndmask_b32_e32 v30, 7, v30, vcc
	v_cmp_eq_u32_e32 vcc, 0, v7
	v_min_i32_e32 v7, 15, v7
	v_cmp_eq_u64_e64 s[40:41], 0, v[30:31]
	v_lshlrev_b32_e32 v7, 3, v7
	v_and_b32_e32 v7, 0xf8, v7
	v_and_or_b32 v7, v30, 7, v7
	s_and_b64 s[40:41], vcc, s[40:41]
	v_cndmask_b32_e64 v7, v7, 0, s[40:41]
	v_or_b32_e32 v7, v7, v5
.LBB2_2891:                             ;   in Loop: Header=BB2_2481 Depth=4
	s_or_b64 exec, exec, s[48:49]
                                        ; implicit-def: $vgpr5
.LBB2_2892:                             ;   in Loop: Header=BB2_2481 Depth=4
	s_andn2_saveexec_b64 s[40:41], s[38:39]
; %bb.2893:                             ;   in Loop: Header=BB2_2481 Depth=4
	v_or_b32_e32 v7, 0x7e, v5
; %bb.2894:                             ;   in Loop: Header=BB2_2481 Depth=4
	s_or_b64 exec, exec, s[40:41]
                                        ; implicit-def: $vgpr30
.LBB2_2895:                             ;   in Loop: Header=BB2_2481 Depth=4
	s_andn2_saveexec_b64 s[40:41], s[36:37]
; %bb.2896:                             ;   in Loop: Header=BB2_2481 Depth=4
	v_or_b32_sdwa v7, v30, s85 dst_sel:DWORD dst_unused:UNUSED_PAD src0_sel:BYTE_3 src1_sel:DWORD
; %bb.2897:                             ;   in Loop: Header=BB2_2481 Depth=4
	s_or_b64 exec, exec, s[40:41]
	v_and_b32_sdwa v31, v28, s86 dst_sel:DWORD dst_unused:UNUSED_PAD src0_sel:WORD_1 src1_sel:DWORD
	v_lshrrev_b32_e32 v30, 16, v28
	v_cmp_ne_u16_e32 vcc, 0, v31
	v_mov_b32_e32 v5, 0
	s_and_saveexec_b64 s[40:41], vcc
	s_cbranch_execz .LBB2_2903
; %bb.2898:                             ;   in Loop: Header=BB2_2481 Depth=4
	v_cmp_ne_u16_e32 vcc, s87, v31
	v_bfrev_b32_e32 v5, 1
	s_and_saveexec_b64 s[36:37], vcc
	s_cbranch_execz .LBB2_2902
; %bb.2899:                             ;   in Loop: Header=BB2_2481 Depth=4
	v_bfe_u32 v31, v28, 16, 7
	v_cmp_ne_u32_e32 vcc, s85, v31
	v_mov_b32_e32 v5, 0x7f800001
	s_and_saveexec_b64 s[38:39], vcc
	s_cbranch_execz .LBB2_2901
; %bb.2900:                             ;   in Loop: Header=BB2_2481 Depth=4
	v_and_b32_e32 v5, 7, v30
	v_lshrrev_b32_e32 v53, 3, v31
	v_cmp_gt_u32_e32 vcc, 8, v31
	v_ffbh_u32_e32 v31, v5
	v_min_u32_e32 v54, 32, v31
	v_subrev_u32_e32 v31, 28, v54
	v_lshlrev_b64 v[30:31], v31, v[30:31]
	v_sub_u32_e32 v31, 29, v54
	v_and_b32_e32 v30, 7, v30
	v_cndmask_b32_e32 v5, v5, v30, vcc
	v_mov_b32_e32 v30, 24
	v_cndmask_b32_e32 v31, v53, v31, vcc
	v_lshlrev_b32_sdwa v30, v30, v28 dst_sel:DWORD dst_unused:UNUSED_PAD src0_sel:DWORD src1_sel:WORD_1
	v_lshlrev_b32_e32 v5, 20, v5
	v_and_b32_e32 v30, 0x80000000, v30
	v_lshl_add_u32 v31, v31, 23, v17
	v_or3_b32 v5, v30, v31, v5
.LBB2_2901:                             ;   in Loop: Header=BB2_2481 Depth=4
	s_or_b64 exec, exec, s[38:39]
.LBB2_2902:                             ;   in Loop: Header=BB2_2481 Depth=4
	s_or_b64 exec, exec, s[36:37]
.LBB2_2903:                             ;   in Loop: Header=BB2_2481 Depth=4
	s_or_b64 exec, exec, s[40:41]
	v_lshrrev_b32_e32 v30, 16, v8
	v_cmp_gt_i16_sdwa vcc, v30, s85 src0_sel:BYTE_0 src1_sel:DWORD
	s_mov_b64 s[40:41], 0
	s_and_saveexec_b64 s[36:37], vcc
	s_xor_b64 vcc, exec, s[36:37]
	s_cbranch_execz .LBB2_3273
; %bb.2904:                             ;   in Loop: Header=BB2_2481 Depth=4
	v_cmp_eq_u16_sdwa s[38:39], v30, s87 src0_sel:BYTE_0 src1_sel:DWORD
	s_mov_b64 s[40:41], -1
	s_and_saveexec_b64 s[36:37], s[38:39]
; %bb.2905:                             ;   in Loop: Header=BB2_2481 Depth=4
	s_xor_b64 s[40:41], exec, -1
; %bb.2906:                             ;   in Loop: Header=BB2_2481 Depth=4
	s_or_b64 exec, exec, s[36:37]
	s_and_b64 s[40:41], s[40:41], exec
	s_or_saveexec_b64 vcc, vcc
	v_bfrev_b32_e32 v31, 1
	s_xor_b64 exec, exec, vcc
	s_cbranch_execnz .LBB2_3274
.LBB2_2907:                             ;   in Loop: Header=BB2_2481 Depth=4
	s_or_b64 exec, exec, vcc
	s_and_saveexec_b64 s[36:37], s[40:41]
	s_cbranch_execz .LBB2_2909
.LBB2_2908:                             ;   in Loop: Header=BB2_2481 Depth=4
	v_and_b32_e32 v31, 7, v30
	v_ffbh_u32_e32 v53, v31
	v_min_u32_e32 v57, 32, v53
	v_subrev_u32_e32 v53, 28, v57
	v_lshlrev_b64 v[53:54], v53, v[30:31]
	v_and_b32_e32 v55, 0x7f, v30
	v_bfe_u32 v56, v30, 3, 4
	v_sub_u32_e32 v54, 29, v57
	v_and_b32_e32 v53, 7, v53
	v_cmp_gt_u32_e32 vcc, 8, v55
	v_cndmask_b32_e32 v54, v56, v54, vcc
	v_cndmask_b32_e32 v31, v31, v53, vcc
	v_lshlrev_b32_e32 v30, 24, v30
	v_lshlrev_b32_e32 v31, 20, v31
	v_and_b32_e32 v30, 0x80000000, v30
	v_lshl_add_u32 v53, v54, 23, v17
	v_or3_b32 v30, v30, v53, v31
	v_cmp_ne_u32_e32 vcc, s85, v55
	v_cndmask_b32_e32 v31, v4, v30, vcc
.LBB2_2909:                             ;   in Loop: Header=BB2_2481 Depth=4
	s_or_b64 exec, exec, s[36:37]
	v_add_f32_e32 v31, v5, v31
	v_and_b32_e32 v53, 0x7f800000, v31
	v_mov_b32_e32 v54, v29
	v_cmp_ne_u64_e32 vcc, s[76:77], v[53:54]
                                        ; implicit-def: $vgpr5
	s_and_saveexec_b64 s[40:41], vcc
	s_xor_b64 s[36:37], exec, s[40:41]
	s_cbranch_execz .LBB2_2923
; %bb.2910:                             ;   in Loop: Header=BB2_2481 Depth=4
	v_and_b32_e32 v53, 0x7fffffff, v31
	v_mov_b32_e32 v54, v29
	v_cmp_gt_u64_e32 vcc, s[78:79], v[53:54]
	v_and_b32_sdwa v30, v31, s87 dst_sel:DWORD dst_unused:UNUSED_PAD src0_sel:BYTE_3 src1_sel:DWORD
                                        ; implicit-def: $vgpr5
	s_and_saveexec_b64 s[40:41], vcc
	s_xor_b64 s[38:39], exec, s[40:41]
	s_cbranch_execz .LBB2_2920
; %bb.2911:                             ;   in Loop: Header=BB2_2481 Depth=4
	v_mov_b32_e32 v5, 0
	v_cmp_ne_u32_e32 vcc, 0, v31
	s_and_saveexec_b64 s[48:49], vcc
	s_cbranch_execz .LBB2_2919
; %bb.2912:                             ;   in Loop: Header=BB2_2481 Depth=4
	v_bfe_u32 v5, v31, 23, 8
	v_and_b32_e32 v53, 0x7fffff, v31
	v_cmp_gt_u32_e64 s[40:41], s96, v5
	v_sub_u32_e32 v31, 0x79, v5
	v_cmp_eq_u32_e32 vcc, 0, v5
	v_cndmask_b32_e64 v31, 0, v31, s[40:41]
	v_cndmask_b32_e32 v31, v31, v36, vcc
	v_add_u32_e32 v55, 20, v31
	v_or_b32_e32 v54, 0x800000, v53
	v_lshlrev_b64 v[55:56], v55, -1
	v_add_u32_e32 v57, 19, v31
	v_cndmask_b32_e32 v53, v54, v53, vcc
	v_lshlrev_b64 v[57:58], v57, 1
	v_mov_b32_e32 v54, v29
	v_bfi_b32 v56, v56, 0, 0
	v_bfi_b32 v55, v55, 0, v53
	v_cmp_eq_u64_e64 s[40:41], v[55:56], v[57:58]
	v_lshrrev_b64 v[56:57], v31, v[53:54]
	v_mov_b32_e32 v58, v57
	v_mov_b32_e32 v57, v56
	s_and_saveexec_b64 s[50:51], s[40:41]
; %bb.2913:                             ;   in Loop: Header=BB2_2481 Depth=4
	v_bfe_u32 v53, v56, 20, 1
	v_add_co_u32_e64 v53, s[40:41], v56, v53
	v_add_co_u32_e64 v57, s[40:41], -1, v53
; %bb.2914:                             ;   in Loop: Header=BB2_2481 Depth=4
	s_or_b64 exec, exec, s[50:51]
	v_add_u32_e32 v5, 0xffffff81, v5
	v_cndmask_b32_e32 v5, v5, v37, vcc
	v_lshrrev_b32_e32 v53, 23, v56
	v_add3_u32 v53, v31, v5, v53
	v_add_u32_e32 v31, 6, v53
	v_and_b32_e32 v5, 0xfffff, v57
	v_add_u32_e32 v56, v5, v56
	v_mov_b32_e32 v57, v29
	v_cmp_ne_u32_e32 vcc, 0, v31
                                        ; implicit-def: $vgpr5
	s_and_saveexec_b64 s[40:41], vcc
	s_xor_b64 s[40:41], exec, s[40:41]
; %bb.2915:                             ;   in Loop: Header=BB2_2481 Depth=4
	v_cmp_lt_u64_e32 vcc, s[88:89], v[56:57]
	v_add_u32_e32 v5, 7, v53
	v_cndmask_b32_e32 v5, v31, v5, vcc
	v_cndmask_b32_e64 v31, 0, 1, vcc
	v_lshrrev_b64 v[56:57], v31, v[56:57]
; %bb.2916:                             ;   in Loop: Header=BB2_2481 Depth=4
	s_andn2_saveexec_b64 s[40:41], s[40:41]
; %bb.2917:                             ;   in Loop: Header=BB2_2481 Depth=4
	v_bfe_u32 v5, v56, 23, 1
; %bb.2918:                             ;   in Loop: Header=BB2_2481 Depth=4
	s_or_b64 exec, exec, s[40:41]
	v_lshrrev_b64 v[53:54], 20, v[56:57]
	v_cmp_gt_i32_e32 vcc, 16, v5
	v_cndmask_b32_e32 v54, 0, v54, vcc
	v_cndmask_b32_e32 v53, 7, v53, vcc
	v_cmp_eq_u32_e32 vcc, 0, v5
	v_min_i32_e32 v5, 15, v5
	v_cmp_eq_u64_e64 s[40:41], 0, v[53:54]
	v_lshlrev_b32_e32 v5, 3, v5
	v_and_b32_e32 v5, 0xf8, v5
	v_and_or_b32 v5, v53, 7, v5
	s_and_b64 s[40:41], vcc, s[40:41]
	v_cndmask_b32_e64 v5, v5, 0, s[40:41]
	v_or_b32_e32 v5, v5, v30
.LBB2_2919:                             ;   in Loop: Header=BB2_2481 Depth=4
	s_or_b64 exec, exec, s[48:49]
                                        ; implicit-def: $vgpr30
.LBB2_2920:                             ;   in Loop: Header=BB2_2481 Depth=4
	s_andn2_saveexec_b64 s[40:41], s[38:39]
; %bb.2921:                             ;   in Loop: Header=BB2_2481 Depth=4
	v_or_b32_e32 v5, 0x7e, v30
; %bb.2922:                             ;   in Loop: Header=BB2_2481 Depth=4
	s_or_b64 exec, exec, s[40:41]
                                        ; implicit-def: $vgpr31
.LBB2_2923:                             ;   in Loop: Header=BB2_2481 Depth=4
	s_andn2_saveexec_b64 s[40:41], s[36:37]
; %bb.2924:                             ;   in Loop: Header=BB2_2481 Depth=4
	v_or_b32_sdwa v5, v31, s85 dst_sel:DWORD dst_unused:UNUSED_PAD src0_sel:BYTE_3 src1_sel:DWORD
; %bb.2925:                             ;   in Loop: Header=BB2_2481 Depth=4
	s_or_b64 exec, exec, s[40:41]
	v_cmp_lt_u32_e32 vcc, s57, v28
	v_mov_b32_e32 v31, 0
	s_and_saveexec_b64 s[40:41], vcc
	s_cbranch_execz .LBB2_2931
; %bb.2926:                             ;   in Loop: Header=BB2_2481 Depth=4
	v_lshrrev_b32_e32 v30, 24, v28
	v_cmp_ne_u32_e32 vcc, s87, v30
	v_bfrev_b32_e32 v31, 1
	s_and_saveexec_b64 s[36:37], vcc
	s_cbranch_execz .LBB2_2930
; %bb.2927:                             ;   in Loop: Header=BB2_2481 Depth=4
	v_bfe_u32 v28, v28, 24, 7
	v_cmp_ne_u32_e32 vcc, s85, v28
	v_mov_b32_e32 v31, 0x7f800001
	s_and_saveexec_b64 s[38:39], vcc
	s_cbranch_execz .LBB2_2929
; %bb.2928:                             ;   in Loop: Header=BB2_2481 Depth=4
	v_and_b32_e32 v31, 7, v30
	v_lshrrev_b32_e32 v55, 3, v28
	v_cmp_gt_u32_e32 vcc, 8, v28
	v_ffbh_u32_e32 v28, v31
	v_min_u32_e32 v28, 32, v28
	v_subrev_u32_e32 v53, 28, v28
	v_lshlrev_b64 v[53:54], v53, v[30:31]
	v_sub_u32_e32 v28, 29, v28
	v_and_b32_e32 v53, 7, v53
	v_cndmask_b32_e32 v28, v55, v28, vcc
	v_cndmask_b32_e32 v31, v31, v53, vcc
	v_lshlrev_b32_e32 v30, 24, v30
	v_lshlrev_b32_e32 v31, 20, v31
	v_and_b32_e32 v30, 0x80000000, v30
	v_lshl_add_u32 v28, v28, 23, v17
	v_or3_b32 v31, v30, v28, v31
.LBB2_2929:                             ;   in Loop: Header=BB2_2481 Depth=4
	s_or_b64 exec, exec, s[38:39]
.LBB2_2930:                             ;   in Loop: Header=BB2_2481 Depth=4
	s_or_b64 exec, exec, s[36:37]
.LBB2_2931:                             ;   in Loop: Header=BB2_2481 Depth=4
	s_or_b64 exec, exec, s[40:41]
	v_bfe_u32 v30, v8, 24, 3
	v_ffbh_u32_e32 v53, v30
	v_min_u32_e32 v57, 32, v53
	v_lshrrev_b32_e32 v28, 24, v8
	v_subrev_u32_e32 v53, 28, v57
	v_lshlrev_b64 v[53:54], v53, v[28:29]
	v_bfe_u32 v55, v8, 24, 7
	v_bfe_u32 v56, v28, 3, 4
	v_sub_u32_e32 v54, 29, v57
	v_and_b32_e32 v53, 7, v53
	v_cmp_gt_u32_e32 vcc, 8, v55
	v_cndmask_b32_e32 v54, v56, v54, vcc
	v_cndmask_b32_e32 v30, v30, v53, vcc
	v_lshlrev_b32_e32 v30, 20, v30
	v_and_b32_e32 v53, 0x80000000, v8
	v_lshl_add_u32 v54, v54, 23, v17
	v_or3_b32 v30, v53, v54, v30
	v_cmp_ne_u32_e32 vcc, s85, v55
	v_cndmask_b32_e32 v30, v4, v30, vcc
	v_cmp_ne_u32_e32 vcc, s87, v28
	v_bfrev_b32_e32 v28, 1
	v_cndmask_b32_e32 v28, v28, v30, vcc
	v_cmp_lt_u32_e32 vcc, s57, v8
	v_cndmask_b32_e32 v28, 0, v28, vcc
	v_add_f32_e32 v53, v28, v31
	v_and_b32_e32 v28, 0x7f800000, v53
	v_cmp_ne_u64_e32 vcc, s[76:77], v[28:29]
                                        ; implicit-def: $vgpr31
	s_and_saveexec_b64 s[40:41], vcc
	s_xor_b64 s[36:37], exec, s[40:41]
	s_cbranch_execz .LBB2_2945
; %bb.2932:                             ;   in Loop: Header=BB2_2481 Depth=4
	v_and_b32_e32 v28, 0x7fffffff, v53
	v_cmp_gt_u64_e32 vcc, s[78:79], v[28:29]
	v_and_b32_sdwa v30, v53, s87 dst_sel:DWORD dst_unused:UNUSED_PAD src0_sel:BYTE_3 src1_sel:DWORD
                                        ; implicit-def: $vgpr31
	s_and_saveexec_b64 s[40:41], vcc
	s_xor_b64 s[38:39], exec, s[40:41]
	s_cbranch_execz .LBB2_2942
; %bb.2933:                             ;   in Loop: Header=BB2_2481 Depth=4
	v_mov_b32_e32 v31, 0
	v_cmp_ne_u32_e32 vcc, 0, v53
	s_and_saveexec_b64 s[48:49], vcc
	s_cbranch_execz .LBB2_2941
; %bb.2934:                             ;   in Loop: Header=BB2_2481 Depth=4
	v_bfe_u32 v31, v53, 23, 8
	v_and_b32_e32 v28, 0x7fffff, v53
	v_cmp_gt_u32_e64 s[40:41], s96, v31
	v_sub_u32_e32 v53, 0x79, v31
	v_cmp_eq_u32_e32 vcc, 0, v31
	v_cndmask_b32_e64 v53, 0, v53, s[40:41]
	v_or_b32_e32 v54, 0x800000, v28
	v_cndmask_b32_e32 v53, v53, v36, vcc
	v_cndmask_b32_e32 v28, v54, v28, vcc
	v_add_u32_e32 v54, 20, v53
	v_lshlrev_b64 v[54:55], v54, -1
	v_add_u32_e32 v56, 19, v53
	v_lshlrev_b64 v[56:57], v56, 1
	v_bfi_b32 v55, v55, 0, 0
	v_bfi_b32 v54, v54, 0, v28
	v_cmp_eq_u64_e64 s[40:41], v[54:55], v[56:57]
	v_lshrrev_b64 v[56:57], v53, v[28:29]
	v_mov_b32_e32 v58, v57
	v_mov_b32_e32 v57, v56
	s_and_saveexec_b64 s[50:51], s[40:41]
; %bb.2935:                             ;   in Loop: Header=BB2_2481 Depth=4
	v_bfe_u32 v28, v56, 20, 1
	v_add_co_u32_e64 v28, s[40:41], v56, v28
	v_add_co_u32_e64 v57, s[40:41], -1, v28
; %bb.2936:                             ;   in Loop: Header=BB2_2481 Depth=4
	s_or_b64 exec, exec, s[50:51]
	v_add_u32_e32 v28, 0xffffff81, v31
	v_cndmask_b32_e32 v28, v28, v37, vcc
	v_lshrrev_b32_e32 v31, 23, v56
	v_add3_u32 v58, v53, v28, v31
	v_add_u32_e32 v53, 6, v58
	v_and_b32_e32 v28, 0xfffff, v57
	v_add_u32_e32 v28, v28, v56
	v_cmp_ne_u32_e32 vcc, 0, v53
                                        ; implicit-def: $vgpr56_vgpr57
                                        ; implicit-def: $vgpr31
	s_and_saveexec_b64 s[40:41], vcc
	s_xor_b64 s[40:41], exec, s[40:41]
; %bb.2937:                             ;   in Loop: Header=BB2_2481 Depth=4
	v_cmp_lt_u64_e32 vcc, s[88:89], v[28:29]
	v_add_u32_e32 v31, 7, v58
	v_cndmask_b32_e32 v31, v53, v31, vcc
	v_cndmask_b32_e64 v53, 0, 1, vcc
	v_lshrrev_b64 v[56:57], v53, v[28:29]
; %bb.2938:                             ;   in Loop: Header=BB2_2481 Depth=4
	s_andn2_saveexec_b64 s[40:41], s[40:41]
; %bb.2939:                             ;   in Loop: Header=BB2_2481 Depth=4
	v_mov_b32_e32 v57, v29
	v_bfe_u32 v31, v28, 23, 1
	v_mov_b32_e32 v56, v28
; %bb.2940:                             ;   in Loop: Header=BB2_2481 Depth=4
	s_or_b64 exec, exec, s[40:41]
	v_lshrrev_b64 v[53:54], 20, v[56:57]
	v_cmp_gt_i32_e32 vcc, 16, v31
	v_cndmask_b32_e32 v54, 0, v54, vcc
	v_cndmask_b32_e32 v53, 7, v53, vcc
	v_min_i32_e32 v28, 15, v31
	v_cmp_eq_u64_e64 s[40:41], 0, v[53:54]
	v_lshlrev_b32_e32 v28, 3, v28
	v_cmp_eq_u32_e32 vcc, 0, v31
	v_and_b32_e32 v28, 0xf8, v28
	v_and_or_b32 v28, v53, 7, v28
	s_and_b64 s[40:41], vcc, s[40:41]
	v_cndmask_b32_e64 v28, v28, 0, s[40:41]
	v_or_b32_e32 v31, v28, v30
.LBB2_2941:                             ;   in Loop: Header=BB2_2481 Depth=4
	s_or_b64 exec, exec, s[48:49]
                                        ; implicit-def: $vgpr30
.LBB2_2942:                             ;   in Loop: Header=BB2_2481 Depth=4
	s_andn2_saveexec_b64 s[40:41], s[38:39]
; %bb.2943:                             ;   in Loop: Header=BB2_2481 Depth=4
	v_or_b32_e32 v31, 0x7e, v30
; %bb.2944:                             ;   in Loop: Header=BB2_2481 Depth=4
	s_or_b64 exec, exec, s[40:41]
                                        ; implicit-def: $vgpr53
.LBB2_2945:                             ;   in Loop: Header=BB2_2481 Depth=4
	s_andn2_saveexec_b64 s[40:41], s[36:37]
; %bb.2946:                             ;   in Loop: Header=BB2_2481 Depth=4
	v_or_b32_sdwa v31, v53, s85 dst_sel:DWORD dst_unused:UNUSED_PAD src0_sel:BYTE_3 src1_sel:DWORD
; %bb.2947:                             ;   in Loop: Header=BB2_2481 Depth=4
	s_or_b64 exec, exec, s[40:41]
	v_lshl_or_b32 v53, v22, 8, v59
	v_lshlrev_b32_e32 v22, 16, v33
	v_lshlrev_b32_e32 v28, 24, v52
	v_or3_b32 v28, v22, v28, v53
	v_cmp_ne_u32_e32 vcc, 0, v59
	v_mov_b32_e32 v22, 0
	s_and_saveexec_b64 s[40:41], vcc
	s_cbranch_execz .LBB2_2953
; %bb.2948:                             ;   in Loop: Header=BB2_2481 Depth=4
	v_cmp_ne_u32_e32 vcc, s87, v59
	v_bfrev_b32_e32 v22, 1
	s_and_saveexec_b64 s[36:37], vcc
	s_cbranch_execz .LBB2_2952
; %bb.2949:                             ;   in Loop: Header=BB2_2481 Depth=4
	v_and_b32_e32 v30, 0x7f, v59
	v_cmp_ne_u32_e32 vcc, s85, v30
	v_mov_b32_e32 v22, 0x7f800001
	s_and_saveexec_b64 s[38:39], vcc
	s_cbranch_execz .LBB2_2951
; %bb.2950:                             ;   in Loop: Header=BB2_2481 Depth=4
	v_and_b32_e32 v22, 7, v59
	v_ffbh_u32_e32 v22, v22
	v_min_u32_e32 v22, 32, v22
	v_lshrrev_b32_e32 v33, 3, v30
	v_cmp_gt_u32_e32 vcc, 8, v30
	v_subrev_u32_e32 v30, 28, v22
	v_cndmask_b32_e32 v30, 0, v30, vcc
	v_lshlrev_b64 v[54:55], v30, v[28:29]
	v_sub_u32_e32 v22, 29, v22
	v_cndmask_b32_e32 v22, v33, v22, vcc
	v_lshlrev_b32_e32 v30, 20, v54
	v_lshlrev_b32_e32 v33, 24, v28
	v_and_b32_e32 v30, 0x700000, v30
	v_and_b32_e32 v33, 0x80000000, v33
	v_lshl_add_u32 v22, v22, 23, v17
	v_or3_b32 v22, v33, v22, v30
.LBB2_2951:                             ;   in Loop: Header=BB2_2481 Depth=4
	s_or_b64 exec, exec, s[38:39]
.LBB2_2952:                             ;   in Loop: Header=BB2_2481 Depth=4
	s_or_b64 exec, exec, s[36:37]
.LBB2_2953:                             ;   in Loop: Header=BB2_2481 Depth=4
	s_or_b64 exec, exec, s[40:41]
	v_cmp_gt_i16_sdwa vcc, v9, s85 src0_sel:BYTE_0 src1_sel:DWORD
	s_mov_b64 s[40:41], 0
	s_and_saveexec_b64 s[36:37], vcc
	s_xor_b64 vcc, exec, s[36:37]
	s_cbranch_execz .LBB2_2957
; %bb.2954:                             ;   in Loop: Header=BB2_2481 Depth=4
	v_cmp_eq_u16_sdwa s[38:39], v9, s87 src0_sel:BYTE_0 src1_sel:DWORD
	s_mov_b64 s[40:41], -1
	s_and_saveexec_b64 s[36:37], s[38:39]
; %bb.2955:                             ;   in Loop: Header=BB2_2481 Depth=4
	s_xor_b64 s[40:41], exec, -1
; %bb.2956:                             ;   in Loop: Header=BB2_2481 Depth=4
	s_or_b64 exec, exec, s[36:37]
	s_and_b64 s[40:41], s[40:41], exec
.LBB2_2957:                             ;   in Loop: Header=BB2_2481 Depth=4
	s_or_saveexec_b64 vcc, vcc
	v_bfrev_b32_e32 v30, 1
	s_xor_b64 exec, exec, vcc
; %bb.2958:                             ;   in Loop: Header=BB2_2481 Depth=4
	v_cmp_ne_u16_sdwa s[36:37], v9, v29 src0_sel:BYTE_0 src1_sel:DWORD
	s_andn2_b64 s[40:41], s[40:41], exec
	s_and_b64 s[36:37], s[36:37], exec
	v_mov_b32_e32 v30, 0
	s_or_b64 s[40:41], s[40:41], s[36:37]
; %bb.2959:                             ;   in Loop: Header=BB2_2481 Depth=4
	s_or_b64 exec, exec, vcc
	v_mov_b32_e32 v56, v9
	v_mov_b32_e32 v57, v29
	s_and_saveexec_b64 s[36:37], s[40:41]
	s_cbranch_execz .LBB2_2961
; %bb.2960:                             ;   in Loop: Header=BB2_2481 Depth=4
	v_and_b32_e32 v30, 7, v9
	v_ffbh_u32_e32 v30, v30
	v_and_b32_e32 v33, 0x7f, v9
	v_min_u32_e32 v30, 32, v30
	v_bfe_u32 v52, v9, 3, 4
	v_subrev_u32_e32 v54, 28, v30
	v_sub_u32_e32 v30, 29, v30
	v_cmp_gt_u32_e32 vcc, 8, v33
	v_cndmask_b32_e32 v30, v52, v30, vcc
	v_cndmask_b32_e32 v52, 0, v54, vcc
	v_lshlrev_b64 v[54:55], v52, v[56:57]
	v_lshl_add_u32 v30, v30, 23, v17
	v_lshlrev_b32_e32 v52, 20, v54
	v_lshlrev_b32_e32 v54, 24, v56
	v_and_b32_e32 v52, 0x700000, v52
	v_and_b32_e32 v54, 0x80000000, v54
	v_or3_b32 v30, v54, v30, v52
	v_cmp_ne_u32_e32 vcc, s85, v33
	v_cndmask_b32_e32 v30, v4, v30, vcc
.LBB2_2961:                             ;   in Loop: Header=BB2_2481 Depth=4
	s_or_b64 exec, exec, s[36:37]
	v_add_f32_e32 v33, v22, v30
	v_and_b32_e32 v54, 0x7f800000, v33
	v_mov_b32_e32 v55, v29
	v_cmp_ne_u64_e32 vcc, s[76:77], v[54:55]
                                        ; implicit-def: $vgpr22
	s_and_saveexec_b64 s[40:41], vcc
	s_xor_b64 s[36:37], exec, s[40:41]
	s_cbranch_execz .LBB2_2975
; %bb.2962:                             ;   in Loop: Header=BB2_2481 Depth=4
	v_and_b32_e32 v54, 0x7fffffff, v33
	v_mov_b32_e32 v55, v29
	v_cmp_gt_u64_e32 vcc, s[78:79], v[54:55]
	v_and_b32_sdwa v30, v33, s87 dst_sel:DWORD dst_unused:UNUSED_PAD src0_sel:BYTE_3 src1_sel:DWORD
                                        ; implicit-def: $vgpr22
	s_and_saveexec_b64 s[40:41], vcc
	s_xor_b64 s[38:39], exec, s[40:41]
	s_cbranch_execz .LBB2_2972
; %bb.2963:                             ;   in Loop: Header=BB2_2481 Depth=4
	v_mov_b32_e32 v22, 0
	v_cmp_ne_u32_e32 vcc, 0, v33
	s_and_saveexec_b64 s[48:49], vcc
	s_cbranch_execz .LBB2_2971
; %bb.2964:                             ;   in Loop: Header=BB2_2481 Depth=4
	v_bfe_u32 v22, v33, 23, 8
	v_and_b32_e32 v52, 0x7fffff, v33
	v_cmp_gt_u32_e64 s[40:41], s96, v22
	v_sub_u32_e32 v33, 0x79, v22
	v_cmp_eq_u32_e32 vcc, 0, v22
	v_cndmask_b32_e64 v33, 0, v33, s[40:41]
	v_or_b32_e32 v54, 0x800000, v52
	v_cndmask_b32_e32 v33, v33, v36, vcc
	v_cndmask_b32_e32 v54, v54, v52, vcc
	v_add_u32_e32 v52, 20, v33
	v_lshlrev_b64 v[57:58], v52, -1
	v_add_u32_e32 v52, 19, v33
	v_lshlrev_b64 v[59:60], v52, 1
	v_mov_b32_e32 v55, v29
	v_bfi_b32 v58, v58, 0, 0
	v_bfi_b32 v57, v57, 0, v54
	v_cmp_eq_u64_e64 s[40:41], v[57:58], v[59:60]
	v_lshrrev_b64 v[57:58], v33, v[54:55]
	v_mov_b32_e32 v59, v58
	v_mov_b32_e32 v58, v57
	s_and_saveexec_b64 s[50:51], s[40:41]
; %bb.2965:                             ;   in Loop: Header=BB2_2481 Depth=4
	v_bfe_u32 v52, v57, 20, 1
	v_add_co_u32_e64 v52, s[40:41], v57, v52
	v_add_co_u32_e64 v58, s[40:41], -1, v52
; %bb.2966:                             ;   in Loop: Header=BB2_2481 Depth=4
	s_or_b64 exec, exec, s[50:51]
	v_add_u32_e32 v22, 0xffffff81, v22
	v_cndmask_b32_e32 v22, v22, v37, vcc
	v_lshrrev_b32_e32 v52, 23, v57
	v_add3_u32 v52, v33, v22, v52
	v_add_u32_e32 v33, 6, v52
	v_and_b32_e32 v22, 0xfffff, v58
	v_add_u32_e32 v57, v22, v57
	v_mov_b32_e32 v58, v29
	v_cmp_ne_u32_e32 vcc, 0, v33
                                        ; implicit-def: $vgpr22
	s_and_saveexec_b64 s[40:41], vcc
	s_xor_b64 s[40:41], exec, s[40:41]
; %bb.2967:                             ;   in Loop: Header=BB2_2481 Depth=4
	v_cmp_lt_u64_e32 vcc, s[88:89], v[57:58]
	v_add_u32_e32 v22, 7, v52
	v_cndmask_b32_e32 v22, v33, v22, vcc
	v_cndmask_b32_e64 v33, 0, 1, vcc
	v_lshrrev_b64 v[57:58], v33, v[57:58]
; %bb.2968:                             ;   in Loop: Header=BB2_2481 Depth=4
	s_andn2_saveexec_b64 s[40:41], s[40:41]
; %bb.2969:                             ;   in Loop: Header=BB2_2481 Depth=4
	v_bfe_u32 v22, v57, 23, 1
; %bb.2970:                             ;   in Loop: Header=BB2_2481 Depth=4
	s_or_b64 exec, exec, s[40:41]
	v_lshrrev_b64 v[54:55], 20, v[57:58]
	v_cmp_gt_i32_e32 vcc, 16, v22
	v_cndmask_b32_e32 v55, 0, v55, vcc
	v_cndmask_b32_e32 v54, 7, v54, vcc
	v_cmp_eq_u32_e32 vcc, 0, v22
	v_min_i32_e32 v22, 15, v22
	v_cmp_eq_u64_e64 s[40:41], 0, v[54:55]
	v_lshlrev_b32_e32 v22, 3, v22
	v_and_b32_e32 v22, 0xf8, v22
	v_and_or_b32 v22, v54, 7, v22
	s_and_b64 s[40:41], vcc, s[40:41]
	v_cndmask_b32_e64 v22, v22, 0, s[40:41]
	v_or_b32_e32 v22, v22, v30
.LBB2_2971:                             ;   in Loop: Header=BB2_2481 Depth=4
	s_or_b64 exec, exec, s[48:49]
                                        ; implicit-def: $vgpr30
.LBB2_2972:                             ;   in Loop: Header=BB2_2481 Depth=4
	s_andn2_saveexec_b64 s[40:41], s[38:39]
; %bb.2973:                             ;   in Loop: Header=BB2_2481 Depth=4
	v_or_b32_e32 v22, 0x7e, v30
; %bb.2974:                             ;   in Loop: Header=BB2_2481 Depth=4
	s_or_b64 exec, exec, s[40:41]
                                        ; implicit-def: $vgpr33
.LBB2_2975:                             ;   in Loop: Header=BB2_2481 Depth=4
	s_andn2_saveexec_b64 s[40:41], s[36:37]
; %bb.2976:                             ;   in Loop: Header=BB2_2481 Depth=4
	v_or_b32_sdwa v22, v33, s85 dst_sel:DWORD dst_unused:UNUSED_PAD src0_sel:BYTE_3 src1_sel:DWORD
; %bb.2977:                             ;   in Loop: Header=BB2_2481 Depth=4
	s_or_b64 exec, exec, s[40:41]
	v_lshrrev_b16_e32 v30, 8, v53
	v_cmp_ne_u16_e32 vcc, 0, v30
	v_mov_b32_e32 v33, 0
	s_and_saveexec_b64 s[40:41], vcc
	s_cbranch_execz .LBB2_2983
; %bb.2978:                             ;   in Loop: Header=BB2_2481 Depth=4
	v_cmp_ne_u16_e32 vcc, s87, v30
	v_bfrev_b32_e32 v33, 1
	s_and_saveexec_b64 s[36:37], vcc
	s_cbranch_execz .LBB2_2982
; %bb.2979:                             ;   in Loop: Header=BB2_2481 Depth=4
	v_and_b32_e32 v52, 0x7f, v30
	v_cmp_ne_u32_e32 vcc, s85, v52
	v_mov_b32_e32 v33, 0x7f800001
	s_and_saveexec_b64 s[38:39], vcc
	s_cbranch_execz .LBB2_2981
; %bb.2980:                             ;   in Loop: Header=BB2_2481 Depth=4
	v_and_b32_e32 v33, 7, v30
	v_lshrrev_b32_e32 v57, 3, v52
	v_cmp_gt_u32_e32 vcc, 8, v52
	v_ffbh_u32_e32 v52, v33
	v_min_u32_e32 v52, 32, v52
	v_subrev_u32_e32 v54, 28, v52
	v_lshlrev_b64 v[54:55], v54, v[30:31]
	v_sub_u32_e32 v30, 29, v52
	v_and_b32_e32 v52, 7, v54
	v_cndmask_b32_e32 v30, v57, v30, vcc
	v_cndmask_b32_e32 v33, v33, v52, vcc
	v_lshlrev_b32_e32 v52, 16, v53
	v_lshlrev_b32_e32 v33, 20, v33
	v_and_b32_e32 v52, 0x80000000, v52
	v_lshl_add_u32 v30, v30, 23, v17
	v_or3_b32 v33, v52, v30, v33
.LBB2_2981:                             ;   in Loop: Header=BB2_2481 Depth=4
	s_or_b64 exec, exec, s[38:39]
.LBB2_2982:                             ;   in Loop: Header=BB2_2481 Depth=4
	s_or_b64 exec, exec, s[36:37]
.LBB2_2983:                             ;   in Loop: Header=BB2_2481 Depth=4
	s_or_b64 exec, exec, s[40:41]
	v_lshrrev_b16_e32 v56, 8, v56
	v_cmp_lt_i16_e32 vcc, s85, v56
	s_mov_b64 s[40:41], 0
	s_and_saveexec_b64 s[36:37], vcc
	s_xor_b64 s[36:37], exec, s[36:37]
	s_cbranch_execz .LBB2_3275
; %bb.2984:                             ;   in Loop: Header=BB2_2481 Depth=4
	v_cmp_eq_u16_e32 vcc, s87, v56
	s_mov_b64 s[40:41], -1
	s_and_saveexec_b64 s[38:39], vcc
; %bb.2985:                             ;   in Loop: Header=BB2_2481 Depth=4
	s_xor_b64 s[40:41], exec, -1
; %bb.2986:                             ;   in Loop: Header=BB2_2481 Depth=4
	s_or_b64 exec, exec, s[38:39]
	s_and_b64 s[40:41], s[40:41], exec
	s_or_saveexec_b64 s[36:37], s[36:37]
	v_bfrev_b32_e32 v30, 1
	s_xor_b64 exec, exec, s[36:37]
	s_cbranch_execnz .LBB2_3276
.LBB2_2987:                             ;   in Loop: Header=BB2_2481 Depth=4
	s_or_b64 exec, exec, s[36:37]
	s_and_saveexec_b64 s[36:37], s[40:41]
	s_cbranch_execz .LBB2_2989
.LBB2_2988:                             ;   in Loop: Header=BB2_2481 Depth=4
	v_and_b32_e32 v30, 7, v56
	v_ffbh_u32_e32 v52, v30
	v_min_u32_e32 v58, 32, v52
	v_mov_b32_e32 v57, v29
	v_subrev_u32_e32 v52, 28, v58
	v_lshlrev_b64 v[52:53], v52, v[56:57]
	v_and_b32_e32 v54, 0x7f, v56
	v_bfe_u32 v55, v56, 3, 4
	v_sub_u32_e32 v53, 29, v58
	v_and_b32_e32 v52, 7, v52
	v_cmp_gt_u32_e32 vcc, 8, v54
	v_cndmask_b32_e32 v53, v55, v53, vcc
	v_cndmask_b32_e32 v30, v30, v52, vcc
	v_lshlrev_b32_e32 v52, 24, v56
	v_lshlrev_b32_e32 v30, 20, v30
	v_and_b32_e32 v52, 0x80000000, v52
	v_lshl_add_u32 v53, v53, 23, v17
	v_or3_b32 v30, v52, v53, v30
	v_cmp_ne_u32_e32 vcc, s85, v54
	v_cndmask_b32_e32 v30, v4, v30, vcc
.LBB2_2989:                             ;   in Loop: Header=BB2_2481 Depth=4
	s_or_b64 exec, exec, s[36:37]
	v_add_f32_e32 v52, v33, v30
	v_and_b32_e32 v53, 0x7f800000, v52
	v_mov_b32_e32 v54, v29
	v_cmp_ne_u64_e32 vcc, s[76:77], v[53:54]
                                        ; implicit-def: $vgpr33
	s_and_saveexec_b64 s[40:41], vcc
	s_xor_b64 s[36:37], exec, s[40:41]
	s_cbranch_execz .LBB2_3003
; %bb.2990:                             ;   in Loop: Header=BB2_2481 Depth=4
	v_and_b32_e32 v53, 0x7fffffff, v52
	v_mov_b32_e32 v54, v29
	v_cmp_gt_u64_e32 vcc, s[78:79], v[53:54]
	v_and_b32_sdwa v30, v52, s87 dst_sel:DWORD dst_unused:UNUSED_PAD src0_sel:BYTE_3 src1_sel:DWORD
                                        ; implicit-def: $vgpr33
	s_and_saveexec_b64 s[40:41], vcc
	s_xor_b64 s[38:39], exec, s[40:41]
	s_cbranch_execz .LBB2_3000
; %bb.2991:                             ;   in Loop: Header=BB2_2481 Depth=4
	v_mov_b32_e32 v33, 0
	v_cmp_ne_u32_e32 vcc, 0, v52
	s_and_saveexec_b64 s[48:49], vcc
	s_cbranch_execz .LBB2_2999
; %bb.2992:                             ;   in Loop: Header=BB2_2481 Depth=4
	v_bfe_u32 v33, v52, 23, 8
	v_and_b32_e32 v53, 0x7fffff, v52
	v_cmp_gt_u32_e64 s[40:41], s96, v33
	v_sub_u32_e32 v52, 0x79, v33
	v_cmp_eq_u32_e32 vcc, 0, v33
	v_cndmask_b32_e64 v52, 0, v52, s[40:41]
	v_cndmask_b32_e32 v52, v52, v36, vcc
	v_add_u32_e32 v55, 20, v52
	v_or_b32_e32 v54, 0x800000, v53
	v_lshlrev_b64 v[55:56], v55, -1
	v_add_u32_e32 v57, 19, v52
	v_cndmask_b32_e32 v53, v54, v53, vcc
	v_lshlrev_b64 v[57:58], v57, 1
	v_mov_b32_e32 v54, v29
	v_bfi_b32 v56, v56, 0, 0
	v_bfi_b32 v55, v55, 0, v53
	v_cmp_eq_u64_e64 s[40:41], v[55:56], v[57:58]
	v_lshrrev_b64 v[56:57], v52, v[53:54]
	v_mov_b32_e32 v58, v57
	v_mov_b32_e32 v57, v56
	s_and_saveexec_b64 s[50:51], s[40:41]
; %bb.2993:                             ;   in Loop: Header=BB2_2481 Depth=4
	v_bfe_u32 v53, v56, 20, 1
	v_add_co_u32_e64 v53, s[40:41], v56, v53
	v_add_co_u32_e64 v57, s[40:41], -1, v53
; %bb.2994:                             ;   in Loop: Header=BB2_2481 Depth=4
	s_or_b64 exec, exec, s[50:51]
	v_add_u32_e32 v33, 0xffffff81, v33
	v_cndmask_b32_e32 v33, v33, v37, vcc
	v_lshrrev_b32_e32 v53, 23, v56
	v_add3_u32 v53, v52, v33, v53
	v_add_u32_e32 v52, 6, v53
	v_and_b32_e32 v33, 0xfffff, v57
	v_add_u32_e32 v56, v33, v56
	v_mov_b32_e32 v57, v29
	v_cmp_ne_u32_e32 vcc, 0, v52
                                        ; implicit-def: $vgpr33
	s_and_saveexec_b64 s[40:41], vcc
	s_xor_b64 s[40:41], exec, s[40:41]
; %bb.2995:                             ;   in Loop: Header=BB2_2481 Depth=4
	v_cmp_lt_u64_e32 vcc, s[88:89], v[56:57]
	v_add_u32_e32 v33, 7, v53
	v_cndmask_b32_e32 v33, v52, v33, vcc
	v_cndmask_b32_e64 v52, 0, 1, vcc
	v_lshrrev_b64 v[56:57], v52, v[56:57]
; %bb.2996:                             ;   in Loop: Header=BB2_2481 Depth=4
	s_andn2_saveexec_b64 s[40:41], s[40:41]
; %bb.2997:                             ;   in Loop: Header=BB2_2481 Depth=4
	v_bfe_u32 v33, v56, 23, 1
; %bb.2998:                             ;   in Loop: Header=BB2_2481 Depth=4
	s_or_b64 exec, exec, s[40:41]
	v_lshrrev_b64 v[52:53], 20, v[56:57]
	v_cmp_gt_i32_e32 vcc, 16, v33
	v_cndmask_b32_e32 v53, 0, v53, vcc
	v_cndmask_b32_e32 v52, 7, v52, vcc
	v_cmp_eq_u32_e32 vcc, 0, v33
	v_min_i32_e32 v33, 15, v33
	v_cmp_eq_u64_e64 s[40:41], 0, v[52:53]
	v_lshlrev_b32_e32 v33, 3, v33
	v_and_b32_e32 v33, 0xf8, v33
	v_and_or_b32 v33, v52, 7, v33
	s_and_b64 s[40:41], vcc, s[40:41]
	v_cndmask_b32_e64 v33, v33, 0, s[40:41]
	v_or_b32_e32 v33, v33, v30
.LBB2_2999:                             ;   in Loop: Header=BB2_2481 Depth=4
	s_or_b64 exec, exec, s[48:49]
                                        ; implicit-def: $vgpr30
.LBB2_3000:                             ;   in Loop: Header=BB2_2481 Depth=4
	s_andn2_saveexec_b64 s[40:41], s[38:39]
; %bb.3001:                             ;   in Loop: Header=BB2_2481 Depth=4
	v_or_b32_e32 v33, 0x7e, v30
; %bb.3002:                             ;   in Loop: Header=BB2_2481 Depth=4
	s_or_b64 exec, exec, s[40:41]
                                        ; implicit-def: $vgpr52
.LBB2_3003:                             ;   in Loop: Header=BB2_2481 Depth=4
	s_andn2_saveexec_b64 s[40:41], s[36:37]
; %bb.3004:                             ;   in Loop: Header=BB2_2481 Depth=4
	v_or_b32_sdwa v33, v52, s85 dst_sel:DWORD dst_unused:UNUSED_PAD src0_sel:BYTE_3 src1_sel:DWORD
; %bb.3005:                             ;   in Loop: Header=BB2_2481 Depth=4
	s_or_b64 exec, exec, s[40:41]
	v_lshrrev_b32_e32 v30, 16, v28
	v_cmp_ne_u16_sdwa vcc, v30, v29 src0_sel:BYTE_0 src1_sel:DWORD
	v_mov_b32_e32 v52, 0
	s_and_saveexec_b64 s[40:41], vcc
	s_cbranch_execz .LBB2_3011
; %bb.3006:                             ;   in Loop: Header=BB2_2481 Depth=4
	v_cmp_ne_u16_sdwa vcc, v30, s87 src0_sel:BYTE_0 src1_sel:DWORD
	v_bfrev_b32_e32 v52, 1
	s_and_saveexec_b64 s[36:37], vcc
	s_cbranch_execz .LBB2_3010
; %bb.3007:                             ;   in Loop: Header=BB2_2481 Depth=4
	v_bfe_u32 v53, v28, 16, 7
	v_cmp_ne_u32_e32 vcc, s85, v53
	v_mov_b32_e32 v52, 0x7f800001
	s_and_saveexec_b64 s[38:39], vcc
	s_cbranch_execz .LBB2_3009
; %bb.3008:                             ;   in Loop: Header=BB2_2481 Depth=4
	v_and_b32_e32 v54, 7, v30
	v_ffbh_u32_e32 v52, v54
	v_min_u32_e32 v56, 32, v52
	v_subrev_u32_e32 v52, 28, v56
	v_lshrrev_b32_e32 v55, 3, v53
	v_cmp_gt_u32_e32 vcc, 8, v53
	v_lshlrev_b64 v[52:53], v52, v[30:31]
	v_sub_u32_e32 v53, 29, v56
	v_and_b32_e32 v52, 7, v52
	v_cndmask_b32_e32 v53, v55, v53, vcc
	v_cndmask_b32_e32 v52, v54, v52, vcc
	v_lshlrev_b32_e32 v30, 24, v30
	v_lshlrev_b32_e32 v52, 20, v52
	v_and_b32_e32 v30, 0x80000000, v30
	v_lshl_add_u32 v53, v53, 23, v17
	v_or3_b32 v52, v30, v53, v52
.LBB2_3009:                             ;   in Loop: Header=BB2_2481 Depth=4
	s_or_b64 exec, exec, s[38:39]
.LBB2_3010:                             ;   in Loop: Header=BB2_2481 Depth=4
	s_or_b64 exec, exec, s[36:37]
.LBB2_3011:                             ;   in Loop: Header=BB2_2481 Depth=4
	s_or_b64 exec, exec, s[40:41]
	v_lshrrev_b32_e32 v30, 16, v9
	v_cmp_gt_i16_sdwa vcc, v30, s85 src0_sel:BYTE_0 src1_sel:DWORD
	s_mov_b64 s[40:41], 0
	s_and_saveexec_b64 s[36:37], vcc
	s_xor_b64 vcc, exec, s[36:37]
	s_cbranch_execz .LBB2_3277
; %bb.3012:                             ;   in Loop: Header=BB2_2481 Depth=4
	v_cmp_eq_u16_sdwa s[38:39], v30, s87 src0_sel:BYTE_0 src1_sel:DWORD
	s_mov_b64 s[40:41], -1
	s_and_saveexec_b64 s[36:37], s[38:39]
; %bb.3013:                             ;   in Loop: Header=BB2_2481 Depth=4
	s_xor_b64 s[40:41], exec, -1
; %bb.3014:                             ;   in Loop: Header=BB2_2481 Depth=4
	s_or_b64 exec, exec, s[36:37]
	s_and_b64 s[40:41], s[40:41], exec
	s_or_saveexec_b64 vcc, vcc
	v_bfrev_b32_e32 v53, 1
	s_xor_b64 exec, exec, vcc
	s_cbranch_execnz .LBB2_3278
.LBB2_3015:                             ;   in Loop: Header=BB2_2481 Depth=4
	s_or_b64 exec, exec, vcc
	s_and_saveexec_b64 s[36:37], s[40:41]
	s_cbranch_execz .LBB2_3017
.LBB2_3016:                             ;   in Loop: Header=BB2_2481 Depth=4
	v_and_b32_e32 v55, 7, v30
	v_ffbh_u32_e32 v53, v55
	v_min_u32_e32 v58, 32, v53
	v_subrev_u32_e32 v53, 28, v58
	v_lshlrev_b64 v[53:54], v53, v[30:31]
	v_and_b32_e32 v56, 0x7f, v30
	v_bfe_u32 v57, v30, 3, 4
	v_sub_u32_e32 v54, 29, v58
	v_and_b32_e32 v53, 7, v53
	v_cmp_gt_u32_e32 vcc, 8, v56
	v_cndmask_b32_e32 v54, v57, v54, vcc
	v_cndmask_b32_e32 v53, v55, v53, vcc
	v_lshlrev_b32_e32 v30, 24, v30
	v_lshlrev_b32_e32 v53, 20, v53
	v_and_b32_e32 v30, 0x80000000, v30
	v_lshl_add_u32 v54, v54, 23, v17
	v_or3_b32 v30, v30, v54, v53
	v_cmp_ne_u32_e32 vcc, s85, v56
	v_cndmask_b32_e32 v53, v4, v30, vcc
.LBB2_3017:                             ;   in Loop: Header=BB2_2481 Depth=4
	s_or_b64 exec, exec, s[36:37]
	v_add_f32_e32 v53, v52, v53
	v_and_b32_e32 v54, 0x7f800000, v53
	v_mov_b32_e32 v55, v29
	v_cmp_ne_u64_e32 vcc, s[76:77], v[54:55]
                                        ; implicit-def: $vgpr52
	s_and_saveexec_b64 s[40:41], vcc
	s_xor_b64 s[36:37], exec, s[40:41]
	s_cbranch_execz .LBB2_3031
; %bb.3018:                             ;   in Loop: Header=BB2_2481 Depth=4
	v_and_b32_e32 v54, 0x7fffffff, v53
	v_mov_b32_e32 v55, v29
	v_cmp_gt_u64_e32 vcc, s[78:79], v[54:55]
	v_and_b32_sdwa v30, v53, s87 dst_sel:DWORD dst_unused:UNUSED_PAD src0_sel:BYTE_3 src1_sel:DWORD
                                        ; implicit-def: $vgpr52
	s_and_saveexec_b64 s[40:41], vcc
	s_xor_b64 s[38:39], exec, s[40:41]
	s_cbranch_execz .LBB2_3028
; %bb.3019:                             ;   in Loop: Header=BB2_2481 Depth=4
	v_mov_b32_e32 v52, 0
	v_cmp_ne_u32_e32 vcc, 0, v53
	s_and_saveexec_b64 s[48:49], vcc
	s_cbranch_execz .LBB2_3027
; %bb.3020:                             ;   in Loop: Header=BB2_2481 Depth=4
	v_bfe_u32 v52, v53, 23, 8
	v_and_b32_e32 v54, 0x7fffff, v53
	v_cmp_gt_u32_e64 s[40:41], s96, v52
	v_sub_u32_e32 v53, 0x79, v52
	v_cmp_eq_u32_e32 vcc, 0, v52
	v_cndmask_b32_e64 v53, 0, v53, s[40:41]
	v_cndmask_b32_e32 v53, v53, v36, vcc
	v_add_u32_e32 v56, 20, v53
	v_or_b32_e32 v55, 0x800000, v54
	v_lshlrev_b64 v[56:57], v56, -1
	v_add_u32_e32 v58, 19, v53
	v_cndmask_b32_e32 v54, v55, v54, vcc
	v_lshlrev_b64 v[58:59], v58, 1
	v_mov_b32_e32 v55, v29
	v_bfi_b32 v57, v57, 0, 0
	v_bfi_b32 v56, v56, 0, v54
	v_cmp_eq_u64_e64 s[40:41], v[56:57], v[58:59]
	v_lshrrev_b64 v[56:57], v53, v[54:55]
	v_mov_b32_e32 v58, v57
	v_mov_b32_e32 v57, v56
	s_and_saveexec_b64 s[50:51], s[40:41]
; %bb.3021:                             ;   in Loop: Header=BB2_2481 Depth=4
	v_bfe_u32 v54, v56, 20, 1
	v_add_co_u32_e64 v54, s[40:41], v56, v54
	v_add_co_u32_e64 v57, s[40:41], -1, v54
; %bb.3022:                             ;   in Loop: Header=BB2_2481 Depth=4
	s_or_b64 exec, exec, s[50:51]
	v_add_u32_e32 v52, 0xffffff81, v52
	v_cndmask_b32_e32 v52, v52, v37, vcc
	v_lshrrev_b32_e32 v54, 23, v56
	v_add3_u32 v58, v53, v52, v54
	v_add_u32_e32 v53, 6, v58
	v_and_b32_e32 v52, 0xfffff, v57
	v_add_u32_e32 v56, v52, v56
	v_mov_b32_e32 v57, v29
	v_cmp_ne_u32_e32 vcc, 0, v53
                                        ; implicit-def: $vgpr52
	s_and_saveexec_b64 s[40:41], vcc
	s_xor_b64 s[40:41], exec, s[40:41]
; %bb.3023:                             ;   in Loop: Header=BB2_2481 Depth=4
	v_cmp_lt_u64_e32 vcc, s[88:89], v[56:57]
	v_add_u32_e32 v52, 7, v58
	v_cndmask_b32_e32 v52, v53, v52, vcc
	v_cndmask_b32_e64 v53, 0, 1, vcc
	v_lshrrev_b64 v[56:57], v53, v[56:57]
; %bb.3024:                             ;   in Loop: Header=BB2_2481 Depth=4
	s_andn2_saveexec_b64 s[40:41], s[40:41]
; %bb.3025:                             ;   in Loop: Header=BB2_2481 Depth=4
	v_bfe_u32 v52, v56, 23, 1
; %bb.3026:                             ;   in Loop: Header=BB2_2481 Depth=4
	s_or_b64 exec, exec, s[40:41]
	v_lshrrev_b64 v[53:54], 20, v[56:57]
	v_cmp_gt_i32_e32 vcc, 16, v52
	v_cndmask_b32_e32 v54, 0, v54, vcc
	v_cndmask_b32_e32 v53, 7, v53, vcc
	v_cmp_eq_u32_e32 vcc, 0, v52
	v_min_i32_e32 v52, 15, v52
	v_cmp_eq_u64_e64 s[40:41], 0, v[53:54]
	v_lshlrev_b32_e32 v52, 3, v52
	v_and_b32_e32 v52, 0xf8, v52
	v_and_or_b32 v52, v53, 7, v52
	s_and_b64 s[40:41], vcc, s[40:41]
	v_cndmask_b32_e64 v52, v52, 0, s[40:41]
	v_or_b32_e32 v52, v52, v30
.LBB2_3027:                             ;   in Loop: Header=BB2_2481 Depth=4
	s_or_b64 exec, exec, s[48:49]
                                        ; implicit-def: $vgpr30
.LBB2_3028:                             ;   in Loop: Header=BB2_2481 Depth=4
	s_andn2_saveexec_b64 s[40:41], s[38:39]
; %bb.3029:                             ;   in Loop: Header=BB2_2481 Depth=4
	v_or_b32_e32 v52, 0x7e, v30
; %bb.3030:                             ;   in Loop: Header=BB2_2481 Depth=4
	s_or_b64 exec, exec, s[40:41]
                                        ; implicit-def: $vgpr53
.LBB2_3031:                             ;   in Loop: Header=BB2_2481 Depth=4
	s_andn2_saveexec_b64 s[40:41], s[36:37]
; %bb.3032:                             ;   in Loop: Header=BB2_2481 Depth=4
	v_or_b32_sdwa v52, v53, s85 dst_sel:DWORD dst_unused:UNUSED_PAD src0_sel:BYTE_3 src1_sel:DWORD
; %bb.3033:                             ;   in Loop: Header=BB2_2481 Depth=4
	s_or_b64 exec, exec, s[40:41]
	v_cmp_lt_u32_e32 vcc, s57, v28
	v_mov_b32_e32 v53, 0
	s_and_saveexec_b64 s[40:41], vcc
	s_cbranch_execz .LBB2_3039
; %bb.3034:                             ;   in Loop: Header=BB2_2481 Depth=4
	v_lshrrev_b32_e32 v30, 24, v28
	v_cmp_ne_u32_sdwa vcc, v28, s87 src0_sel:BYTE_3 src1_sel:DWORD
	v_bfrev_b32_e32 v53, 1
	s_and_saveexec_b64 s[36:37], vcc
	s_cbranch_execz .LBB2_3038
; %bb.3035:                             ;   in Loop: Header=BB2_2481 Depth=4
	v_bfe_u32 v56, v28, 24, 7
	v_cmp_ne_u32_e32 vcc, s85, v56
	v_mov_b32_e32 v53, 0x7f800001
	s_and_saveexec_b64 s[38:39], vcc
	s_cbranch_execz .LBB2_3037
; %bb.3036:                             ;   in Loop: Header=BB2_2481 Depth=4
	v_and_b32_e32 v55, 7, v30
	v_ffbh_u32_e32 v53, v55
	v_lshrrev_b32_e32 v57, 3, v56
	v_cmp_gt_u32_e32 vcc, 8, v56
	v_min_u32_e32 v56, 32, v53
	v_subrev_u32_e32 v53, 28, v56
	v_lshlrev_b64 v[53:54], v53, v[30:31]
	v_sub_u32_e32 v30, 29, v56
	v_and_b32_e32 v53, 7, v53
	v_mov_b32_e32 v54, 24
	v_cndmask_b32_e32 v30, v57, v30, vcc
	v_cndmask_b32_e32 v53, v55, v53, vcc
	v_lshlrev_b32_sdwa v28, v54, v28 dst_sel:DWORD dst_unused:UNUSED_PAD src0_sel:DWORD src1_sel:BYTE_3
	v_lshlrev_b32_e32 v53, 20, v53
	v_and_b32_e32 v28, 0x80000000, v28
	v_lshl_add_u32 v30, v30, 23, v17
	v_or3_b32 v53, v28, v30, v53
.LBB2_3037:                             ;   in Loop: Header=BB2_2481 Depth=4
	s_or_b64 exec, exec, s[38:39]
.LBB2_3038:                             ;   in Loop: Header=BB2_2481 Depth=4
	s_or_b64 exec, exec, s[36:37]
.LBB2_3039:                             ;   in Loop: Header=BB2_2481 Depth=4
	s_or_b64 exec, exec, s[40:41]
	v_bfe_u32 v30, v9, 24, 3
	v_ffbh_u32_e32 v54, v30
	v_min_u32_e32 v58, 32, v54
	v_lshrrev_b32_e32 v28, 24, v9
	v_subrev_u32_e32 v54, 28, v58
	v_lshlrev_b64 v[54:55], v54, v[28:29]
	v_bfe_u32 v56, v9, 24, 7
	v_bfe_u32 v57, v28, 3, 4
	v_sub_u32_e32 v55, 29, v58
	v_and_b32_e32 v54, 7, v54
	v_cmp_gt_u32_e32 vcc, 8, v56
	v_cndmask_b32_e32 v55, v57, v55, vcc
	v_cndmask_b32_e32 v30, v30, v54, vcc
	v_lshlrev_b32_e32 v30, 20, v30
	v_and_b32_e32 v54, 0x80000000, v9
	v_lshl_add_u32 v55, v55, 23, v17
	v_or3_b32 v30, v54, v55, v30
	v_cmp_ne_u32_e32 vcc, s85, v56
	v_cndmask_b32_e32 v30, v4, v30, vcc
	v_cmp_ne_u32_e32 vcc, s87, v28
	v_bfrev_b32_e32 v28, 1
	v_cndmask_b32_e32 v28, v28, v30, vcc
	v_cmp_lt_u64_e32 vcc, s[56:57], v[8:9]
                                        ; implicit-def: $vgpr30
	v_cndmask_b32_e32 v8, 0, v28, vcc
	v_add_f32_e32 v8, v8, v53
	v_and_b32_e32 v28, 0x7f800000, v8
	v_cmp_ne_u64_e32 vcc, s[76:77], v[28:29]
	s_and_saveexec_b64 s[40:41], vcc
	s_xor_b64 s[36:37], exec, s[40:41]
	s_cbranch_execz .LBB2_3053
; %bb.3040:                             ;   in Loop: Header=BB2_2481 Depth=4
	v_and_b32_e32 v28, 0x7fffffff, v8
	v_cmp_gt_u64_e32 vcc, s[78:79], v[28:29]
	v_and_b32_sdwa v53, v8, s87 dst_sel:DWORD dst_unused:UNUSED_PAD src0_sel:BYTE_3 src1_sel:DWORD
                                        ; implicit-def: $vgpr30
	s_and_saveexec_b64 s[40:41], vcc
	s_xor_b64 s[38:39], exec, s[40:41]
	s_cbranch_execz .LBB2_3050
; %bb.3041:                             ;   in Loop: Header=BB2_2481 Depth=4
	v_mov_b32_e32 v30, 0
	v_cmp_ne_u32_e32 vcc, 0, v8
	s_and_saveexec_b64 s[48:49], vcc
	s_cbranch_execz .LBB2_3049
; %bb.3042:                             ;   in Loop: Header=BB2_2481 Depth=4
	v_bfe_u32 v30, v8, 23, 8
	v_and_b32_e32 v9, 0x7fffff, v8
	v_cmp_gt_u32_e64 s[40:41], s96, v30
	v_sub_u32_e32 v8, 0x79, v30
	v_cmp_eq_u32_e32 vcc, 0, v30
	v_cndmask_b32_e64 v8, 0, v8, s[40:41]
	v_cndmask_b32_e32 v58, v8, v36, vcc
	v_or_b32_e32 v28, 0x800000, v9
	v_add_u32_e32 v8, 20, v58
	v_cndmask_b32_e32 v28, v28, v9, vcc
	v_lshlrev_b64 v[8:9], v8, -1
	v_add_u32_e32 v54, 19, v58
	v_lshlrev_b64 v[54:55], v54, 1
	v_bfi_b32 v9, v9, 0, 0
	v_bfi_b32 v8, v8, 0, v28
	v_cmp_eq_u64_e64 s[40:41], v[8:9], v[54:55]
	v_lshrrev_b64 v[8:9], v58, v[28:29]
	v_mov_b32_e32 v57, v9
	v_mov_b32_e32 v56, v8
	s_and_saveexec_b64 s[50:51], s[40:41]
; %bb.3043:                             ;   in Loop: Header=BB2_2481 Depth=4
	v_bfe_u32 v9, v8, 20, 1
	v_add_co_u32_e64 v9, s[40:41], v8, v9
	v_add_co_u32_e64 v56, s[40:41], -1, v9
; %bb.3044:                             ;   in Loop: Header=BB2_2481 Depth=4
	s_or_b64 exec, exec, s[50:51]
	v_add_u32_e32 v9, 0xffffff81, v30
	v_cndmask_b32_e32 v9, v9, v37, vcc
	v_lshrrev_b32_e32 v28, 23, v8
	v_add3_u32 v58, v58, v9, v28
	v_add_u32_e32 v57, 6, v58
	v_and_b32_e32 v9, 0xfffff, v56
	v_add_u32_e32 v28, v9, v8
	v_cmp_ne_u32_e32 vcc, 0, v57
                                        ; implicit-def: $vgpr8_vgpr9
                                        ; implicit-def: $vgpr30
	s_and_saveexec_b64 s[40:41], vcc
	s_xor_b64 s[40:41], exec, s[40:41]
; %bb.3045:                             ;   in Loop: Header=BB2_2481 Depth=4
	v_cmp_lt_u64_e32 vcc, s[88:89], v[28:29]
	v_add_u32_e32 v8, 7, v58
	v_cndmask_b32_e32 v30, v57, v8, vcc
	v_cndmask_b32_e64 v8, 0, 1, vcc
	v_lshrrev_b64 v[8:9], v8, v[28:29]
; %bb.3046:                             ;   in Loop: Header=BB2_2481 Depth=4
	s_andn2_saveexec_b64 s[40:41], s[40:41]
; %bb.3047:                             ;   in Loop: Header=BB2_2481 Depth=4
	v_mov_b32_e32 v8, v28
	v_bfe_u32 v30, v28, 23, 1
	v_mov_b32_e32 v9, v29
; %bb.3048:                             ;   in Loop: Header=BB2_2481 Depth=4
	s_or_b64 exec, exec, s[40:41]
	v_lshrrev_b64 v[8:9], 20, v[8:9]
	v_cmp_gt_i32_e32 vcc, 16, v30
	v_cndmask_b32_e32 v9, 0, v9, vcc
	v_cndmask_b32_e32 v8, 7, v8, vcc
	v_cmp_eq_u64_e64 s[40:41], 0, v[8:9]
	v_min_i32_e32 v9, 15, v30
	v_lshlrev_b32_e32 v9, 3, v9
	v_cmp_eq_u32_e32 vcc, 0, v30
	v_and_b32_e32 v9, 0xf8, v9
	v_and_or_b32 v8, v8, 7, v9
	s_and_b64 s[40:41], vcc, s[40:41]
	v_cndmask_b32_e64 v8, v8, 0, s[40:41]
	v_or_b32_e32 v30, v8, v53
.LBB2_3049:                             ;   in Loop: Header=BB2_2481 Depth=4
	s_or_b64 exec, exec, s[48:49]
                                        ; implicit-def: $vgpr53
.LBB2_3050:                             ;   in Loop: Header=BB2_2481 Depth=4
	s_andn2_saveexec_b64 s[40:41], s[38:39]
; %bb.3051:                             ;   in Loop: Header=BB2_2481 Depth=4
	v_or_b32_e32 v30, 0x7e, v53
; %bb.3052:                             ;   in Loop: Header=BB2_2481 Depth=4
	s_or_b64 exec, exec, s[40:41]
                                        ; implicit-def: $vgpr8
.LBB2_3053:                             ;   in Loop: Header=BB2_2481 Depth=4
	s_andn2_saveexec_b64 s[40:41], s[36:37]
; %bb.3054:                             ;   in Loop: Header=BB2_2481 Depth=4
	v_or_b32_sdwa v30, v8, s85 dst_sel:DWORD dst_unused:UNUSED_PAD src0_sel:BYTE_3 src1_sel:DWORD
; %bb.3055:                             ;   in Loop: Header=BB2_2481 Depth=4
	s_or_b64 exec, exec, s[40:41]
	v_lshl_or_b32 v3, v3, 8, v16
	v_lshlrev_b32_e32 v1, 16, v1
	v_lshlrev_b32_e32 v8, 24, v23
	v_or3_b32 v28, v1, v8, v3
	v_cmp_ne_u32_e32 vcc, 0, v16
	v_mov_b32_e32 v1, 0
	s_and_saveexec_b64 s[40:41], vcc
	s_cbranch_execz .LBB2_3061
; %bb.3056:                             ;   in Loop: Header=BB2_2481 Depth=4
	v_cmp_ne_u32_e32 vcc, s87, v16
	v_bfrev_b32_e32 v1, 1
	s_and_saveexec_b64 s[36:37], vcc
	s_cbranch_execz .LBB2_3060
; %bb.3057:                             ;   in Loop: Header=BB2_2481 Depth=4
	v_and_b32_e32 v8, 0x7f, v16
	v_cmp_ne_u32_e32 vcc, s85, v8
	v_mov_b32_e32 v1, 0x7f800001
	s_and_saveexec_b64 s[38:39], vcc
	s_cbranch_execz .LBB2_3059
; %bb.3058:                             ;   in Loop: Header=BB2_2481 Depth=4
	v_and_b32_e32 v1, 7, v16
	v_ffbh_u32_e32 v1, v1
	v_min_u32_e32 v1, 32, v1
	v_lshrrev_b32_e32 v9, 3, v8
	v_cmp_gt_u32_e32 vcc, 8, v8
	v_subrev_u32_e32 v8, 28, v1
	v_sub_u32_e32 v1, 29, v1
	v_cndmask_b32_e32 v8, 0, v8, vcc
	v_cndmask_b32_e32 v1, v9, v1, vcc
	v_lshlrev_b64 v[8:9], v8, v[28:29]
	v_lshlrev_b32_e32 v9, 24, v28
	v_lshlrev_b32_e32 v8, 20, v8
	v_and_b32_e32 v8, 0x700000, v8
	v_and_b32_e32 v9, 0x80000000, v9
	v_lshl_add_u32 v1, v1, 23, v17
	v_or3_b32 v1, v9, v1, v8
.LBB2_3059:                             ;   in Loop: Header=BB2_2481 Depth=4
	s_or_b64 exec, exec, s[38:39]
.LBB2_3060:                             ;   in Loop: Header=BB2_2481 Depth=4
	s_or_b64 exec, exec, s[36:37]
.LBB2_3061:                             ;   in Loop: Header=BB2_2481 Depth=4
	s_or_b64 exec, exec, s[40:41]
	v_cmp_gt_i16_sdwa vcc, v10, s85 src0_sel:BYTE_0 src1_sel:DWORD
	s_mov_b64 s[40:41], 0
	s_and_saveexec_b64 s[36:37], vcc
	s_xor_b64 vcc, exec, s[36:37]
	s_cbranch_execz .LBB2_3279
; %bb.3062:                             ;   in Loop: Header=BB2_2481 Depth=4
	v_cmp_eq_u16_sdwa s[38:39], v10, s87 src0_sel:BYTE_0 src1_sel:DWORD
	s_mov_b64 s[40:41], -1
	s_and_saveexec_b64 s[36:37], s[38:39]
; %bb.3063:                             ;   in Loop: Header=BB2_2481 Depth=4
	s_xor_b64 s[40:41], exec, -1
; %bb.3064:                             ;   in Loop: Header=BB2_2481 Depth=4
	s_or_b64 exec, exec, s[36:37]
	s_and_b64 s[40:41], s[40:41], exec
	s_or_saveexec_b64 vcc, vcc
	v_bfrev_b32_e32 v8, 1
	s_xor_b64 exec, exec, vcc
	s_cbranch_execnz .LBB2_3280
.LBB2_3065:                             ;   in Loop: Header=BB2_2481 Depth=4
	s_or_b64 exec, exec, vcc
	s_and_saveexec_b64 s[36:37], s[40:41]
	s_cbranch_execz .LBB2_3067
.LBB2_3066:                             ;   in Loop: Header=BB2_2481 Depth=4
	v_and_b32_e32 v8, 7, v10
	v_ffbh_u32_e32 v8, v8
	v_and_b32_e32 v16, 0x7f, v10
	v_min_u32_e32 v8, 32, v8
	v_bfe_u32 v9, v10, 3, 4
	v_subrev_u32_e32 v23, 28, v8
	v_sub_u32_e32 v8, 29, v8
	v_cmp_gt_u32_e32 vcc, 8, v16
	v_cndmask_b32_e32 v53, v9, v8, vcc
	v_cndmask_b32_e32 v8, 0, v23, vcc
	v_lshlrev_b64 v[8:9], v8, v[10:11]
	v_lshlrev_b32_e32 v9, 24, v10
	v_lshlrev_b32_e32 v8, 20, v8
	v_and_b32_e32 v8, 0x700000, v8
	v_and_b32_e32 v9, 0x80000000, v9
	v_lshl_add_u32 v23, v53, 23, v17
	v_or3_b32 v8, v9, v23, v8
	v_cmp_ne_u32_e32 vcc, s85, v16
	v_cndmask_b32_e32 v8, v4, v8, vcc
.LBB2_3067:                             ;   in Loop: Header=BB2_2481 Depth=4
	s_or_b64 exec, exec, s[36:37]
	v_add_f32_e32 v8, v1, v8
	v_and_b32_e32 v53, 0x7f800000, v8
	v_mov_b32_e32 v54, v29
	v_cmp_ne_u64_e32 vcc, s[76:77], v[53:54]
                                        ; implicit-def: $vgpr1
	s_and_saveexec_b64 s[40:41], vcc
	s_xor_b64 s[36:37], exec, s[40:41]
	s_cbranch_execz .LBB2_3081
; %bb.3068:                             ;   in Loop: Header=BB2_2481 Depth=4
	v_and_b32_e32 v53, 0x7fffffff, v8
	v_mov_b32_e32 v54, v29
	v_cmp_gt_u64_e32 vcc, s[78:79], v[53:54]
	v_and_b32_sdwa v16, v8, s87 dst_sel:DWORD dst_unused:UNUSED_PAD src0_sel:BYTE_3 src1_sel:DWORD
                                        ; implicit-def: $vgpr1
	s_and_saveexec_b64 s[40:41], vcc
	s_xor_b64 s[38:39], exec, s[40:41]
	s_cbranch_execz .LBB2_3078
; %bb.3069:                             ;   in Loop: Header=BB2_2481 Depth=4
	v_mov_b32_e32 v1, 0
	v_cmp_ne_u32_e32 vcc, 0, v8
	s_and_saveexec_b64 s[48:49], vcc
	s_cbranch_execz .LBB2_3077
; %bb.3070:                             ;   in Loop: Header=BB2_2481 Depth=4
	v_bfe_u32 v1, v8, 23, 8
	v_and_b32_e32 v9, 0x7fffff, v8
	v_cmp_gt_u32_e64 s[40:41], s96, v1
	v_sub_u32_e32 v8, 0x79, v1
	v_cmp_eq_u32_e32 vcc, 0, v1
	v_cndmask_b32_e64 v8, 0, v8, s[40:41]
	v_or_b32_e32 v53, 0x800000, v9
	v_cndmask_b32_e32 v23, v8, v36, vcc
	v_cndmask_b32_e32 v8, v53, v9, vcc
	v_add_u32_e32 v53, 20, v23
	v_lshlrev_b64 v[53:54], v53, -1
	v_mov_b32_e32 v9, v29
	v_add_u32_e32 v55, 19, v23
	v_bfi_b32 v53, v53, 0, v8
	v_lshlrev_b64 v[55:56], v55, 1
	v_lshrrev_b64 v[8:9], v23, v[8:9]
	v_bfi_b32 v54, v54, 0, 0
	v_cmp_eq_u64_e64 s[40:41], v[53:54], v[55:56]
	v_mov_b32_e32 v57, v9
	v_mov_b32_e32 v56, v8
	s_and_saveexec_b64 s[50:51], s[40:41]
; %bb.3071:                             ;   in Loop: Header=BB2_2481 Depth=4
	v_bfe_u32 v9, v8, 20, 1
	v_add_co_u32_e64 v9, s[40:41], v8, v9
	v_add_co_u32_e64 v56, s[40:41], -1, v9
; %bb.3072:                             ;   in Loop: Header=BB2_2481 Depth=4
	s_or_b64 exec, exec, s[50:51]
	v_add_u32_e32 v1, 0xffffff81, v1
	v_cndmask_b32_e32 v1, v1, v37, vcc
	v_lshrrev_b32_e32 v9, 23, v8
	v_add3_u32 v53, v23, v1, v9
	v_add_u32_e32 v23, 6, v53
	v_and_b32_e32 v1, 0xfffff, v56
	v_add_u32_e32 v8, v1, v8
	v_mov_b32_e32 v9, v29
	v_cmp_ne_u32_e32 vcc, 0, v23
                                        ; implicit-def: $vgpr1
	s_and_saveexec_b64 s[40:41], vcc
	s_xor_b64 s[40:41], exec, s[40:41]
; %bb.3073:                             ;   in Loop: Header=BB2_2481 Depth=4
	v_cmp_lt_u64_e32 vcc, s[88:89], v[8:9]
	v_add_u32_e32 v1, 7, v53
	v_cndmask_b32_e32 v1, v23, v1, vcc
	v_cndmask_b32_e64 v23, 0, 1, vcc
	v_lshrrev_b64 v[8:9], v23, v[8:9]
; %bb.3074:                             ;   in Loop: Header=BB2_2481 Depth=4
	s_andn2_saveexec_b64 s[40:41], s[40:41]
; %bb.3075:                             ;   in Loop: Header=BB2_2481 Depth=4
	v_bfe_u32 v1, v8, 23, 1
; %bb.3076:                             ;   in Loop: Header=BB2_2481 Depth=4
	s_or_b64 exec, exec, s[40:41]
	v_lshrrev_b64 v[8:9], 20, v[8:9]
	v_cmp_gt_i32_e32 vcc, 16, v1
	v_cndmask_b32_e32 v9, 0, v9, vcc
	v_cndmask_b32_e32 v8, 7, v8, vcc
	v_cmp_eq_u32_e32 vcc, 0, v1
	v_min_i32_e32 v1, 15, v1
	v_cmp_eq_u64_e64 s[40:41], 0, v[8:9]
	v_lshlrev_b32_e32 v1, 3, v1
	v_and_b32_e32 v1, 0xf8, v1
	v_and_or_b32 v1, v8, 7, v1
	s_and_b64 s[40:41], vcc, s[40:41]
	v_cndmask_b32_e64 v1, v1, 0, s[40:41]
	v_or_b32_e32 v1, v1, v16
.LBB2_3077:                             ;   in Loop: Header=BB2_2481 Depth=4
	s_or_b64 exec, exec, s[48:49]
                                        ; implicit-def: $vgpr16
.LBB2_3078:                             ;   in Loop: Header=BB2_2481 Depth=4
	s_andn2_saveexec_b64 s[40:41], s[38:39]
; %bb.3079:                             ;   in Loop: Header=BB2_2481 Depth=4
	v_or_b32_e32 v1, 0x7e, v16
; %bb.3080:                             ;   in Loop: Header=BB2_2481 Depth=4
	s_or_b64 exec, exec, s[40:41]
                                        ; implicit-def: $vgpr8
.LBB2_3081:                             ;   in Loop: Header=BB2_2481 Depth=4
	s_andn2_saveexec_b64 s[40:41], s[36:37]
; %bb.3082:                             ;   in Loop: Header=BB2_2481 Depth=4
	v_or_b32_sdwa v1, v8, s85 dst_sel:DWORD dst_unused:UNUSED_PAD src0_sel:BYTE_3 src1_sel:DWORD
; %bb.3083:                             ;   in Loop: Header=BB2_2481 Depth=4
	s_or_b64 exec, exec, s[40:41]
	v_lshrrev_b16_e32 v8, 8, v3
	v_cmp_ne_u16_e32 vcc, 0, v8
	v_mov_b32_e32 v16, 0
	s_and_saveexec_b64 s[40:41], vcc
	s_cbranch_execz .LBB2_3089
; %bb.3084:                             ;   in Loop: Header=BB2_2481 Depth=4
	v_cmp_ne_u16_e32 vcc, s87, v8
	v_bfrev_b32_e32 v16, 1
	s_and_saveexec_b64 s[36:37], vcc
	s_cbranch_execz .LBB2_3088
; %bb.3085:                             ;   in Loop: Header=BB2_2481 Depth=4
	v_and_b32_e32 v9, 0x7f, v8
	v_cmp_ne_u32_e32 vcc, s85, v9
	v_mov_b32_e32 v16, 0x7f800001
	s_and_saveexec_b64 s[38:39], vcc
	s_cbranch_execz .LBB2_3087
; %bb.3086:                             ;   in Loop: Header=BB2_2481 Depth=4
	v_and_b32_e32 v16, 7, v8
	v_lshrrev_b32_e32 v23, 3, v9
	v_cmp_gt_u32_e32 vcc, 8, v9
	v_ffbh_u32_e32 v9, v16
	v_min_u32_e32 v53, 32, v9
	v_subrev_u32_e32 v9, 28, v53
	v_lshlrev_b64 v[8:9], v9, v[8:9]
	v_sub_u32_e32 v9, 29, v53
	v_and_b32_e32 v8, 7, v8
	v_cndmask_b32_e32 v9, v23, v9, vcc
	v_cndmask_b32_e32 v8, v16, v8, vcc
	v_lshlrev_b32_e32 v3, 16, v3
	v_lshlrev_b32_e32 v8, 20, v8
	v_and_b32_e32 v3, 0x80000000, v3
	v_lshl_add_u32 v9, v9, 23, v17
	v_or3_b32 v16, v3, v9, v8
.LBB2_3087:                             ;   in Loop: Header=BB2_2481 Depth=4
	s_or_b64 exec, exec, s[38:39]
.LBB2_3088:                             ;   in Loop: Header=BB2_2481 Depth=4
	s_or_b64 exec, exec, s[36:37]
.LBB2_3089:                             ;   in Loop: Header=BB2_2481 Depth=4
	s_or_b64 exec, exec, s[40:41]
	v_lshrrev_b16_e32 v8, 8, v10
	v_cmp_lt_i16_e32 vcc, s85, v8
	s_mov_b64 s[40:41], 0
	s_and_saveexec_b64 s[36:37], vcc
	s_xor_b64 s[36:37], exec, s[36:37]
	s_cbranch_execz .LBB2_3281
; %bb.3090:                             ;   in Loop: Header=BB2_2481 Depth=4
	v_cmp_eq_u16_e32 vcc, s87, v8
	s_mov_b64 s[40:41], -1
	s_and_saveexec_b64 s[38:39], vcc
; %bb.3091:                             ;   in Loop: Header=BB2_2481 Depth=4
	s_xor_b64 s[40:41], exec, -1
; %bb.3092:                             ;   in Loop: Header=BB2_2481 Depth=4
	s_or_b64 exec, exec, s[38:39]
	s_and_b64 s[40:41], s[40:41], exec
	s_or_saveexec_b64 s[36:37], s[36:37]
	v_bfrev_b32_e32 v3, 1
	s_xor_b64 exec, exec, s[36:37]
	s_cbranch_execnz .LBB2_3282
.LBB2_3093:                             ;   in Loop: Header=BB2_2481 Depth=4
	s_or_b64 exec, exec, s[36:37]
	s_and_saveexec_b64 s[36:37], s[40:41]
	s_cbranch_execz .LBB2_3095
.LBB2_3094:                             ;   in Loop: Header=BB2_2481 Depth=4
	v_and_b32_e32 v3, 7, v8
	v_ffbh_u32_e32 v53, v3
	v_min_u32_e32 v56, 32, v53
	v_mov_b32_e32 v9, v29
	v_subrev_u32_e32 v53, 28, v56
	v_lshlrev_b64 v[53:54], v53, v[8:9]
	v_and_b32_e32 v23, 0x7f, v8
	v_bfe_u32 v55, v8, 3, 4
	v_sub_u32_e32 v9, 29, v56
	v_and_b32_e32 v53, 7, v53
	v_cmp_gt_u32_e32 vcc, 8, v23
	v_cndmask_b32_e32 v9, v55, v9, vcc
	v_cndmask_b32_e32 v3, v3, v53, vcc
	v_lshlrev_b32_e32 v8, 24, v8
	v_lshlrev_b32_e32 v3, 20, v3
	v_and_b32_e32 v8, 0x80000000, v8
	v_lshl_add_u32 v9, v9, 23, v17
	v_or3_b32 v3, v8, v9, v3
	v_cmp_ne_u32_e32 vcc, s85, v23
	v_cndmask_b32_e32 v3, v4, v3, vcc
.LBB2_3095:                             ;   in Loop: Header=BB2_2481 Depth=4
	s_or_b64 exec, exec, s[36:37]
	v_add_f32_e32 v8, v16, v3
	v_and_b32_e32 v53, 0x7f800000, v8
	v_mov_b32_e32 v54, v29
	v_cmp_ne_u64_e32 vcc, s[76:77], v[53:54]
                                        ; implicit-def: $vgpr3
	s_and_saveexec_b64 s[40:41], vcc
	s_xor_b64 s[36:37], exec, s[40:41]
	s_cbranch_execz .LBB2_3109
; %bb.3096:                             ;   in Loop: Header=BB2_2481 Depth=4
	v_and_b32_e32 v53, 0x7fffffff, v8
	v_mov_b32_e32 v54, v29
	v_cmp_gt_u64_e32 vcc, s[78:79], v[53:54]
	v_and_b32_sdwa v16, v8, s87 dst_sel:DWORD dst_unused:UNUSED_PAD src0_sel:BYTE_3 src1_sel:DWORD
                                        ; implicit-def: $vgpr3
	s_and_saveexec_b64 s[40:41], vcc
	s_xor_b64 s[38:39], exec, s[40:41]
	s_cbranch_execz .LBB2_3106
; %bb.3097:                             ;   in Loop: Header=BB2_2481 Depth=4
	v_mov_b32_e32 v3, 0
	v_cmp_ne_u32_e32 vcc, 0, v8
	s_and_saveexec_b64 s[48:49], vcc
	s_cbranch_execz .LBB2_3105
; %bb.3098:                             ;   in Loop: Header=BB2_2481 Depth=4
	v_bfe_u32 v3, v8, 23, 8
	v_and_b32_e32 v9, 0x7fffff, v8
	v_cmp_gt_u32_e64 s[40:41], s96, v3
	v_sub_u32_e32 v8, 0x79, v3
	v_cmp_eq_u32_e32 vcc, 0, v3
	v_cndmask_b32_e64 v8, 0, v8, s[40:41]
	v_or_b32_e32 v53, 0x800000, v9
	v_cndmask_b32_e32 v23, v8, v36, vcc
	v_cndmask_b32_e32 v8, v53, v9, vcc
	v_add_u32_e32 v53, 20, v23
	v_lshlrev_b64 v[53:54], v53, -1
	v_mov_b32_e32 v9, v29
	v_add_u32_e32 v55, 19, v23
	v_bfi_b32 v53, v53, 0, v8
	v_lshlrev_b64 v[55:56], v55, 1
	v_lshrrev_b64 v[8:9], v23, v[8:9]
	v_bfi_b32 v54, v54, 0, 0
	v_cmp_eq_u64_e64 s[40:41], v[53:54], v[55:56]
	v_mov_b32_e32 v57, v9
	v_mov_b32_e32 v56, v8
	s_and_saveexec_b64 s[50:51], s[40:41]
; %bb.3099:                             ;   in Loop: Header=BB2_2481 Depth=4
	v_bfe_u32 v9, v8, 20, 1
	v_add_co_u32_e64 v9, s[40:41], v8, v9
	v_add_co_u32_e64 v56, s[40:41], -1, v9
; %bb.3100:                             ;   in Loop: Header=BB2_2481 Depth=4
	s_or_b64 exec, exec, s[50:51]
	v_add_u32_e32 v3, 0xffffff81, v3
	v_cndmask_b32_e32 v3, v3, v37, vcc
	v_lshrrev_b32_e32 v9, 23, v8
	v_add3_u32 v53, v23, v3, v9
	v_add_u32_e32 v23, 6, v53
	v_and_b32_e32 v3, 0xfffff, v56
	v_add_u32_e32 v8, v3, v8
	v_mov_b32_e32 v9, v29
	v_cmp_ne_u32_e32 vcc, 0, v23
                                        ; implicit-def: $vgpr3
	s_and_saveexec_b64 s[40:41], vcc
	s_xor_b64 s[40:41], exec, s[40:41]
; %bb.3101:                             ;   in Loop: Header=BB2_2481 Depth=4
	v_cmp_lt_u64_e32 vcc, s[88:89], v[8:9]
	v_add_u32_e32 v3, 7, v53
	v_cndmask_b32_e32 v3, v23, v3, vcc
	v_cndmask_b32_e64 v23, 0, 1, vcc
	v_lshrrev_b64 v[8:9], v23, v[8:9]
; %bb.3102:                             ;   in Loop: Header=BB2_2481 Depth=4
	s_andn2_saveexec_b64 s[40:41], s[40:41]
; %bb.3103:                             ;   in Loop: Header=BB2_2481 Depth=4
	v_bfe_u32 v3, v8, 23, 1
; %bb.3104:                             ;   in Loop: Header=BB2_2481 Depth=4
	s_or_b64 exec, exec, s[40:41]
	v_lshrrev_b64 v[8:9], 20, v[8:9]
	v_cmp_gt_i32_e32 vcc, 16, v3
	v_cndmask_b32_e32 v9, 0, v9, vcc
	v_cndmask_b32_e32 v8, 7, v8, vcc
	v_cmp_eq_u32_e32 vcc, 0, v3
	v_min_i32_e32 v3, 15, v3
	v_cmp_eq_u64_e64 s[40:41], 0, v[8:9]
	v_lshlrev_b32_e32 v3, 3, v3
	v_and_b32_e32 v3, 0xf8, v3
	v_and_or_b32 v3, v8, 7, v3
	s_and_b64 s[40:41], vcc, s[40:41]
	v_cndmask_b32_e64 v3, v3, 0, s[40:41]
	v_or_b32_e32 v3, v3, v16
.LBB2_3105:                             ;   in Loop: Header=BB2_2481 Depth=4
	s_or_b64 exec, exec, s[48:49]
                                        ; implicit-def: $vgpr16
.LBB2_3106:                             ;   in Loop: Header=BB2_2481 Depth=4
	s_andn2_saveexec_b64 s[40:41], s[38:39]
; %bb.3107:                             ;   in Loop: Header=BB2_2481 Depth=4
	v_or_b32_e32 v3, 0x7e, v16
; %bb.3108:                             ;   in Loop: Header=BB2_2481 Depth=4
	s_or_b64 exec, exec, s[40:41]
                                        ; implicit-def: $vgpr8
.LBB2_3109:                             ;   in Loop: Header=BB2_2481 Depth=4
	s_andn2_saveexec_b64 s[40:41], s[36:37]
; %bb.3110:                             ;   in Loop: Header=BB2_2481 Depth=4
	v_or_b32_sdwa v3, v8, s85 dst_sel:DWORD dst_unused:UNUSED_PAD src0_sel:BYTE_3 src1_sel:DWORD
; %bb.3111:                             ;   in Loop: Header=BB2_2481 Depth=4
	s_or_b64 exec, exec, s[40:41]
	v_lshrrev_b32_e32 v8, 16, v28
	v_cmp_ne_u16_sdwa vcc, v8, v29 src0_sel:BYTE_0 src1_sel:DWORD
	v_mov_b32_e32 v9, 0
	s_and_saveexec_b64 s[40:41], vcc
	s_cbranch_execz .LBB2_3117
; %bb.3112:                             ;   in Loop: Header=BB2_2481 Depth=4
	v_cmp_ne_u16_sdwa vcc, v8, s87 src0_sel:BYTE_0 src1_sel:DWORD
	v_bfrev_b32_e32 v9, 1
	s_and_saveexec_b64 s[36:37], vcc
	s_cbranch_execz .LBB2_3116
; %bb.3113:                             ;   in Loop: Header=BB2_2481 Depth=4
	v_bfe_u32 v16, v28, 16, 7
	v_cmp_ne_u32_e32 vcc, s85, v16
	v_mov_b32_e32 v9, 0x7f800001
	s_and_saveexec_b64 s[38:39], vcc
	s_cbranch_execz .LBB2_3115
; %bb.3114:                             ;   in Loop: Header=BB2_2481 Depth=4
	v_and_b32_e32 v9, 7, v8
	v_lshrrev_b32_e32 v23, 3, v16
	v_cmp_gt_u32_e32 vcc, 8, v16
	v_ffbh_u32_e32 v16, v9
	v_min_u32_e32 v16, 32, v16
	v_subrev_u32_e32 v53, 28, v16
	v_lshlrev_b64 v[53:54], v53, v[8:9]
	v_sub_u32_e32 v16, 29, v16
	v_and_b32_e32 v53, 7, v53
	v_cndmask_b32_e32 v16, v23, v16, vcc
	v_cndmask_b32_e32 v9, v9, v53, vcc
	v_lshlrev_b32_e32 v8, 24, v8
	v_lshlrev_b32_e32 v9, 20, v9
	v_and_b32_e32 v8, 0x80000000, v8
	v_lshl_add_u32 v16, v16, 23, v17
	v_or3_b32 v9, v8, v16, v9
.LBB2_3115:                             ;   in Loop: Header=BB2_2481 Depth=4
	s_or_b64 exec, exec, s[38:39]
.LBB2_3116:                             ;   in Loop: Header=BB2_2481 Depth=4
	s_or_b64 exec, exec, s[36:37]
.LBB2_3117:                             ;   in Loop: Header=BB2_2481 Depth=4
	s_or_b64 exec, exec, s[40:41]
	v_lshrrev_b32_e32 v8, 16, v10
	v_cmp_gt_i16_sdwa vcc, v8, s85 src0_sel:BYTE_0 src1_sel:DWORD
	s_mov_b64 s[40:41], 0
	s_and_saveexec_b64 s[36:37], vcc
	s_xor_b64 vcc, exec, s[36:37]
	s_cbranch_execz .LBB2_3283
; %bb.3118:                             ;   in Loop: Header=BB2_2481 Depth=4
	v_cmp_eq_u16_sdwa s[38:39], v8, s87 src0_sel:BYTE_0 src1_sel:DWORD
	s_mov_b64 s[40:41], -1
	s_and_saveexec_b64 s[36:37], s[38:39]
; %bb.3119:                             ;   in Loop: Header=BB2_2481 Depth=4
	s_xor_b64 s[40:41], exec, -1
; %bb.3120:                             ;   in Loop: Header=BB2_2481 Depth=4
	s_or_b64 exec, exec, s[36:37]
	s_and_b64 s[40:41], s[40:41], exec
	s_or_saveexec_b64 vcc, vcc
	v_bfrev_b32_e32 v16, 1
	s_xor_b64 exec, exec, vcc
	s_cbranch_execnz .LBB2_3284
.LBB2_3121:                             ;   in Loop: Header=BB2_2481 Depth=4
	s_or_b64 exec, exec, vcc
	s_and_saveexec_b64 s[36:37], s[40:41]
	s_cbranch_execz .LBB2_3123
.LBB2_3122:                             ;   in Loop: Header=BB2_2481 Depth=4
	v_and_b32_e32 v16, 7, v8
	v_ffbh_u32_e32 v53, v16
	v_min_u32_e32 v56, 32, v53
	v_subrev_u32_e32 v53, 28, v56
	v_lshlrev_b64 v[53:54], v53, v[8:9]
	v_and_b32_e32 v23, 0x7f, v8
	v_bfe_u32 v55, v8, 3, 4
	v_sub_u32_e32 v54, 29, v56
	v_and_b32_e32 v53, 7, v53
	v_cmp_gt_u32_e32 vcc, 8, v23
	v_cndmask_b32_e32 v54, v55, v54, vcc
	v_cndmask_b32_e32 v16, v16, v53, vcc
	v_lshlrev_b32_e32 v8, 24, v8
	v_lshlrev_b32_e32 v16, 20, v16
	v_and_b32_e32 v8, 0x80000000, v8
	v_lshl_add_u32 v53, v54, 23, v17
	v_or3_b32 v8, v8, v53, v16
	v_cmp_ne_u32_e32 vcc, s85, v23
	v_cndmask_b32_e32 v16, v4, v8, vcc
.LBB2_3123:                             ;   in Loop: Header=BB2_2481 Depth=4
	s_or_b64 exec, exec, s[36:37]
	v_add_f32_e32 v8, v9, v16
	v_and_b32_e32 v53, 0x7f800000, v8
	v_mov_b32_e32 v54, v29
	v_cmp_ne_u64_e32 vcc, s[76:77], v[53:54]
                                        ; implicit-def: $vgpr16
	s_and_saveexec_b64 s[40:41], vcc
	s_xor_b64 s[36:37], exec, s[40:41]
	s_cbranch_execz .LBB2_3137
; %bb.3124:                             ;   in Loop: Header=BB2_2481 Depth=4
	v_and_b32_e32 v53, 0x7fffffff, v8
	v_mov_b32_e32 v54, v29
	v_cmp_gt_u64_e32 vcc, s[78:79], v[53:54]
	v_and_b32_sdwa v23, v8, s87 dst_sel:DWORD dst_unused:UNUSED_PAD src0_sel:BYTE_3 src1_sel:DWORD
                                        ; implicit-def: $vgpr16
	s_and_saveexec_b64 s[40:41], vcc
	s_xor_b64 s[38:39], exec, s[40:41]
	s_cbranch_execz .LBB2_3134
; %bb.3125:                             ;   in Loop: Header=BB2_2481 Depth=4
	v_mov_b32_e32 v16, 0
	v_cmp_ne_u32_e32 vcc, 0, v8
	s_and_saveexec_b64 s[48:49], vcc
	s_cbranch_execz .LBB2_3133
; %bb.3126:                             ;   in Loop: Header=BB2_2481 Depth=4
	v_bfe_u32 v16, v8, 23, 8
	v_and_b32_e32 v9, 0x7fffff, v8
	v_cmp_gt_u32_e64 s[40:41], s96, v16
	v_sub_u32_e32 v8, 0x79, v16
	v_cmp_eq_u32_e32 vcc, 0, v16
	v_cndmask_b32_e64 v8, 0, v8, s[40:41]
	v_or_b32_e32 v54, 0x800000, v9
	v_cndmask_b32_e32 v53, v8, v36, vcc
	v_cndmask_b32_e32 v8, v54, v9, vcc
	v_add_u32_e32 v54, 20, v53
	v_lshlrev_b64 v[54:55], v54, -1
	v_mov_b32_e32 v9, v29
	v_add_u32_e32 v56, 19, v53
	v_bfi_b32 v54, v54, 0, v8
	v_lshlrev_b64 v[56:57], v56, 1
	v_lshrrev_b64 v[8:9], v53, v[8:9]
	v_bfi_b32 v55, v55, 0, 0
	v_cmp_eq_u64_e64 s[40:41], v[54:55], v[56:57]
	v_mov_b32_e32 v57, v9
	v_mov_b32_e32 v56, v8
	s_and_saveexec_b64 s[50:51], s[40:41]
; %bb.3127:                             ;   in Loop: Header=BB2_2481 Depth=4
	v_bfe_u32 v9, v8, 20, 1
	v_add_co_u32_e64 v9, s[40:41], v8, v9
	v_add_co_u32_e64 v56, s[40:41], -1, v9
; %bb.3128:                             ;   in Loop: Header=BB2_2481 Depth=4
	s_or_b64 exec, exec, s[50:51]
	v_add_u32_e32 v9, 0xffffff81, v16
	v_cndmask_b32_e32 v9, v9, v37, vcc
	v_lshrrev_b32_e32 v16, 23, v8
	v_add3_u32 v57, v53, v9, v16
	v_add_u32_e32 v53, 6, v57
	v_and_b32_e32 v9, 0xfffff, v56
	v_add_u32_e32 v8, v9, v8
	v_mov_b32_e32 v9, v29
	v_cmp_ne_u32_e32 vcc, 0, v53
                                        ; implicit-def: $vgpr16
	s_and_saveexec_b64 s[40:41], vcc
	s_xor_b64 s[40:41], exec, s[40:41]
; %bb.3129:                             ;   in Loop: Header=BB2_2481 Depth=4
	v_cmp_lt_u64_e32 vcc, s[88:89], v[8:9]
	v_add_u32_e32 v16, 7, v57
	v_cndmask_b32_e32 v16, v53, v16, vcc
	v_cndmask_b32_e64 v53, 0, 1, vcc
	v_lshrrev_b64 v[8:9], v53, v[8:9]
; %bb.3130:                             ;   in Loop: Header=BB2_2481 Depth=4
	s_andn2_saveexec_b64 s[40:41], s[40:41]
; %bb.3131:                             ;   in Loop: Header=BB2_2481 Depth=4
	v_bfe_u32 v16, v8, 23, 1
; %bb.3132:                             ;   in Loop: Header=BB2_2481 Depth=4
	s_or_b64 exec, exec, s[40:41]
	v_lshrrev_b64 v[8:9], 20, v[8:9]
	v_cmp_gt_i32_e32 vcc, 16, v16
	v_cndmask_b32_e32 v9, 0, v9, vcc
	v_cndmask_b32_e32 v8, 7, v8, vcc
	v_cmp_eq_u64_e64 s[40:41], 0, v[8:9]
	v_min_i32_e32 v9, 15, v16
	v_lshlrev_b32_e32 v9, 3, v9
	v_cmp_eq_u32_e32 vcc, 0, v16
	v_and_b32_e32 v9, 0xf8, v9
	v_and_or_b32 v8, v8, 7, v9
	s_and_b64 s[40:41], vcc, s[40:41]
	v_cndmask_b32_e64 v8, v8, 0, s[40:41]
	v_or_b32_e32 v16, v8, v23
.LBB2_3133:                             ;   in Loop: Header=BB2_2481 Depth=4
	s_or_b64 exec, exec, s[48:49]
                                        ; implicit-def: $vgpr23
.LBB2_3134:                             ;   in Loop: Header=BB2_2481 Depth=4
	s_andn2_saveexec_b64 s[40:41], s[38:39]
; %bb.3135:                             ;   in Loop: Header=BB2_2481 Depth=4
	v_or_b32_e32 v16, 0x7e, v23
; %bb.3136:                             ;   in Loop: Header=BB2_2481 Depth=4
	s_or_b64 exec, exec, s[40:41]
                                        ; implicit-def: $vgpr8
.LBB2_3137:                             ;   in Loop: Header=BB2_2481 Depth=4
	s_andn2_saveexec_b64 s[40:41], s[36:37]
; %bb.3138:                             ;   in Loop: Header=BB2_2481 Depth=4
	v_or_b32_sdwa v16, v8, s85 dst_sel:DWORD dst_unused:UNUSED_PAD src0_sel:BYTE_3 src1_sel:DWORD
; %bb.3139:                             ;   in Loop: Header=BB2_2481 Depth=4
	s_or_b64 exec, exec, s[40:41]
	v_cmp_lt_u32_e32 vcc, s57, v28
	v_mov_b32_e32 v9, 0
	s_and_saveexec_b64 s[40:41], vcc
	s_cbranch_execz .LBB2_3145
; %bb.3140:                             ;   in Loop: Header=BB2_2481 Depth=4
	v_lshrrev_b32_e32 v8, 24, v28
	v_cmp_ne_u32_sdwa vcc, v28, s87 src0_sel:BYTE_3 src1_sel:DWORD
	v_bfrev_b32_e32 v9, 1
	s_and_saveexec_b64 s[36:37], vcc
	s_cbranch_execz .LBB2_3144
; %bb.3141:                             ;   in Loop: Header=BB2_2481 Depth=4
	v_bfe_u32 v23, v28, 24, 7
	v_cmp_ne_u32_e32 vcc, s85, v23
	v_mov_b32_e32 v9, 0x7f800001
	s_and_saveexec_b64 s[38:39], vcc
	s_cbranch_execz .LBB2_3143
; %bb.3142:                             ;   in Loop: Header=BB2_2481 Depth=4
	v_and_b32_e32 v53, 7, v8
	v_ffbh_u32_e32 v9, v53
	v_lshrrev_b32_e32 v54, 3, v23
	v_cmp_gt_u32_e32 vcc, 8, v23
	v_min_u32_e32 v23, 32, v9
	v_subrev_u32_e32 v9, 28, v23
	v_lshlrev_b64 v[8:9], v9, v[8:9]
	v_sub_u32_e32 v9, 29, v23
	v_and_b32_e32 v8, 7, v8
	v_mov_b32_e32 v23, 24
	v_cndmask_b32_e32 v9, v54, v9, vcc
	v_cndmask_b32_e32 v8, v53, v8, vcc
	v_lshlrev_b32_sdwa v23, v23, v28 dst_sel:DWORD dst_unused:UNUSED_PAD src0_sel:DWORD src1_sel:BYTE_3
	v_lshlrev_b32_e32 v8, 20, v8
	v_and_b32_e32 v23, 0x80000000, v23
	v_lshl_add_u32 v9, v9, 23, v17
	v_or3_b32 v9, v23, v9, v8
.LBB2_3143:                             ;   in Loop: Header=BB2_2481 Depth=4
	s_or_b64 exec, exec, s[38:39]
.LBB2_3144:                             ;   in Loop: Header=BB2_2481 Depth=4
	s_or_b64 exec, exec, s[36:37]
.LBB2_3145:                             ;   in Loop: Header=BB2_2481 Depth=4
	s_or_b64 exec, exec, s[40:41]
	v_bfe_u32 v23, v10, 24, 3
	v_ffbh_u32_e32 v53, v23
	v_min_u32_e32 v56, 32, v53
	v_lshrrev_b32_e32 v8, 24, v10
	v_subrev_u32_e32 v53, 28, v56
	v_lshlrev_b64 v[53:54], v53, v[8:9]
	v_bfe_u32 v28, v10, 24, 7
	v_bfe_u32 v55, v8, 3, 4
	v_sub_u32_e32 v54, 29, v56
	v_and_b32_e32 v53, 7, v53
	v_cmp_gt_u32_e32 vcc, 8, v28
	v_cndmask_b32_e32 v54, v55, v54, vcc
	v_cndmask_b32_e32 v23, v23, v53, vcc
	v_lshlrev_b32_e32 v23, 20, v23
	v_and_b32_e32 v53, 0x80000000, v10
	v_lshl_add_u32 v54, v54, 23, v17
	v_or3_b32 v23, v53, v54, v23
	v_cmp_ne_u32_e32 vcc, s85, v28
	v_cndmask_b32_e32 v23, v4, v23, vcc
	v_cmp_ne_u32_e32 vcc, s87, v8
	v_bfrev_b32_e32 v8, 1
	v_cndmask_b32_e32 v8, v8, v23, vcc
	v_cmp_lt_u32_e32 vcc, s57, v10
	v_cndmask_b32_e32 v8, 0, v8, vcc
	v_add_f32_e32 v8, v8, v9
	v_and_b32_e32 v28, 0x7f800000, v8
	v_cmp_ne_u64_e32 vcc, s[76:77], v[28:29]
                                        ; implicit-def: $vgpr23
	s_and_saveexec_b64 s[40:41], vcc
	s_xor_b64 s[36:37], exec, s[40:41]
	s_cbranch_execz .LBB2_3159
; %bb.3146:                             ;   in Loop: Header=BB2_2481 Depth=4
	v_and_b32_e32 v28, 0x7fffffff, v8
	v_cmp_gt_u64_e32 vcc, s[78:79], v[28:29]
	v_and_b32_sdwa v53, v8, s87 dst_sel:DWORD dst_unused:UNUSED_PAD src0_sel:BYTE_3 src1_sel:DWORD
                                        ; implicit-def: $vgpr23
	s_and_saveexec_b64 s[40:41], vcc
	s_xor_b64 s[38:39], exec, s[40:41]
	s_cbranch_execz .LBB2_3156
; %bb.3147:                             ;   in Loop: Header=BB2_2481 Depth=4
	v_mov_b32_e32 v23, 0
	v_cmp_ne_u32_e32 vcc, 0, v8
	s_and_saveexec_b64 s[48:49], vcc
	s_cbranch_execz .LBB2_3155
; %bb.3148:                             ;   in Loop: Header=BB2_2481 Depth=4
	v_bfe_u32 v23, v8, 23, 8
	v_and_b32_e32 v9, 0x7fffff, v8
	v_cmp_gt_u32_e64 s[40:41], s96, v23
	v_sub_u32_e32 v8, 0x79, v23
	v_cmp_eq_u32_e32 vcc, 0, v23
	v_cndmask_b32_e64 v8, 0, v8, s[40:41]
	v_cndmask_b32_e32 v58, v8, v36, vcc
	v_or_b32_e32 v28, 0x800000, v9
	v_add_u32_e32 v8, 20, v58
	v_cndmask_b32_e32 v28, v28, v9, vcc
	v_lshlrev_b64 v[8:9], v8, -1
	v_add_u32_e32 v54, 19, v58
	v_lshlrev_b64 v[54:55], v54, 1
	v_bfi_b32 v9, v9, 0, 0
	v_bfi_b32 v8, v8, 0, v28
	v_cmp_eq_u64_e64 s[40:41], v[8:9], v[54:55]
	v_lshrrev_b64 v[8:9], v58, v[28:29]
	v_mov_b32_e32 v57, v9
	v_mov_b32_e32 v56, v8
	s_and_saveexec_b64 s[50:51], s[40:41]
; %bb.3149:                             ;   in Loop: Header=BB2_2481 Depth=4
	v_bfe_u32 v9, v8, 20, 1
	v_add_co_u32_e64 v9, s[40:41], v8, v9
	v_add_co_u32_e64 v56, s[40:41], -1, v9
; %bb.3150:                             ;   in Loop: Header=BB2_2481 Depth=4
	s_or_b64 exec, exec, s[50:51]
	v_add_u32_e32 v9, 0xffffff81, v23
	v_cndmask_b32_e32 v9, v9, v37, vcc
	v_lshrrev_b32_e32 v23, 23, v8
	v_add3_u32 v58, v58, v9, v23
	v_add_u32_e32 v57, 6, v58
	v_and_b32_e32 v9, 0xfffff, v56
	v_add_u32_e32 v28, v9, v8
	v_cmp_ne_u32_e32 vcc, 0, v57
                                        ; implicit-def: $vgpr8_vgpr9
                                        ; implicit-def: $vgpr23
	s_and_saveexec_b64 s[40:41], vcc
	s_xor_b64 s[40:41], exec, s[40:41]
; %bb.3151:                             ;   in Loop: Header=BB2_2481 Depth=4
	v_cmp_lt_u64_e32 vcc, s[88:89], v[28:29]
	v_add_u32_e32 v8, 7, v58
	v_cndmask_b32_e32 v23, v57, v8, vcc
	v_cndmask_b32_e64 v8, 0, 1, vcc
	v_lshrrev_b64 v[8:9], v8, v[28:29]
; %bb.3152:                             ;   in Loop: Header=BB2_2481 Depth=4
	s_andn2_saveexec_b64 s[40:41], s[40:41]
; %bb.3153:                             ;   in Loop: Header=BB2_2481 Depth=4
	v_mov_b32_e32 v8, v28
	v_bfe_u32 v23, v28, 23, 1
	v_mov_b32_e32 v9, v29
; %bb.3154:                             ;   in Loop: Header=BB2_2481 Depth=4
	s_or_b64 exec, exec, s[40:41]
	v_lshrrev_b64 v[8:9], 20, v[8:9]
	v_cmp_gt_i32_e32 vcc, 16, v23
	v_cndmask_b32_e32 v9, 0, v9, vcc
	v_cndmask_b32_e32 v8, 7, v8, vcc
	v_cmp_eq_u64_e64 s[40:41], 0, v[8:9]
	v_min_i32_e32 v9, 15, v23
	v_lshlrev_b32_e32 v9, 3, v9
	v_cmp_eq_u32_e32 vcc, 0, v23
	v_and_b32_e32 v9, 0xf8, v9
	v_and_or_b32 v8, v8, 7, v9
	s_and_b64 s[40:41], vcc, s[40:41]
	v_cndmask_b32_e64 v8, v8, 0, s[40:41]
	v_or_b32_e32 v23, v8, v53
.LBB2_3155:                             ;   in Loop: Header=BB2_2481 Depth=4
	s_or_b64 exec, exec, s[48:49]
                                        ; implicit-def: $vgpr53
.LBB2_3156:                             ;   in Loop: Header=BB2_2481 Depth=4
	s_andn2_saveexec_b64 s[40:41], s[38:39]
; %bb.3157:                             ;   in Loop: Header=BB2_2481 Depth=4
	v_or_b32_e32 v23, 0x7e, v53
; %bb.3158:                             ;   in Loop: Header=BB2_2481 Depth=4
	s_or_b64 exec, exec, s[40:41]
                                        ; implicit-def: $vgpr8
.LBB2_3159:                             ;   in Loop: Header=BB2_2481 Depth=4
	s_andn2_saveexec_b64 s[40:41], s[36:37]
; %bb.3160:                             ;   in Loop: Header=BB2_2481 Depth=4
	v_or_b32_sdwa v23, v8, s85 dst_sel:DWORD dst_unused:UNUSED_PAD src0_sel:BYTE_3 src1_sel:DWORD
; %bb.3161:                             ;   in Loop: Header=BB2_2481 Depth=4
	s_or_b64 exec, exec, s[40:41]
	v_lshlrev_b32_e32 v8, 24, v34
	v_lshlrev_b32_e32 v9, 16, v35
	v_lshl_or_b32 v34, v2, 8, v6
	v_or3_b32 v28, v9, v8, v34
	v_cmp_ne_u32_e32 vcc, 0, v6
	v_mov_b32_e32 v2, 0
	s_and_saveexec_b64 s[40:41], vcc
	s_cbranch_execz .LBB2_3167
; %bb.3162:                             ;   in Loop: Header=BB2_2481 Depth=4
	v_cmp_ne_u32_e32 vcc, s87, v6
	v_bfrev_b32_e32 v2, 1
	s_and_saveexec_b64 s[36:37], vcc
	s_cbranch_execz .LBB2_3166
; %bb.3163:                             ;   in Loop: Header=BB2_2481 Depth=4
	v_and_b32_e32 v8, 0x7f, v6
	v_cmp_ne_u32_e32 vcc, s85, v8
	v_mov_b32_e32 v2, 0x7f800001
	s_and_saveexec_b64 s[38:39], vcc
	s_cbranch_execz .LBB2_3165
; %bb.3164:                             ;   in Loop: Header=BB2_2481 Depth=4
	v_and_b32_e32 v2, 7, v6
	v_ffbh_u32_e32 v2, v2
	v_min_u32_e32 v2, 32, v2
	v_lshrrev_b32_e32 v6, 3, v8
	v_cmp_gt_u32_e32 vcc, 8, v8
	v_subrev_u32_e32 v8, 28, v2
	v_sub_u32_e32 v2, 29, v2
	v_cndmask_b32_e32 v2, v6, v2, vcc
	v_cndmask_b32_e32 v6, 0, v8, vcc
	v_lshlrev_b64 v[8:9], v6, v[28:29]
	v_lshl_add_u32 v2, v2, 23, v17
	v_lshlrev_b32_e32 v6, 20, v8
	v_lshlrev_b32_e32 v8, 24, v28
	v_and_b32_e32 v6, 0x700000, v6
	v_and_b32_e32 v8, 0x80000000, v8
	v_or3_b32 v2, v8, v2, v6
.LBB2_3165:                             ;   in Loop: Header=BB2_2481 Depth=4
	s_or_b64 exec, exec, s[38:39]
.LBB2_3166:                             ;   in Loop: Header=BB2_2481 Depth=4
	s_or_b64 exec, exec, s[36:37]
.LBB2_3167:                             ;   in Loop: Header=BB2_2481 Depth=4
	s_or_b64 exec, exec, s[40:41]
	v_cmp_gt_i16_sdwa vcc, v11, s85 src0_sel:BYTE_0 src1_sel:DWORD
	s_mov_b64 s[40:41], 0
	s_and_saveexec_b64 s[36:37], vcc
	s_xor_b64 vcc, exec, s[36:37]
	s_cbranch_execz .LBB2_3171
; %bb.3168:                             ;   in Loop: Header=BB2_2481 Depth=4
	v_cmp_eq_u16_sdwa s[38:39], v11, s87 src0_sel:BYTE_0 src1_sel:DWORD
	s_mov_b64 s[40:41], -1
	s_and_saveexec_b64 s[36:37], s[38:39]
; %bb.3169:                             ;   in Loop: Header=BB2_2481 Depth=4
	s_xor_b64 s[40:41], exec, -1
; %bb.3170:                             ;   in Loop: Header=BB2_2481 Depth=4
	s_or_b64 exec, exec, s[36:37]
	s_and_b64 s[40:41], s[40:41], exec
.LBB2_3171:                             ;   in Loop: Header=BB2_2481 Depth=4
	s_or_saveexec_b64 vcc, vcc
	v_bfrev_b32_e32 v6, 1
	s_xor_b64 exec, exec, vcc
; %bb.3172:                             ;   in Loop: Header=BB2_2481 Depth=4
	v_cmp_ne_u16_sdwa s[36:37], v11, v29 src0_sel:BYTE_0 src1_sel:DWORD
	s_andn2_b64 s[40:41], s[40:41], exec
	s_and_b64 s[36:37], s[36:37], exec
	v_mov_b32_e32 v6, 0
	s_or_b64 s[40:41], s[40:41], s[36:37]
; %bb.3173:                             ;   in Loop: Header=BB2_2481 Depth=4
	s_or_b64 exec, exec, vcc
	v_mov_b32_e32 v8, v11
	v_mov_b32_e32 v9, v29
	s_and_saveexec_b64 s[36:37], s[40:41]
	s_cbranch_execz .LBB2_3175
; %bb.3174:                             ;   in Loop: Header=BB2_2481 Depth=4
	v_and_b32_e32 v6, 7, v11
	v_ffbh_u32_e32 v6, v6
	v_and_b32_e32 v35, 0x7f, v11
	v_min_u32_e32 v6, 32, v6
	v_bfe_u32 v53, v11, 3, 4
	v_subrev_u32_e32 v54, 28, v6
	v_sub_u32_e32 v6, 29, v6
	v_cmp_gt_u32_e32 vcc, 8, v35
	v_cndmask_b32_e32 v6, v53, v6, vcc
	v_cndmask_b32_e32 v53, 0, v54, vcc
	v_lshlrev_b64 v[53:54], v53, v[8:9]
	v_lshl_add_u32 v6, v6, 23, v17
	v_lshlrev_b32_e32 v9, 20, v53
	v_lshlrev_b32_e32 v53, 24, v8
	v_and_b32_e32 v9, 0x700000, v9
	v_and_b32_e32 v53, 0x80000000, v53
	v_or3_b32 v6, v53, v6, v9
	v_cmp_ne_u32_e32 vcc, s85, v35
	v_cndmask_b32_e32 v6, v4, v6, vcc
.LBB2_3175:                             ;   in Loop: Header=BB2_2481 Depth=4
	s_or_b64 exec, exec, s[36:37]
	v_add_f32_e32 v9, v2, v6
	v_and_b32_e32 v53, 0x7f800000, v9
	v_mov_b32_e32 v54, v29
	v_cmp_ne_u64_e32 vcc, s[76:77], v[53:54]
                                        ; implicit-def: $vgpr2
	s_and_saveexec_b64 s[40:41], vcc
	s_xor_b64 s[36:37], exec, s[40:41]
	s_cbranch_execz .LBB2_3189
; %bb.3176:                             ;   in Loop: Header=BB2_2481 Depth=4
	v_and_b32_e32 v53, 0x7fffffff, v9
	v_mov_b32_e32 v54, v29
	v_cmp_gt_u64_e32 vcc, s[78:79], v[53:54]
	v_and_b32_sdwa v6, v9, s87 dst_sel:DWORD dst_unused:UNUSED_PAD src0_sel:BYTE_3 src1_sel:DWORD
                                        ; implicit-def: $vgpr2
	s_and_saveexec_b64 s[40:41], vcc
	s_xor_b64 s[38:39], exec, s[40:41]
	s_cbranch_execz .LBB2_3186
; %bb.3177:                             ;   in Loop: Header=BB2_2481 Depth=4
	v_mov_b32_e32 v2, 0
	v_cmp_ne_u32_e32 vcc, 0, v9
	s_and_saveexec_b64 s[48:49], vcc
	s_cbranch_execz .LBB2_3185
; %bb.3178:                             ;   in Loop: Header=BB2_2481 Depth=4
	v_bfe_u32 v2, v9, 23, 8
	v_and_b32_e32 v35, 0x7fffff, v9
	v_cmp_gt_u32_e64 s[40:41], s96, v2
	v_sub_u32_e32 v9, 0x79, v2
	v_cmp_eq_u32_e32 vcc, 0, v2
	v_cndmask_b32_e64 v9, 0, v9, s[40:41]
	v_or_b32_e32 v53, 0x800000, v35
	v_cndmask_b32_e32 v9, v9, v36, vcc
	v_cndmask_b32_e32 v53, v53, v35, vcc
	v_add_u32_e32 v35, 20, v9
	v_lshlrev_b64 v[55:56], v35, -1
	v_add_u32_e32 v35, 19, v9
	v_lshlrev_b64 v[57:58], v35, 1
	v_mov_b32_e32 v54, v29
	v_bfi_b32 v56, v56, 0, 0
	v_bfi_b32 v55, v55, 0, v53
	v_cmp_eq_u64_e64 s[40:41], v[55:56], v[57:58]
	v_lshrrev_b64 v[56:57], v9, v[53:54]
	v_mov_b32_e32 v58, v57
	v_mov_b32_e32 v57, v56
	s_and_saveexec_b64 s[50:51], s[40:41]
; %bb.3179:                             ;   in Loop: Header=BB2_2481 Depth=4
	v_bfe_u32 v35, v56, 20, 1
	v_add_co_u32_e64 v35, s[40:41], v56, v35
	v_add_co_u32_e64 v57, s[40:41], -1, v35
; %bb.3180:                             ;   in Loop: Header=BB2_2481 Depth=4
	s_or_b64 exec, exec, s[50:51]
	v_add_u32_e32 v2, 0xffffff81, v2
	v_cndmask_b32_e32 v2, v2, v37, vcc
	v_lshrrev_b32_e32 v35, 23, v56
	v_add3_u32 v35, v9, v2, v35
	v_add_u32_e32 v9, 6, v35
	v_and_b32_e32 v2, 0xfffff, v57
	v_add_u32_e32 v56, v2, v56
	v_mov_b32_e32 v57, v29
	v_cmp_ne_u32_e32 vcc, 0, v9
                                        ; implicit-def: $vgpr2
	s_and_saveexec_b64 s[40:41], vcc
	s_xor_b64 s[40:41], exec, s[40:41]
; %bb.3181:                             ;   in Loop: Header=BB2_2481 Depth=4
	v_cmp_lt_u64_e32 vcc, s[88:89], v[56:57]
	v_add_u32_e32 v2, 7, v35
	v_cndmask_b32_e32 v2, v9, v2, vcc
	v_cndmask_b32_e64 v9, 0, 1, vcc
	v_lshrrev_b64 v[56:57], v9, v[56:57]
; %bb.3182:                             ;   in Loop: Header=BB2_2481 Depth=4
	s_andn2_saveexec_b64 s[40:41], s[40:41]
; %bb.3183:                             ;   in Loop: Header=BB2_2481 Depth=4
	v_bfe_u32 v2, v56, 23, 1
; %bb.3184:                             ;   in Loop: Header=BB2_2481 Depth=4
	s_or_b64 exec, exec, s[40:41]
	v_lshrrev_b64 v[53:54], 20, v[56:57]
	v_cmp_gt_i32_e32 vcc, 16, v2
	v_cndmask_b32_e32 v54, 0, v54, vcc
	v_cndmask_b32_e32 v53, 7, v53, vcc
	v_cmp_eq_u32_e32 vcc, 0, v2
	v_min_i32_e32 v2, 15, v2
	v_cmp_eq_u64_e64 s[40:41], 0, v[53:54]
	v_lshlrev_b32_e32 v2, 3, v2
	v_and_b32_e32 v2, 0xf8, v2
	v_and_or_b32 v2, v53, 7, v2
	s_and_b64 s[40:41], vcc, s[40:41]
	v_cndmask_b32_e64 v2, v2, 0, s[40:41]
	v_or_b32_e32 v2, v2, v6
.LBB2_3185:                             ;   in Loop: Header=BB2_2481 Depth=4
	s_or_b64 exec, exec, s[48:49]
                                        ; implicit-def: $vgpr6
.LBB2_3186:                             ;   in Loop: Header=BB2_2481 Depth=4
	s_andn2_saveexec_b64 s[40:41], s[38:39]
; %bb.3187:                             ;   in Loop: Header=BB2_2481 Depth=4
	v_or_b32_e32 v2, 0x7e, v6
; %bb.3188:                             ;   in Loop: Header=BB2_2481 Depth=4
	s_or_b64 exec, exec, s[40:41]
                                        ; implicit-def: $vgpr9
.LBB2_3189:                             ;   in Loop: Header=BB2_2481 Depth=4
	s_andn2_saveexec_b64 s[40:41], s[36:37]
; %bb.3190:                             ;   in Loop: Header=BB2_2481 Depth=4
	v_or_b32_sdwa v2, v9, s85 dst_sel:DWORD dst_unused:UNUSED_PAD src0_sel:BYTE_3 src1_sel:DWORD
; %bb.3191:                             ;   in Loop: Header=BB2_2481 Depth=4
	s_or_b64 exec, exec, s[40:41]
	v_lshrrev_b16_e32 v9, 8, v34
	v_cmp_ne_u16_e32 vcc, 0, v9
	v_mov_b32_e32 v6, 0
	s_and_saveexec_b64 s[40:41], vcc
	s_cbranch_execz .LBB2_3197
; %bb.3192:                             ;   in Loop: Header=BB2_2481 Depth=4
	v_cmp_ne_u16_e32 vcc, s87, v9
	v_bfrev_b32_e32 v6, 1
	s_and_saveexec_b64 s[36:37], vcc
	s_cbranch_execz .LBB2_3196
; %bb.3193:                             ;   in Loop: Header=BB2_2481 Depth=4
	v_and_b32_e32 v35, 0x7f, v9
	v_cmp_ne_u32_e32 vcc, s85, v35
	v_mov_b32_e32 v6, 0x7f800001
	s_and_saveexec_b64 s[38:39], vcc
	s_cbranch_execz .LBB2_3195
; %bb.3194:                             ;   in Loop: Header=BB2_2481 Depth=4
	v_and_b32_e32 v6, 7, v9
	v_lshrrev_b32_e32 v55, 3, v35
	v_cmp_gt_u32_e32 vcc, 8, v35
	v_ffbh_u32_e32 v35, v6
	v_min_u32_e32 v35, 32, v35
	v_subrev_u32_e32 v53, 28, v35
	v_lshlrev_b64 v[53:54], v53, v[9:10]
	v_sub_u32_e32 v9, 29, v35
	v_and_b32_e32 v35, 7, v53
	v_cndmask_b32_e32 v9, v55, v9, vcc
	v_cndmask_b32_e32 v6, v6, v35, vcc
	v_lshlrev_b32_e32 v34, 16, v34
	v_lshlrev_b32_e32 v6, 20, v6
	v_and_b32_e32 v34, 0x80000000, v34
	v_lshl_add_u32 v9, v9, 23, v17
	v_or3_b32 v6, v34, v9, v6
.LBB2_3195:                             ;   in Loop: Header=BB2_2481 Depth=4
	s_or_b64 exec, exec, s[38:39]
.LBB2_3196:                             ;   in Loop: Header=BB2_2481 Depth=4
	s_or_b64 exec, exec, s[36:37]
.LBB2_3197:                             ;   in Loop: Header=BB2_2481 Depth=4
	s_or_b64 exec, exec, s[40:41]
	v_lshrrev_b16_e32 v8, 8, v8
	v_cmp_lt_i16_e32 vcc, s85, v8
	s_mov_b64 s[40:41], 0
	s_and_saveexec_b64 s[36:37], vcc
	s_xor_b64 s[36:37], exec, s[36:37]
	s_cbranch_execz .LBB2_3285
; %bb.3198:                             ;   in Loop: Header=BB2_2481 Depth=4
	v_cmp_eq_u16_e32 vcc, s87, v8
	s_mov_b64 s[40:41], -1
	s_and_saveexec_b64 s[38:39], vcc
; %bb.3199:                             ;   in Loop: Header=BB2_2481 Depth=4
	s_xor_b64 s[40:41], exec, -1
; %bb.3200:                             ;   in Loop: Header=BB2_2481 Depth=4
	s_or_b64 exec, exec, s[38:39]
	s_and_b64 s[40:41], s[40:41], exec
	s_or_saveexec_b64 s[36:37], s[36:37]
	v_bfrev_b32_e32 v9, 1
	s_xor_b64 exec, exec, s[36:37]
	s_cbranch_execnz .LBB2_3286
.LBB2_3201:                             ;   in Loop: Header=BB2_2481 Depth=4
	s_or_b64 exec, exec, s[36:37]
	s_and_saveexec_b64 s[36:37], s[40:41]
	s_cbranch_execz .LBB2_3203
.LBB2_3202:                             ;   in Loop: Header=BB2_2481 Depth=4
	v_and_b32_e32 v53, 7, v8
	v_ffbh_u32_e32 v34, v53
	v_min_u32_e32 v56, 32, v34
	v_mov_b32_e32 v9, v29
	v_subrev_u32_e32 v34, 28, v56
	v_lshlrev_b64 v[34:35], v34, v[8:9]
	v_and_b32_e32 v54, 0x7f, v8
	v_bfe_u32 v55, v8, 3, 4
	v_sub_u32_e32 v9, 29, v56
	v_and_b32_e32 v34, 7, v34
	v_cmp_gt_u32_e32 vcc, 8, v54
	v_cndmask_b32_e32 v9, v55, v9, vcc
	v_cndmask_b32_e32 v34, v53, v34, vcc
	v_lshlrev_b32_e32 v8, 24, v8
	v_lshlrev_b32_e32 v34, 20, v34
	v_and_b32_e32 v8, 0x80000000, v8
	v_lshl_add_u32 v9, v9, 23, v17
	v_or3_b32 v8, v8, v9, v34
	v_cmp_ne_u32_e32 vcc, s85, v54
	v_cndmask_b32_e32 v9, v4, v8, vcc
.LBB2_3203:                             ;   in Loop: Header=BB2_2481 Depth=4
	s_or_b64 exec, exec, s[36:37]
	v_add_f32_e32 v8, v6, v9
	v_and_b32_e32 v34, 0x7f800000, v8
	v_mov_b32_e32 v35, v29
	v_cmp_ne_u64_e32 vcc, s[76:77], v[34:35]
                                        ; implicit-def: $vgpr6
	s_and_saveexec_b64 s[40:41], vcc
	s_xor_b64 s[36:37], exec, s[40:41]
	s_cbranch_execz .LBB2_3217
; %bb.3204:                             ;   in Loop: Header=BB2_2481 Depth=4
	v_and_b32_e32 v34, 0x7fffffff, v8
	v_mov_b32_e32 v35, v29
	v_cmp_gt_u64_e32 vcc, s[78:79], v[34:35]
	v_and_b32_sdwa v34, v8, s87 dst_sel:DWORD dst_unused:UNUSED_PAD src0_sel:BYTE_3 src1_sel:DWORD
                                        ; implicit-def: $vgpr6
	s_and_saveexec_b64 s[40:41], vcc
	s_xor_b64 s[38:39], exec, s[40:41]
	s_cbranch_execz .LBB2_3214
; %bb.3205:                             ;   in Loop: Header=BB2_2481 Depth=4
	v_mov_b32_e32 v6, 0
	v_cmp_ne_u32_e32 vcc, 0, v8
	s_and_saveexec_b64 s[48:49], vcc
	s_cbranch_execz .LBB2_3213
; %bb.3206:                             ;   in Loop: Header=BB2_2481 Depth=4
	v_bfe_u32 v6, v8, 23, 8
	v_and_b32_e32 v9, 0x7fffff, v8
	v_cmp_gt_u32_e64 s[40:41], s96, v6
	v_sub_u32_e32 v8, 0x79, v6
	v_cmp_eq_u32_e32 vcc, 0, v6
	v_cndmask_b32_e64 v8, 0, v8, s[40:41]
	v_or_b32_e32 v53, 0x800000, v9
	v_cndmask_b32_e32 v35, v8, v36, vcc
	v_cndmask_b32_e32 v8, v53, v9, vcc
	v_add_u32_e32 v53, 20, v35
	v_lshlrev_b64 v[53:54], v53, -1
	v_mov_b32_e32 v9, v29
	v_add_u32_e32 v55, 19, v35
	v_bfi_b32 v53, v53, 0, v8
	v_lshlrev_b64 v[55:56], v55, 1
	v_lshrrev_b64 v[8:9], v35, v[8:9]
	v_bfi_b32 v54, v54, 0, 0
	v_cmp_eq_u64_e64 s[40:41], v[53:54], v[55:56]
	v_mov_b32_e32 v57, v9
	v_mov_b32_e32 v56, v8
	s_and_saveexec_b64 s[50:51], s[40:41]
; %bb.3207:                             ;   in Loop: Header=BB2_2481 Depth=4
	v_bfe_u32 v9, v8, 20, 1
	v_add_co_u32_e64 v9, s[40:41], v8, v9
	v_add_co_u32_e64 v56, s[40:41], -1, v9
; %bb.3208:                             ;   in Loop: Header=BB2_2481 Depth=4
	s_or_b64 exec, exec, s[50:51]
	v_add_u32_e32 v6, 0xffffff81, v6
	v_cndmask_b32_e32 v6, v6, v37, vcc
	v_lshrrev_b32_e32 v9, 23, v8
	v_add3_u32 v53, v35, v6, v9
	v_add_u32_e32 v35, 6, v53
	v_and_b32_e32 v6, 0xfffff, v56
	v_add_u32_e32 v8, v6, v8
	v_mov_b32_e32 v9, v29
	v_cmp_ne_u32_e32 vcc, 0, v35
                                        ; implicit-def: $vgpr6
	s_and_saveexec_b64 s[40:41], vcc
	s_xor_b64 s[40:41], exec, s[40:41]
; %bb.3209:                             ;   in Loop: Header=BB2_2481 Depth=4
	v_cmp_lt_u64_e32 vcc, s[88:89], v[8:9]
	v_add_u32_e32 v6, 7, v53
	v_cndmask_b32_e32 v6, v35, v6, vcc
	v_cndmask_b32_e64 v35, 0, 1, vcc
	v_lshrrev_b64 v[8:9], v35, v[8:9]
; %bb.3210:                             ;   in Loop: Header=BB2_2481 Depth=4
	s_andn2_saveexec_b64 s[40:41], s[40:41]
; %bb.3211:                             ;   in Loop: Header=BB2_2481 Depth=4
	v_bfe_u32 v6, v8, 23, 1
; %bb.3212:                             ;   in Loop: Header=BB2_2481 Depth=4
	s_or_b64 exec, exec, s[40:41]
	v_lshrrev_b64 v[8:9], 20, v[8:9]
	v_cmp_gt_i32_e32 vcc, 16, v6
	v_cndmask_b32_e32 v9, 0, v9, vcc
	v_cndmask_b32_e32 v8, 7, v8, vcc
	v_cmp_eq_u32_e32 vcc, 0, v6
	v_min_i32_e32 v6, 15, v6
	v_cmp_eq_u64_e64 s[40:41], 0, v[8:9]
	v_lshlrev_b32_e32 v6, 3, v6
	v_and_b32_e32 v6, 0xf8, v6
	v_and_or_b32 v6, v8, 7, v6
	s_and_b64 s[40:41], vcc, s[40:41]
	v_cndmask_b32_e64 v6, v6, 0, s[40:41]
	v_or_b32_e32 v6, v6, v34
.LBB2_3213:                             ;   in Loop: Header=BB2_2481 Depth=4
	s_or_b64 exec, exec, s[48:49]
                                        ; implicit-def: $vgpr34
.LBB2_3214:                             ;   in Loop: Header=BB2_2481 Depth=4
	s_andn2_saveexec_b64 s[40:41], s[38:39]
; %bb.3215:                             ;   in Loop: Header=BB2_2481 Depth=4
	v_or_b32_e32 v6, 0x7e, v34
; %bb.3216:                             ;   in Loop: Header=BB2_2481 Depth=4
	s_or_b64 exec, exec, s[40:41]
                                        ; implicit-def: $vgpr8
.LBB2_3217:                             ;   in Loop: Header=BB2_2481 Depth=4
	s_andn2_saveexec_b64 s[40:41], s[36:37]
; %bb.3218:                             ;   in Loop: Header=BB2_2481 Depth=4
	v_or_b32_sdwa v6, v8, s85 dst_sel:DWORD dst_unused:UNUSED_PAD src0_sel:BYTE_3 src1_sel:DWORD
; %bb.3219:                             ;   in Loop: Header=BB2_2481 Depth=4
	s_or_b64 exec, exec, s[40:41]
	v_lshrrev_b32_e32 v8, 16, v28
	v_cmp_ne_u16_sdwa vcc, v8, v29 src0_sel:BYTE_0 src1_sel:DWORD
	v_mov_b32_e32 v9, 0
	s_and_saveexec_b64 s[40:41], vcc
	s_cbranch_execz .LBB2_3225
; %bb.3220:                             ;   in Loop: Header=BB2_2481 Depth=4
	v_cmp_ne_u16_sdwa vcc, v8, s87 src0_sel:BYTE_0 src1_sel:DWORD
	v_bfrev_b32_e32 v9, 1
	s_and_saveexec_b64 s[36:37], vcc
	s_cbranch_execz .LBB2_3224
; %bb.3221:                             ;   in Loop: Header=BB2_2481 Depth=4
	v_bfe_u32 v34, v28, 16, 7
	v_cmp_ne_u32_e32 vcc, s85, v34
	v_mov_b32_e32 v9, 0x7f800001
	s_and_saveexec_b64 s[38:39], vcc
	s_cbranch_execz .LBB2_3223
; %bb.3222:                             ;   in Loop: Header=BB2_2481 Depth=4
	v_and_b32_e32 v9, 7, v8
	v_lshrrev_b32_e32 v53, 3, v34
	v_cmp_gt_u32_e32 vcc, 8, v34
	v_ffbh_u32_e32 v34, v9
	v_min_u32_e32 v54, 32, v34
	v_subrev_u32_e32 v34, 28, v54
	v_lshlrev_b64 v[34:35], v34, v[8:9]
	v_sub_u32_e32 v35, 29, v54
	v_and_b32_e32 v34, 7, v34
	v_cndmask_b32_e32 v35, v53, v35, vcc
	v_cndmask_b32_e32 v9, v9, v34, vcc
	v_lshlrev_b32_e32 v8, 24, v8
	v_lshlrev_b32_e32 v9, 20, v9
	v_and_b32_e32 v8, 0x80000000, v8
	v_lshl_add_u32 v34, v35, 23, v17
	v_or3_b32 v9, v8, v34, v9
.LBB2_3223:                             ;   in Loop: Header=BB2_2481 Depth=4
	s_or_b64 exec, exec, s[38:39]
.LBB2_3224:                             ;   in Loop: Header=BB2_2481 Depth=4
	s_or_b64 exec, exec, s[36:37]
.LBB2_3225:                             ;   in Loop: Header=BB2_2481 Depth=4
	s_or_b64 exec, exec, s[40:41]
	v_lshrrev_b32_e32 v8, 16, v11
	v_cmp_gt_i16_sdwa vcc, v8, s85 src0_sel:BYTE_0 src1_sel:DWORD
	s_mov_b64 s[40:41], 0
	s_and_saveexec_b64 s[36:37], vcc
	s_xor_b64 vcc, exec, s[36:37]
	s_cbranch_execz .LBB2_3287
; %bb.3226:                             ;   in Loop: Header=BB2_2481 Depth=4
	v_cmp_eq_u16_sdwa s[38:39], v8, s87 src0_sel:BYTE_0 src1_sel:DWORD
	s_mov_b64 s[40:41], -1
	s_and_saveexec_b64 s[36:37], s[38:39]
; %bb.3227:                             ;   in Loop: Header=BB2_2481 Depth=4
	s_xor_b64 s[40:41], exec, -1
; %bb.3228:                             ;   in Loop: Header=BB2_2481 Depth=4
	s_or_b64 exec, exec, s[36:37]
	s_and_b64 s[40:41], s[40:41], exec
	s_or_saveexec_b64 vcc, vcc
	v_bfrev_b32_e32 v34, 1
	s_xor_b64 exec, exec, vcc
	s_cbranch_execnz .LBB2_3288
.LBB2_3229:                             ;   in Loop: Header=BB2_2481 Depth=4
	s_or_b64 exec, exec, vcc
	s_and_saveexec_b64 s[36:37], s[40:41]
	s_cbranch_execz .LBB2_3231
.LBB2_3230:                             ;   in Loop: Header=BB2_2481 Depth=4
	v_and_b32_e32 v53, 7, v8
	v_ffbh_u32_e32 v34, v53
	v_min_u32_e32 v56, 32, v34
	v_subrev_u32_e32 v34, 28, v56
	v_lshlrev_b64 v[34:35], v34, v[8:9]
	v_and_b32_e32 v54, 0x7f, v8
	v_bfe_u32 v55, v8, 3, 4
	v_sub_u32_e32 v35, 29, v56
	v_and_b32_e32 v34, 7, v34
	v_cmp_gt_u32_e32 vcc, 8, v54
	v_cndmask_b32_e32 v35, v55, v35, vcc
	v_cndmask_b32_e32 v34, v53, v34, vcc
	v_lshlrev_b32_e32 v8, 24, v8
	v_lshlrev_b32_e32 v34, 20, v34
	v_and_b32_e32 v8, 0x80000000, v8
	v_lshl_add_u32 v35, v35, 23, v17
	v_or3_b32 v8, v8, v35, v34
	v_cmp_ne_u32_e32 vcc, s85, v54
	v_cndmask_b32_e32 v34, v4, v8, vcc
.LBB2_3231:                             ;   in Loop: Header=BB2_2481 Depth=4
	s_or_b64 exec, exec, s[36:37]
	v_add_f32_e32 v8, v9, v34
	v_and_b32_e32 v34, 0x7f800000, v8
	v_mov_b32_e32 v35, v29
	v_cmp_ne_u64_e32 vcc, s[76:77], v[34:35]
                                        ; implicit-def: $vgpr34
	s_and_saveexec_b64 s[40:41], vcc
	s_xor_b64 s[36:37], exec, s[40:41]
	s_cbranch_execz .LBB2_3245
; %bb.3232:                             ;   in Loop: Header=BB2_2481 Depth=4
	v_and_b32_e32 v34, 0x7fffffff, v8
	v_mov_b32_e32 v35, v29
	v_cmp_gt_u64_e32 vcc, s[78:79], v[34:35]
	v_and_b32_sdwa v35, v8, s87 dst_sel:DWORD dst_unused:UNUSED_PAD src0_sel:BYTE_3 src1_sel:DWORD
                                        ; implicit-def: $vgpr34
	s_and_saveexec_b64 s[40:41], vcc
	s_xor_b64 s[38:39], exec, s[40:41]
	s_cbranch_execz .LBB2_3242
; %bb.3233:                             ;   in Loop: Header=BB2_2481 Depth=4
	v_mov_b32_e32 v34, 0
	v_cmp_ne_u32_e32 vcc, 0, v8
	s_and_saveexec_b64 s[48:49], vcc
	s_cbranch_execz .LBB2_3241
; %bb.3234:                             ;   in Loop: Header=BB2_2481 Depth=4
	v_bfe_u32 v34, v8, 23, 8
	v_and_b32_e32 v9, 0x7fffff, v8
	v_cmp_gt_u32_e64 s[40:41], s96, v34
	v_sub_u32_e32 v8, 0x79, v34
	v_cmp_eq_u32_e32 vcc, 0, v34
	v_cndmask_b32_e64 v8, 0, v8, s[40:41]
	v_or_b32_e32 v54, 0x800000, v9
	v_cndmask_b32_e32 v53, v8, v36, vcc
	v_cndmask_b32_e32 v8, v54, v9, vcc
	v_add_u32_e32 v54, 20, v53
	v_lshlrev_b64 v[54:55], v54, -1
	v_mov_b32_e32 v9, v29
	v_add_u32_e32 v56, 19, v53
	v_bfi_b32 v54, v54, 0, v8
	v_lshlrev_b64 v[56:57], v56, 1
	v_lshrrev_b64 v[8:9], v53, v[8:9]
	v_bfi_b32 v55, v55, 0, 0
	v_cmp_eq_u64_e64 s[40:41], v[54:55], v[56:57]
	v_mov_b32_e32 v57, v9
	v_mov_b32_e32 v56, v8
	s_and_saveexec_b64 s[50:51], s[40:41]
; %bb.3235:                             ;   in Loop: Header=BB2_2481 Depth=4
	v_bfe_u32 v9, v8, 20, 1
	v_add_co_u32_e64 v9, s[40:41], v8, v9
	v_add_co_u32_e64 v56, s[40:41], -1, v9
; %bb.3236:                             ;   in Loop: Header=BB2_2481 Depth=4
	s_or_b64 exec, exec, s[50:51]
	v_add_u32_e32 v9, 0xffffff81, v34
	v_cndmask_b32_e32 v9, v9, v37, vcc
	v_lshrrev_b32_e32 v34, 23, v8
	v_add3_u32 v57, v53, v9, v34
	v_add_u32_e32 v53, 6, v57
	v_and_b32_e32 v9, 0xfffff, v56
	v_add_u32_e32 v8, v9, v8
	v_mov_b32_e32 v9, v29
	v_cmp_ne_u32_e32 vcc, 0, v53
                                        ; implicit-def: $vgpr34
	s_and_saveexec_b64 s[40:41], vcc
	s_xor_b64 s[40:41], exec, s[40:41]
; %bb.3237:                             ;   in Loop: Header=BB2_2481 Depth=4
	v_cmp_lt_u64_e32 vcc, s[88:89], v[8:9]
	v_add_u32_e32 v34, 7, v57
	v_cndmask_b32_e32 v34, v53, v34, vcc
	v_cndmask_b32_e64 v53, 0, 1, vcc
	v_lshrrev_b64 v[8:9], v53, v[8:9]
; %bb.3238:                             ;   in Loop: Header=BB2_2481 Depth=4
	s_andn2_saveexec_b64 s[40:41], s[40:41]
; %bb.3239:                             ;   in Loop: Header=BB2_2481 Depth=4
	v_bfe_u32 v34, v8, 23, 1
; %bb.3240:                             ;   in Loop: Header=BB2_2481 Depth=4
	s_or_b64 exec, exec, s[40:41]
	v_lshrrev_b64 v[8:9], 20, v[8:9]
	v_cmp_gt_i32_e32 vcc, 16, v34
	v_cndmask_b32_e32 v9, 0, v9, vcc
	v_cndmask_b32_e32 v8, 7, v8, vcc
	v_cmp_eq_u64_e64 s[40:41], 0, v[8:9]
	v_min_i32_e32 v9, 15, v34
	v_lshlrev_b32_e32 v9, 3, v9
	v_cmp_eq_u32_e32 vcc, 0, v34
	v_and_b32_e32 v9, 0xf8, v9
	v_and_or_b32 v8, v8, 7, v9
	s_and_b64 s[40:41], vcc, s[40:41]
	v_cndmask_b32_e64 v8, v8, 0, s[40:41]
	v_or_b32_e32 v34, v8, v35
.LBB2_3241:                             ;   in Loop: Header=BB2_2481 Depth=4
	s_or_b64 exec, exec, s[48:49]
                                        ; implicit-def: $vgpr35
.LBB2_3242:                             ;   in Loop: Header=BB2_2481 Depth=4
	s_andn2_saveexec_b64 s[40:41], s[38:39]
; %bb.3243:                             ;   in Loop: Header=BB2_2481 Depth=4
	v_or_b32_e32 v34, 0x7e, v35
; %bb.3244:                             ;   in Loop: Header=BB2_2481 Depth=4
	s_or_b64 exec, exec, s[40:41]
                                        ; implicit-def: $vgpr8
.LBB2_3245:                             ;   in Loop: Header=BB2_2481 Depth=4
	s_andn2_saveexec_b64 s[40:41], s[36:37]
; %bb.3246:                             ;   in Loop: Header=BB2_2481 Depth=4
	v_or_b32_sdwa v34, v8, s85 dst_sel:DWORD dst_unused:UNUSED_PAD src0_sel:BYTE_3 src1_sel:DWORD
; %bb.3247:                             ;   in Loop: Header=BB2_2481 Depth=4
	s_or_b64 exec, exec, s[40:41]
	v_cmp_lt_u32_e32 vcc, s57, v28
	v_mov_b32_e32 v9, 0
	s_and_saveexec_b64 s[40:41], vcc
	s_cbranch_execz .LBB2_3253
; %bb.3248:                             ;   in Loop: Header=BB2_2481 Depth=4
	v_lshrrev_b32_e32 v8, 24, v28
	v_cmp_ne_u32_sdwa vcc, v28, s87 src0_sel:BYTE_3 src1_sel:DWORD
	v_bfrev_b32_e32 v9, 1
	s_and_saveexec_b64 s[36:37], vcc
	s_cbranch_execz .LBB2_3252
; %bb.3249:                             ;   in Loop: Header=BB2_2481 Depth=4
	v_bfe_u32 v35, v28, 24, 7
	v_cmp_ne_u32_e32 vcc, s85, v35
	v_mov_b32_e32 v9, 0x7f800001
	s_and_saveexec_b64 s[38:39], vcc
	s_cbranch_execz .LBB2_3251
; %bb.3250:                             ;   in Loop: Header=BB2_2481 Depth=4
	v_and_b32_e32 v53, 7, v8
	v_ffbh_u32_e32 v9, v53
	v_lshrrev_b32_e32 v54, 3, v35
	v_cmp_gt_u32_e32 vcc, 8, v35
	v_min_u32_e32 v35, 32, v9
	v_subrev_u32_e32 v9, 28, v35
	v_lshlrev_b64 v[8:9], v9, v[8:9]
	v_sub_u32_e32 v9, 29, v35
	v_and_b32_e32 v8, 7, v8
	v_mov_b32_e32 v35, 24
	v_cndmask_b32_e32 v9, v54, v9, vcc
	v_cndmask_b32_e32 v8, v53, v8, vcc
	v_lshlrev_b32_sdwa v28, v35, v28 dst_sel:DWORD dst_unused:UNUSED_PAD src0_sel:DWORD src1_sel:BYTE_3
	v_lshlrev_b32_e32 v8, 20, v8
	v_and_b32_e32 v28, 0x80000000, v28
	v_lshl_add_u32 v9, v9, 23, v17
	v_or3_b32 v9, v28, v9, v8
.LBB2_3251:                             ;   in Loop: Header=BB2_2481 Depth=4
	s_or_b64 exec, exec, s[38:39]
.LBB2_3252:                             ;   in Loop: Header=BB2_2481 Depth=4
	s_or_b64 exec, exec, s[36:37]
.LBB2_3253:                             ;   in Loop: Header=BB2_2481 Depth=4
	s_or_b64 exec, exec, s[40:41]
	v_bfe_u32 v28, v11, 24, 3
	v_ffbh_u32_e32 v53, v28
	v_min_u32_e32 v56, 32, v53
	v_lshrrev_b32_e32 v8, 24, v11
	v_subrev_u32_e32 v53, 28, v56
	v_lshlrev_b64 v[53:54], v53, v[8:9]
	v_bfe_u32 v35, v11, 24, 7
	v_bfe_u32 v55, v8, 3, 4
	v_sub_u32_e32 v54, 29, v56
	v_and_b32_e32 v53, 7, v53
	v_cmp_gt_u32_e32 vcc, 8, v35
	v_cndmask_b32_e32 v54, v55, v54, vcc
	v_cndmask_b32_e32 v28, v28, v53, vcc
	v_lshlrev_b32_e32 v28, 20, v28
	v_and_b32_e32 v53, 0x80000000, v11
	v_lshl_add_u32 v54, v54, 23, v17
	v_or3_b32 v28, v53, v54, v28
	v_cmp_ne_u32_e32 vcc, s85, v35
	v_cndmask_b32_e32 v28, v4, v28, vcc
	v_cmp_ne_u32_e32 vcc, s87, v8
	v_bfrev_b32_e32 v8, 1
	v_cndmask_b32_e32 v8, v8, v28, vcc
	v_cmp_lt_u64_e32 vcc, s[56:57], v[10:11]
	v_cndmask_b32_e32 v8, 0, v8, vcc
	v_add_f32_e32 v9, v8, v9
	v_and_b32_e32 v28, 0x7f800000, v9
	v_cmp_ne_u64_e32 vcc, s[76:77], v[28:29]
                                        ; implicit-def: $vgpr8
	s_and_saveexec_b64 s[40:41], vcc
	s_xor_b64 s[36:37], exec, s[40:41]
	s_cbranch_execz .LBB2_3267
; %bb.3254:                             ;   in Loop: Header=BB2_2481 Depth=4
	v_and_b32_e32 v28, 0x7fffffff, v9
	v_cmp_gt_u64_e32 vcc, s[78:79], v[28:29]
	v_and_b32_sdwa v11, v9, s87 dst_sel:DWORD dst_unused:UNUSED_PAD src0_sel:BYTE_3 src1_sel:DWORD
                                        ; implicit-def: $vgpr8
	s_and_saveexec_b64 s[40:41], vcc
	s_xor_b64 s[38:39], exec, s[40:41]
	s_cbranch_execz .LBB2_3264
; %bb.3255:                             ;   in Loop: Header=BB2_2481 Depth=4
	v_mov_b32_e32 v8, 0
	v_cmp_ne_u32_e32 vcc, 0, v9
	s_and_saveexec_b64 s[48:49], vcc
	s_cbranch_execz .LBB2_3263
; %bb.3256:                             ;   in Loop: Header=BB2_2481 Depth=4
	v_bfe_u32 v35, v9, 23, 8
	v_and_b32_e32 v8, 0x7fffff, v9
	v_cmp_gt_u32_e64 s[40:41], s96, v35
	v_sub_u32_e32 v9, 0x79, v35
	v_cmp_eq_u32_e32 vcc, 0, v35
	v_cndmask_b32_e64 v9, 0, v9, s[40:41]
	v_or_b32_e32 v10, 0x800000, v8
	v_cndmask_b32_e32 v53, v9, v36, vcc
	v_cndmask_b32_e32 v28, v10, v8, vcc
	v_add_u32_e32 v8, 20, v53
	v_lshlrev_b64 v[8:9], v8, -1
	v_add_u32_e32 v10, 19, v53
	v_lshlrev_b64 v[54:55], v10, 1
	v_bfi_b32 v9, v9, 0, 0
	v_bfi_b32 v8, v8, 0, v28
	v_cmp_eq_u64_e64 s[40:41], v[8:9], v[54:55]
	v_lshrrev_b64 v[8:9], v53, v[28:29]
	v_mov_b32_e32 v10, v9
	v_mov_b32_e32 v9, v8
	s_and_saveexec_b64 s[50:51], s[40:41]
; %bb.3257:                             ;   in Loop: Header=BB2_2481 Depth=4
	v_bfe_u32 v9, v8, 20, 1
	v_add_co_u32_e64 v9, s[40:41], v8, v9
	v_add_co_u32_e64 v9, s[40:41], -1, v9
; %bb.3258:                             ;   in Loop: Header=BB2_2481 Depth=4
	s_or_b64 exec, exec, s[50:51]
	v_add_u32_e32 v10, 0xffffff81, v35
	v_cndmask_b32_e32 v10, v10, v37, vcc
	v_lshrrev_b32_e32 v28, 23, v8
	v_add3_u32 v53, v53, v10, v28
	v_add_u32_e32 v35, 6, v53
	v_and_b32_e32 v9, 0xfffff, v9
	v_add_u32_e32 v28, v9, v8
	v_cmp_ne_u32_e32 vcc, 0, v35
                                        ; implicit-def: $vgpr8_vgpr9
                                        ; implicit-def: $vgpr10
	s_and_saveexec_b64 s[40:41], vcc
	s_xor_b64 s[40:41], exec, s[40:41]
; %bb.3259:                             ;   in Loop: Header=BB2_2481 Depth=4
	v_cmp_lt_u64_e32 vcc, s[88:89], v[28:29]
	v_add_u32_e32 v8, 7, v53
	v_cndmask_b32_e32 v10, v35, v8, vcc
	v_cndmask_b32_e64 v8, 0, 1, vcc
	v_lshrrev_b64 v[8:9], v8, v[28:29]
; %bb.3260:                             ;   in Loop: Header=BB2_2481 Depth=4
	s_andn2_saveexec_b64 s[40:41], s[40:41]
; %bb.3261:                             ;   in Loop: Header=BB2_2481 Depth=4
	v_mov_b32_e32 v8, v28
	v_bfe_u32 v10, v28, 23, 1
	v_mov_b32_e32 v9, v29
; %bb.3262:                             ;   in Loop: Header=BB2_2481 Depth=4
	s_or_b64 exec, exec, s[40:41]
	v_lshrrev_b64 v[8:9], 20, v[8:9]
	v_cmp_gt_i32_e32 vcc, 16, v10
	v_cndmask_b32_e32 v9, 0, v9, vcc
	v_cndmask_b32_e32 v8, 7, v8, vcc
	v_cmp_eq_u64_e64 s[40:41], 0, v[8:9]
	v_min_i32_e32 v9, 15, v10
	v_lshlrev_b32_e32 v9, 3, v9
	v_cmp_eq_u32_e32 vcc, 0, v10
	v_and_b32_e32 v9, 0xf8, v9
	v_and_or_b32 v8, v8, 7, v9
	s_and_b64 s[40:41], vcc, s[40:41]
	v_cndmask_b32_e64 v8, v8, 0, s[40:41]
	v_or_b32_e32 v8, v8, v11
.LBB2_3263:                             ;   in Loop: Header=BB2_2481 Depth=4
	s_or_b64 exec, exec, s[48:49]
                                        ; implicit-def: $vgpr11
.LBB2_3264:                             ;   in Loop: Header=BB2_2481 Depth=4
	s_andn2_saveexec_b64 s[40:41], s[38:39]
; %bb.3265:                             ;   in Loop: Header=BB2_2481 Depth=4
	v_or_b32_e32 v8, 0x7e, v11
; %bb.3266:                             ;   in Loop: Header=BB2_2481 Depth=4
	s_or_b64 exec, exec, s[40:41]
                                        ; implicit-def: $vgpr9
.LBB2_3267:                             ;   in Loop: Header=BB2_2481 Depth=4
	s_andn2_saveexec_b64 s[40:41], s[36:37]
	s_cbranch_execz .LBB2_2480
; %bb.3268:                             ;   in Loop: Header=BB2_2481 Depth=4
	v_or_b32_sdwa v8, v9, s85 dst_sel:DWORD dst_unused:UNUSED_PAD src0_sel:BYTE_3 src1_sel:DWORD
	s_branch .LBB2_2480
.LBB2_3269:                             ;   in Loop: Header=BB2_2481 Depth=4
	s_or_saveexec_b64 vcc, vcc
	v_bfrev_b32_e32 v5, 1
	s_xor_b64 exec, exec, vcc
	s_cbranch_execz .LBB2_2851
.LBB2_3270:                             ;   in Loop: Header=BB2_2481 Depth=4
	v_cmp_ne_u16_sdwa s[36:37], v8, v29 src0_sel:BYTE_0 src1_sel:DWORD
	s_andn2_b64 s[40:41], s[40:41], exec
	s_and_b64 s[36:37], s[36:37], exec
	v_mov_b32_e32 v5, 0
	s_or_b64 s[40:41], s[40:41], s[36:37]
	s_or_b64 exec, exec, vcc
	s_and_saveexec_b64 s[36:37], s[40:41]
	s_cbranch_execnz .LBB2_2852
	s_branch .LBB2_2853
.LBB2_3271:                             ;   in Loop: Header=BB2_2481 Depth=4
	s_or_saveexec_b64 s[36:37], s[36:37]
	v_bfrev_b32_e32 v7, 1
	s_xor_b64 exec, exec, s[36:37]
	s_cbranch_execz .LBB2_2879
.LBB2_3272:                             ;   in Loop: Header=BB2_2481 Depth=4
	v_cmp_ne_u16_e32 vcc, 0, v56
	s_andn2_b64 s[40:41], s[40:41], exec
	s_and_b64 vcc, vcc, exec
	v_mov_b32_e32 v7, 0
	s_or_b64 s[40:41], s[40:41], vcc
	s_or_b64 exec, exec, s[36:37]
	s_and_saveexec_b64 s[36:37], s[40:41]
	s_cbranch_execnz .LBB2_2880
	s_branch .LBB2_2881
.LBB2_3273:                             ;   in Loop: Header=BB2_2481 Depth=4
	s_or_saveexec_b64 vcc, vcc
	v_bfrev_b32_e32 v31, 1
	s_xor_b64 exec, exec, vcc
	s_cbranch_execz .LBB2_2907
.LBB2_3274:                             ;   in Loop: Header=BB2_2481 Depth=4
	v_cmp_ne_u16_sdwa s[36:37], v30, v29 src0_sel:BYTE_0 src1_sel:DWORD
	s_andn2_b64 s[40:41], s[40:41], exec
	s_and_b64 s[36:37], s[36:37], exec
	v_mov_b32_e32 v31, 0
	s_or_b64 s[40:41], s[40:41], s[36:37]
	s_or_b64 exec, exec, vcc
	s_and_saveexec_b64 s[36:37], s[40:41]
	s_cbranch_execnz .LBB2_2908
	s_branch .LBB2_2909
.LBB2_3275:                             ;   in Loop: Header=BB2_2481 Depth=4
	s_or_saveexec_b64 s[36:37], s[36:37]
	v_bfrev_b32_e32 v30, 1
	s_xor_b64 exec, exec, s[36:37]
	s_cbranch_execz .LBB2_2987
.LBB2_3276:                             ;   in Loop: Header=BB2_2481 Depth=4
	v_cmp_ne_u16_e32 vcc, 0, v56
	s_andn2_b64 s[40:41], s[40:41], exec
	s_and_b64 vcc, vcc, exec
	v_mov_b32_e32 v30, 0
	s_or_b64 s[40:41], s[40:41], vcc
	s_or_b64 exec, exec, s[36:37]
	s_and_saveexec_b64 s[36:37], s[40:41]
	s_cbranch_execnz .LBB2_2988
	s_branch .LBB2_2989
.LBB2_3277:                             ;   in Loop: Header=BB2_2481 Depth=4
	s_or_saveexec_b64 vcc, vcc
	v_bfrev_b32_e32 v53, 1
	s_xor_b64 exec, exec, vcc
	s_cbranch_execz .LBB2_3015
.LBB2_3278:                             ;   in Loop: Header=BB2_2481 Depth=4
	v_cmp_ne_u16_sdwa s[36:37], v30, v29 src0_sel:BYTE_0 src1_sel:DWORD
	s_andn2_b64 s[40:41], s[40:41], exec
	s_and_b64 s[36:37], s[36:37], exec
	v_mov_b32_e32 v53, 0
	s_or_b64 s[40:41], s[40:41], s[36:37]
	s_or_b64 exec, exec, vcc
	s_and_saveexec_b64 s[36:37], s[40:41]
	s_cbranch_execnz .LBB2_3016
	s_branch .LBB2_3017
.LBB2_3279:                             ;   in Loop: Header=BB2_2481 Depth=4
	s_or_saveexec_b64 vcc, vcc
	v_bfrev_b32_e32 v8, 1
	s_xor_b64 exec, exec, vcc
	s_cbranch_execz .LBB2_3065
.LBB2_3280:                             ;   in Loop: Header=BB2_2481 Depth=4
	v_cmp_ne_u16_sdwa s[36:37], v10, v29 src0_sel:BYTE_0 src1_sel:DWORD
	s_andn2_b64 s[40:41], s[40:41], exec
	s_and_b64 s[36:37], s[36:37], exec
	v_mov_b32_e32 v8, 0
	s_or_b64 s[40:41], s[40:41], s[36:37]
	s_or_b64 exec, exec, vcc
	s_and_saveexec_b64 s[36:37], s[40:41]
	s_cbranch_execnz .LBB2_3066
	s_branch .LBB2_3067
.LBB2_3281:                             ;   in Loop: Header=BB2_2481 Depth=4
	s_or_saveexec_b64 s[36:37], s[36:37]
	v_bfrev_b32_e32 v3, 1
	s_xor_b64 exec, exec, s[36:37]
	s_cbranch_execz .LBB2_3093
.LBB2_3282:                             ;   in Loop: Header=BB2_2481 Depth=4
	v_cmp_ne_u16_e32 vcc, 0, v8
	s_andn2_b64 s[40:41], s[40:41], exec
	s_and_b64 vcc, vcc, exec
	v_mov_b32_e32 v3, 0
	s_or_b64 s[40:41], s[40:41], vcc
	s_or_b64 exec, exec, s[36:37]
	s_and_saveexec_b64 s[36:37], s[40:41]
	s_cbranch_execnz .LBB2_3094
	s_branch .LBB2_3095
.LBB2_3283:                             ;   in Loop: Header=BB2_2481 Depth=4
	s_or_saveexec_b64 vcc, vcc
	v_bfrev_b32_e32 v16, 1
	s_xor_b64 exec, exec, vcc
	s_cbranch_execz .LBB2_3121
.LBB2_3284:                             ;   in Loop: Header=BB2_2481 Depth=4
	v_cmp_ne_u16_sdwa s[36:37], v8, v29 src0_sel:BYTE_0 src1_sel:DWORD
	s_andn2_b64 s[40:41], s[40:41], exec
	s_and_b64 s[36:37], s[36:37], exec
	v_mov_b32_e32 v16, 0
	s_or_b64 s[40:41], s[40:41], s[36:37]
	s_or_b64 exec, exec, vcc
	s_and_saveexec_b64 s[36:37], s[40:41]
	s_cbranch_execnz .LBB2_3122
	s_branch .LBB2_3123
.LBB2_3285:                             ;   in Loop: Header=BB2_2481 Depth=4
	s_or_saveexec_b64 s[36:37], s[36:37]
	v_bfrev_b32_e32 v9, 1
	s_xor_b64 exec, exec, s[36:37]
	s_cbranch_execz .LBB2_3201
.LBB2_3286:                             ;   in Loop: Header=BB2_2481 Depth=4
	v_cmp_ne_u16_e32 vcc, 0, v8
	s_andn2_b64 s[40:41], s[40:41], exec
	s_and_b64 vcc, vcc, exec
	v_mov_b32_e32 v9, 0
	s_or_b64 s[40:41], s[40:41], vcc
	s_or_b64 exec, exec, s[36:37]
	s_and_saveexec_b64 s[36:37], s[40:41]
	s_cbranch_execnz .LBB2_3202
	s_branch .LBB2_3203
.LBB2_3287:                             ;   in Loop: Header=BB2_2481 Depth=4
	s_or_saveexec_b64 vcc, vcc
	v_bfrev_b32_e32 v34, 1
	s_xor_b64 exec, exec, vcc
	s_cbranch_execz .LBB2_3229
.LBB2_3288:                             ;   in Loop: Header=BB2_2481 Depth=4
	v_cmp_ne_u16_sdwa s[36:37], v8, v29 src0_sel:BYTE_0 src1_sel:DWORD
	s_andn2_b64 s[40:41], s[40:41], exec
	s_and_b64 s[36:37], s[36:37], exec
	v_mov_b32_e32 v34, 0
	s_or_b64 s[40:41], s[40:41], s[36:37]
	s_or_b64 exec, exec, vcc
	s_and_saveexec_b64 s[36:37], s[40:41]
	s_cbranch_execnz .LBB2_3230
	s_branch .LBB2_3231
.LBB2_3289:                             ;   in Loop: Header=BB2_1590 Depth=3
	s_or_b64 exec, exec, s[34:35]
	buffer_load_dword v22, off, s[0:3], s33 offset:156 ; 4-byte Folded Reload
	buffer_load_dword v23, off, s[0:3], s33 offset:160 ; 4-byte Folded Reload
	;; [unrolled: 1-line block ×6, first 2 shown]
.LBB2_3290:                             ;   in Loop: Header=BB2_1590 Depth=3
	s_or_b64 exec, exec, s[30:31]
	v_and_b32_e32 v0, 15, v0
	s_waitcnt vmcnt(0)
	v_sub_u32_e32 v1, v9, v0
	v_cndmask_b32_e64 v1, 0, v1, s[28:29]
	v_cmp_lt_i32_e32 vcc, 0, v19
	v_add3_u32 v24, v8, v6, v1
	v_cndmask_b32_e64 v1, v9, v0, s[28:29]
	v_cndmask_b32_e32 v0, 0, v14, vcc
	v_sub_u32_e32 v0, v0, v19
	v_cmp_ne_u32_e32 vcc, 0, v1
	v_lshl_add_u32 v19, v0, 6, v7
	s_and_b64 s[30:31], vcc, exec
.LBB2_3291:                             ;   in Loop: Header=BB2_1590 Depth=3
	s_or_b64 exec, exec, s[94:95]
	s_and_saveexec_b64 s[40:41], s[30:31]
	s_cbranch_execz .LBB2_3832
.LBB2_3292:                             ;   in Loop: Header=BB2_1590 Depth=3
	s_waitcnt vmcnt(0)
	v_ashrrev_i32_e32 v0, 31, v19
	v_ashrrev_i32_e32 v3, 31, v1
	v_lshrrev_b32_e32 v0, 26, v0
	v_lshrrev_b32_e32 v3, 23, v3
	v_add_u32_e32 v2, v19, v0
	v_add_u32_e32 v3, v1, v3
	v_ashrrev_i32_e32 v0, 6, v2
	v_ashrrev_i32_e32 v25, 9, v3
	v_sub_u32_e32 v18, v25, v0
	v_cmp_lt_i32_e32 vcc, 0, v18
	s_and_saveexec_b64 s[94:95], vcc
	s_cbranch_execz .LBB2_3765
; %bb.3293:                             ;   in Loop: Header=BB2_1590 Depth=3
	v_and_b32_e32 v2, 0xffffffc0, v2
	v_sub_u32_e32 v2, v19, v2
	v_lshlrev_b32_e32 v3, 9, v0
	v_add3_u32 v5, v24, v2, v3
	s_trap 2
	ds_read_b64 v[2:3], v0
	v_ashrrev_i32_e32 v6, 31, v5
	v_add_co_u32_e32 v8, vcc, v5, v40
	v_addc_co_u32_e32 v9, vcc, v6, v41, vcc
	s_waitcnt lgkmcnt(0)
	v_add_co_u32_e32 v10, vcc, v2, v5
	v_addc_co_u32_e32 v11, vcc, v3, v6, vcc
	v_add_co_u32_e32 v2, vcc, 0x1c0, v22
	v_addc_co_u32_e32 v3, vcc, 0, v23, vcc
	;; [unrolled: 2-line block ×3, first 2 shown]
	s_mov_b64 s[30:31], 0
	s_branch .LBB2_3295
.LBB2_3294:                             ;   in Loop: Header=BB2_3295 Depth=4
	s_or_b64 exec, exec, s[28:29]
	v_add_co_u32_e32 v33, vcc, 0xfffffe40, v54
	v_addc_co_u32_e32 v34, vcc, -1, v55, vcc
	flat_store_byte v[33:34], v5 glc slc
	v_add_co_u32_e32 v33, vcc, 0xfffffe80, v54
	v_addc_co_u32_e32 v34, vcc, -1, v55, vcc
	flat_store_byte v[33:34], v30 glc slc
	;; [unrolled: 3-line block ×6, first 2 shown]
	v_add_co_u32_e32 v22, vcc, s97, v54
	v_addc_co_u32_e32 v23, vcc, -1, v55, vcc
	v_add_co_u32_e32 v8, vcc, v8, v32
	v_addc_co_u32_e32 v9, vcc, 0, v9, vcc
	v_add_co_u32_e32 v10, vcc, v10, v32
	v_addc_co_u32_e32 v11, vcc, 0, v11, vcc
	v_sub_u32_e32 v18, v18, v14
	v_cmp_gt_i32_e32 vcc, 1, v18
	flat_store_byte v[22:23], v6 glc slc
	flat_store_byte v[54:55], v3 glc slc
	s_or_b64 s[30:31], vcc, s[30:31]
	v_add_co_u32_e32 v54, vcc, v54, v32
	v_addc_co_u32_e32 v55, vcc, 0, v55, vcc
	s_andn2_b64 exec, exec, s[30:31]
	s_cbranch_execz .LBB2_3764
.LBB2_3295:                             ;   Parent Loop BB2_47 Depth=1
                                        ;     Parent Loop BB2_1587 Depth=2
                                        ;       Parent Loop BB2_1590 Depth=3
                                        ; =>      This Inner Loop Header: Depth=4
	s_trap 2
	ds_read_b64 v[40:41], v0
	s_waitcnt lgkmcnt(0)
	v_cmp_eq_u32_sdwa vcc, v40, v29 src0_sel:BYTE_0 src1_sel:DWORD
	v_readfirstlane_b32 s28, v40
	v_readfirstlane_b32 s29, v41
	s_and_b64 vcc, exec, vcc
	s_cbranch_vccnz .LBB2_3299
; %bb.3296:                             ;   in Loop: Header=BB2_3295 Depth=4
	v_cmp_eq_u32_sdwa vcc, v40, s87 src0_sel:BYTE_0 src1_sel:DWORD
	s_brev_b32 s45, 1
	s_and_b64 vcc, exec, vcc
	s_cbranch_vccnz .LBB2_3300
; %bb.3297:                             ;   in Loop: Header=BB2_3295 Depth=4
	s_and_b32 vcc_lo, s28, 0x7f
	s_cmpk_eq_i32 vcc_lo, 0x7f
	s_mov_b32 s45, 0x7f800001
	s_cbranch_scc1 .LBB2_3300
; %bb.3298:                             ;   in Loop: Header=BB2_3295 Depth=4
	s_and_b32 s45, s28, 7
	s_flbit_i32_b32 s45, s45
	s_min_u32 s45, s45, 32
	s_lshr_b32 vcc_hi, vcc_lo, 3
	s_sub_i32 s34, s45, 28
	s_sub_i32 s45, 29, s45
	s_cmp_lt_u32 vcc_lo, 8
	s_cselect_b32 s45, s45, vcc_hi
	s_cselect_b32 vcc_lo, s34, 0
	s_lshl_b64 vcc, s[28:29], vcc_lo
	s_lshl_b32 s28, s28, 24
	s_lshl_b32 s45, s45, 23
	s_lshl_b32 s29, vcc_lo, 20
	s_and_b32 s28, s28, 0x80000000
	s_add_i32 s45, s45, 0x3c000000
	s_and_b32 s29, s29, 0x700000
	s_or_b32 s28, s28, s45
	s_or_b32 s45, s28, s29
	s_branch .LBB2_3300
.LBB2_3299:                             ;   in Loop: Header=BB2_3295 Depth=4
	s_mov_b32 s45, 0
.LBB2_3300:                             ;   in Loop: Header=BB2_3295 Depth=4
	flat_load_ubyte v2, v[8:9] glc slc
	v_mov_b32_e32 v3, 0
	s_waitcnt vmcnt(0) lgkmcnt(0)
	v_cmp_ne_u16_e32 vcc, 0, v2
	s_and_saveexec_b64 s[28:29], vcc
	s_cbranch_execz .LBB2_3306
; %bb.3301:                             ;   in Loop: Header=BB2_3295 Depth=4
	v_cmp_ne_u16_e32 vcc, s87, v2
	v_bfrev_b32_e32 v3, 1
	s_and_saveexec_b64 s[34:35], vcc
	s_cbranch_execz .LBB2_3305
; %bb.3302:                             ;   in Loop: Header=BB2_3295 Depth=4
	v_and_b32_e32 v28, 0xffff, v2
	v_and_b32_e32 v5, 0x7f, v28
	v_cmp_ne_u32_e32 vcc, s85, v5
	v_mov_b32_e32 v3, 0x7f800001
	s_and_saveexec_b64 s[36:37], vcc
	s_cbranch_execz .LBB2_3304
; %bb.3303:                             ;   in Loop: Header=BB2_3295 Depth=4
	v_and_b32_e32 v3, 7, v28
	v_lshrrev_b32_e32 v7, 3, v5
	v_cmp_gt_u32_e32 vcc, 8, v5
	v_ffbh_u32_e32 v5, v3
	v_min_u32_e32 v16, 32, v5
	v_subrev_u32_e32 v5, 28, v16
	v_lshlrev_b64 v[5:6], v5, v[28:29]
	v_sub_u32_e32 v6, 29, v16
	v_and_b32_e32 v5, 7, v5
	v_cndmask_b32_e32 v6, v7, v6, vcc
	v_cndmask_b32_e32 v3, v3, v5, vcc
	v_lshlrev_b32_e32 v2, 24, v2
	v_lshlrev_b32_e32 v3, 20, v3
	v_and_b32_e32 v2, 0x80000000, v2
	v_lshl_add_u32 v5, v6, 23, v17
	v_or3_b32 v3, v2, v5, v3
.LBB2_3304:                             ;   in Loop: Header=BB2_3295 Depth=4
	s_or_b64 exec, exec, s[36:37]
.LBB2_3305:                             ;   in Loop: Header=BB2_3295 Depth=4
	s_or_b64 exec, exec, s[34:35]
.LBB2_3306:                             ;   in Loop: Header=BB2_3295 Depth=4
	s_or_b64 exec, exec, s[28:29]
	v_mul_f32_e32 v3, s45, v3
	v_and_b32_e32 v28, 0x7f800000, v3
	v_cmp_ne_u64_e32 vcc, s[76:77], v[28:29]
                                        ; implicit-def: $vgpr5
	s_and_saveexec_b64 s[28:29], vcc
	s_xor_b64 s[34:35], exec, s[28:29]
	s_cbranch_execz .LBB2_3324
; %bb.3307:                             ;   in Loop: Header=BB2_3295 Depth=4
	v_and_b32_e32 v28, 0x7fffffff, v3
	v_cmp_gt_u64_e32 vcc, s[78:79], v[28:29]
	v_and_b32_sdwa v2, v3, s87 dst_sel:DWORD dst_unused:UNUSED_PAD src0_sel:BYTE_3 src1_sel:DWORD
                                        ; implicit-def: $vgpr5
	s_and_saveexec_b64 s[28:29], vcc
	s_xor_b64 s[36:37], exec, s[28:29]
	s_cbranch_execz .LBB2_3321
; %bb.3308:                             ;   in Loop: Header=BB2_3295 Depth=4
	v_cmp_ne_u32_e32 vcc, 0, v3
	v_mov_b32_e32 v5, 0
	s_and_saveexec_b64 s[38:39], vcc
	s_cbranch_execz .LBB2_3320
; %bb.3309:                             ;   in Loop: Header=BB2_3295 Depth=4
	v_and_b32_e32 v6, 0x7fffff, v3
	v_bfe_u32 v3, v3, 23, 8
	v_cmp_gt_u32_e64 s[28:29], s96, v3
	v_sub_u32_e32 v5, 0x79, v3
	v_cmp_eq_u32_e32 vcc, 0, v3
	v_cndmask_b32_e64 v5, 0, v5, s[28:29]
	v_or_b32_e32 v7, 0x800000, v6
	v_cndmask_b32_e32 v5, v5, v36, vcc
	v_cndmask_b32_e32 v28, v7, v6, vcc
	v_add_u32_e32 v6, 20, v5
	v_lshlrev_b64 v[6:7], v6, -1
	v_add_u32_e32 v16, 19, v5
	v_lshlrev_b64 v[22:23], v16, 1
	v_lshrrev_b64 v[40:41], v5, v[28:29]
	v_bfi_b32 v7, v7, 0, 0
	v_bfi_b32 v6, v6, 0, v28
	v_cmp_eq_u64_e64 s[28:29], v[6:7], v[22:23]
	v_mov_b32_e32 v42, v41
	v_mov_b32_e32 v41, v40
	s_and_saveexec_b64 s[48:49], s[28:29]
; %bb.3310:                             ;   in Loop: Header=BB2_3295 Depth=4
	v_bfe_u32 v6, v40, 20, 1
	v_add_co_u32_e64 v6, s[28:29], v40, v6
	v_add_co_u32_e64 v41, s[28:29], -1, v6
; %bb.3311:                             ;   in Loop: Header=BB2_3295 Depth=4
	s_or_b64 exec, exec, s[48:49]
	v_add_u32_e32 v3, 0xffffff81, v3
	v_cndmask_b32_e32 v3, v3, v37, vcc
	v_lshrrev_b32_e32 v6, 23, v40
	v_add3_u32 v6, v5, v3, v6
	v_add_u32_e32 v5, 6, v6
	v_and_b32_e32 v3, 0xfffff, v41
	v_add_u32_e32 v28, v3, v40
	v_cmp_ne_u32_e32 vcc, 0, v5
                                        ; implicit-def: $vgpr40_vgpr41
                                        ; implicit-def: $vgpr3
	s_and_saveexec_b64 s[28:29], vcc
	s_xor_b64 s[28:29], exec, s[28:29]
; %bb.3312:                             ;   in Loop: Header=BB2_3295 Depth=4
	v_cmp_lt_u64_e32 vcc, s[88:89], v[28:29]
	v_add_u32_e32 v3, 7, v6
	v_cndmask_b32_e32 v3, v5, v3, vcc
	v_cndmask_b32_e64 v5, 0, 1, vcc
	v_lshrrev_b64 v[40:41], v5, v[28:29]
; %bb.3313:                             ;   in Loop: Header=BB2_3295 Depth=4
	s_andn2_saveexec_b64 s[28:29], s[28:29]
; %bb.3314:                             ;   in Loop: Header=BB2_3295 Depth=4
	v_mov_b32_e32 v41, v29
	v_bfe_u32 v3, v28, 23, 1
	v_mov_b32_e32 v40, v28
; %bb.3315:                             ;   in Loop: Header=BB2_3295 Depth=4
	s_or_b64 exec, exec, s[28:29]
	v_lshrrev_b64 v[5:6], 20, v[40:41]
	v_cmp_gt_i32_e32 vcc, 16, v3
	v_cndmask_b32_e32 v41, 0, v6, vcc
	v_cndmask_b32_e32 v40, 7, v5, vcc
	v_cmp_ne_u64_e32 vcc, 0, v[40:41]
	v_cmp_ne_u32_e64 s[28:29], 0, v3
	s_or_b64 s[28:29], s[28:29], vcc
                                        ; implicit-def: $vgpr5
	s_and_saveexec_b64 vcc, s[28:29]
	s_xor_b64 s[28:29], exec, vcc
; %bb.3316:                             ;   in Loop: Header=BB2_3295 Depth=4
	v_min_i32_e32 v3, 15, v3
	v_lshl_or_b32 v2, v3, 3, v2
	v_and_or_b32 v5, v40, 7, v2
                                        ; implicit-def: $vgpr2
; %bb.3317:                             ;   in Loop: Header=BB2_3295 Depth=4
	s_andn2_saveexec_b64 s[28:29], s[28:29]
; %bb.3318:                             ;   in Loop: Header=BB2_3295 Depth=4
	v_mov_b32_e32 v5, v2
; %bb.3319:                             ;   in Loop: Header=BB2_3295 Depth=4
	s_or_b64 exec, exec, s[28:29]
.LBB2_3320:                             ;   in Loop: Header=BB2_3295 Depth=4
	s_or_b64 exec, exec, s[38:39]
                                        ; implicit-def: $vgpr2
.LBB2_3321:                             ;   in Loop: Header=BB2_3295 Depth=4
	s_andn2_saveexec_b64 s[28:29], s[36:37]
; %bb.3322:                             ;   in Loop: Header=BB2_3295 Depth=4
	v_or_b32_e32 v5, 0x7e, v2
; %bb.3323:                             ;   in Loop: Header=BB2_3295 Depth=4
	s_or_b64 exec, exec, s[28:29]
                                        ; implicit-def: $vgpr3
.LBB2_3324:                             ;   in Loop: Header=BB2_3295 Depth=4
	s_andn2_saveexec_b64 s[28:29], s[34:35]
; %bb.3325:                             ;   in Loop: Header=BB2_3295 Depth=4
	v_or_b32_sdwa v5, v3, s85 dst_sel:DWORD dst_unused:UNUSED_PAD src0_sel:BYTE_3 src1_sel:DWORD
; %bb.3326:                             ;   in Loop: Header=BB2_3295 Depth=4
	s_or_b64 exec, exec, s[28:29]
	flat_load_ubyte v2, v[8:9] offset:64 glc slc
	v_mov_b32_e32 v3, 0
	s_waitcnt vmcnt(0) lgkmcnt(0)
	v_cmp_ne_u16_e32 vcc, 0, v2
	s_and_saveexec_b64 s[28:29], vcc
	s_cbranch_execz .LBB2_3332
; %bb.3327:                             ;   in Loop: Header=BB2_3295 Depth=4
	v_cmp_ne_u16_e32 vcc, s87, v2
	v_bfrev_b32_e32 v3, 1
	s_and_saveexec_b64 s[34:35], vcc
	s_cbranch_execz .LBB2_3331
; %bb.3328:                             ;   in Loop: Header=BB2_3295 Depth=4
	v_and_b32_e32 v28, 0xffff, v2
	v_and_b32_e32 v6, 0x7f, v28
	v_cmp_ne_u32_e32 vcc, s85, v6
	v_mov_b32_e32 v3, 0x7f800001
	s_and_saveexec_b64 s[36:37], vcc
	s_cbranch_execz .LBB2_3330
; %bb.3329:                             ;   in Loop: Header=BB2_3295 Depth=4
	v_and_b32_e32 v3, 7, v28
	v_lshrrev_b32_e32 v16, 3, v6
	v_cmp_gt_u32_e32 vcc, 8, v6
	v_ffbh_u32_e32 v6, v3
	v_min_u32_e32 v22, 32, v6
	v_subrev_u32_e32 v6, 28, v22
	v_lshlrev_b64 v[6:7], v6, v[28:29]
	v_sub_u32_e32 v7, 29, v22
	v_and_b32_e32 v6, 7, v6
	v_cndmask_b32_e32 v7, v16, v7, vcc
	v_cndmask_b32_e32 v3, v3, v6, vcc
	v_lshlrev_b32_e32 v2, 24, v2
	v_lshlrev_b32_e32 v3, 20, v3
	v_and_b32_e32 v2, 0x80000000, v2
	v_lshl_add_u32 v6, v7, 23, v17
	v_or3_b32 v3, v2, v6, v3
.LBB2_3330:                             ;   in Loop: Header=BB2_3295 Depth=4
	s_or_b64 exec, exec, s[36:37]
.LBB2_3331:                             ;   in Loop: Header=BB2_3295 Depth=4
	s_or_b64 exec, exec, s[34:35]
.LBB2_3332:                             ;   in Loop: Header=BB2_3295 Depth=4
	s_or_b64 exec, exec, s[28:29]
	v_mul_f32_e32 v3, s45, v3
	v_and_b32_e32 v28, 0x7f800000, v3
	v_cmp_ne_u64_e32 vcc, s[76:77], v[28:29]
                                        ; implicit-def: $vgpr30
	s_and_saveexec_b64 s[28:29], vcc
	s_xor_b64 s[34:35], exec, s[28:29]
	s_cbranch_execz .LBB2_3350
; %bb.3333:                             ;   in Loop: Header=BB2_3295 Depth=4
	v_and_b32_e32 v28, 0x7fffffff, v3
	v_cmp_gt_u64_e32 vcc, s[78:79], v[28:29]
	v_and_b32_sdwa v2, v3, s87 dst_sel:DWORD dst_unused:UNUSED_PAD src0_sel:BYTE_3 src1_sel:DWORD
                                        ; implicit-def: $vgpr30
	s_and_saveexec_b64 s[28:29], vcc
	s_xor_b64 s[36:37], exec, s[28:29]
	s_cbranch_execz .LBB2_3347
; %bb.3334:                             ;   in Loop: Header=BB2_3295 Depth=4
	v_cmp_ne_u32_e32 vcc, 0, v3
	v_mov_b32_e32 v30, 0
	s_and_saveexec_b64 s[38:39], vcc
	s_cbranch_execz .LBB2_3346
; %bb.3335:                             ;   in Loop: Header=BB2_3295 Depth=4
	v_and_b32_e32 v7, 0x7fffff, v3
	v_bfe_u32 v3, v3, 23, 8
	v_cmp_gt_u32_e64 s[28:29], s96, v3
	v_sub_u32_e32 v6, 0x79, v3
	v_cmp_eq_u32_e32 vcc, 0, v3
	v_cndmask_b32_e64 v6, 0, v6, s[28:29]
	v_or_b32_e32 v16, 0x800000, v7
	v_cndmask_b32_e32 v6, v6, v36, vcc
	v_cndmask_b32_e32 v28, v16, v7, vcc
	v_add_u32_e32 v7, 20, v6
	v_lshlrev_b64 v[22:23], v7, -1
	v_add_u32_e32 v7, 19, v6
	v_lshlrev_b64 v[30:31], v7, 1
	v_lshrrev_b64 v[40:41], v6, v[28:29]
	v_bfi_b32 v23, v23, 0, 0
	v_bfi_b32 v22, v22, 0, v28
	v_cmp_eq_u64_e64 s[28:29], v[22:23], v[30:31]
	v_mov_b32_e32 v42, v41
	v_mov_b32_e32 v41, v40
	s_and_saveexec_b64 s[48:49], s[28:29]
; %bb.3336:                             ;   in Loop: Header=BB2_3295 Depth=4
	v_bfe_u32 v7, v40, 20, 1
	v_add_co_u32_e64 v7, s[28:29], v40, v7
	v_add_co_u32_e64 v41, s[28:29], -1, v7
; %bb.3337:                             ;   in Loop: Header=BB2_3295 Depth=4
	s_or_b64 exec, exec, s[48:49]
	v_add_u32_e32 v3, 0xffffff81, v3
	v_cndmask_b32_e32 v3, v3, v37, vcc
	v_lshrrev_b32_e32 v7, 23, v40
	v_add3_u32 v7, v6, v3, v7
	v_add_u32_e32 v6, 6, v7
	v_and_b32_e32 v3, 0xfffff, v41
	v_add_u32_e32 v28, v3, v40
	v_cmp_ne_u32_e32 vcc, 0, v6
                                        ; implicit-def: $vgpr40_vgpr41
                                        ; implicit-def: $vgpr3
	s_and_saveexec_b64 s[28:29], vcc
	s_xor_b64 s[28:29], exec, s[28:29]
; %bb.3338:                             ;   in Loop: Header=BB2_3295 Depth=4
	v_cmp_lt_u64_e32 vcc, s[88:89], v[28:29]
	v_add_u32_e32 v3, 7, v7
	v_cndmask_b32_e32 v3, v6, v3, vcc
	v_cndmask_b32_e64 v6, 0, 1, vcc
	v_lshrrev_b64 v[40:41], v6, v[28:29]
; %bb.3339:                             ;   in Loop: Header=BB2_3295 Depth=4
	s_andn2_saveexec_b64 s[28:29], s[28:29]
; %bb.3340:                             ;   in Loop: Header=BB2_3295 Depth=4
	v_mov_b32_e32 v41, v29
	v_bfe_u32 v3, v28, 23, 1
	v_mov_b32_e32 v40, v28
; %bb.3341:                             ;   in Loop: Header=BB2_3295 Depth=4
	s_or_b64 exec, exec, s[28:29]
	v_lshrrev_b64 v[6:7], 20, v[40:41]
	v_cmp_gt_i32_e32 vcc, 16, v3
	v_cndmask_b32_e32 v41, 0, v7, vcc
	v_cndmask_b32_e32 v40, 7, v6, vcc
	v_cmp_ne_u64_e32 vcc, 0, v[40:41]
	v_cmp_ne_u32_e64 s[28:29], 0, v3
	s_or_b64 s[28:29], s[28:29], vcc
                                        ; implicit-def: $vgpr30
	s_and_saveexec_b64 vcc, s[28:29]
	s_xor_b64 s[28:29], exec, vcc
; %bb.3342:                             ;   in Loop: Header=BB2_3295 Depth=4
	v_min_i32_e32 v3, 15, v3
	v_lshl_or_b32 v2, v3, 3, v2
	v_and_or_b32 v30, v40, 7, v2
                                        ; implicit-def: $vgpr2
; %bb.3343:                             ;   in Loop: Header=BB2_3295 Depth=4
	s_andn2_saveexec_b64 s[28:29], s[28:29]
; %bb.3344:                             ;   in Loop: Header=BB2_3295 Depth=4
	v_mov_b32_e32 v30, v2
; %bb.3345:                             ;   in Loop: Header=BB2_3295 Depth=4
	s_or_b64 exec, exec, s[28:29]
.LBB2_3346:                             ;   in Loop: Header=BB2_3295 Depth=4
	s_or_b64 exec, exec, s[38:39]
                                        ; implicit-def: $vgpr2
.LBB2_3347:                             ;   in Loop: Header=BB2_3295 Depth=4
	s_andn2_saveexec_b64 s[28:29], s[36:37]
; %bb.3348:                             ;   in Loop: Header=BB2_3295 Depth=4
	v_or_b32_e32 v30, 0x7e, v2
; %bb.3349:                             ;   in Loop: Header=BB2_3295 Depth=4
	s_or_b64 exec, exec, s[28:29]
                                        ; implicit-def: $vgpr3
.LBB2_3350:                             ;   in Loop: Header=BB2_3295 Depth=4
	s_andn2_saveexec_b64 s[28:29], s[34:35]
; %bb.3351:                             ;   in Loop: Header=BB2_3295 Depth=4
	v_or_b32_sdwa v30, v3, s85 dst_sel:DWORD dst_unused:UNUSED_PAD src0_sel:BYTE_3 src1_sel:DWORD
; %bb.3352:                             ;   in Loop: Header=BB2_3295 Depth=4
	s_or_b64 exec, exec, s[28:29]
	flat_load_ubyte v2, v[8:9] offset:128 glc slc
	v_mov_b32_e32 v3, 0
	s_waitcnt vmcnt(0) lgkmcnt(0)
	v_cmp_ne_u16_e32 vcc, 0, v2
	s_and_saveexec_b64 s[28:29], vcc
	s_cbranch_execz .LBB2_3358
; %bb.3353:                             ;   in Loop: Header=BB2_3295 Depth=4
	v_cmp_ne_u16_e32 vcc, s87, v2
	v_bfrev_b32_e32 v3, 1
	s_and_saveexec_b64 s[34:35], vcc
	s_cbranch_execz .LBB2_3357
; %bb.3354:                             ;   in Loop: Header=BB2_3295 Depth=4
	v_and_b32_e32 v28, 0xffff, v2
	v_and_b32_e32 v6, 0x7f, v28
	v_cmp_ne_u32_e32 vcc, s85, v6
	v_mov_b32_e32 v3, 0x7f800001
	s_and_saveexec_b64 s[36:37], vcc
	s_cbranch_execz .LBB2_3356
; %bb.3355:                             ;   in Loop: Header=BB2_3295 Depth=4
	v_and_b32_e32 v3, 7, v28
	v_lshrrev_b32_e32 v16, 3, v6
	v_cmp_gt_u32_e32 vcc, 8, v6
	v_ffbh_u32_e32 v6, v3
	v_min_u32_e32 v22, 32, v6
	v_subrev_u32_e32 v6, 28, v22
	v_lshlrev_b64 v[6:7], v6, v[28:29]
	v_sub_u32_e32 v7, 29, v22
	v_and_b32_e32 v6, 7, v6
	v_cndmask_b32_e32 v7, v16, v7, vcc
	v_cndmask_b32_e32 v3, v3, v6, vcc
	v_lshlrev_b32_e32 v2, 24, v2
	v_lshlrev_b32_e32 v3, 20, v3
	v_and_b32_e32 v2, 0x80000000, v2
	v_lshl_add_u32 v6, v7, 23, v17
	v_or3_b32 v3, v2, v6, v3
.LBB2_3356:                             ;   in Loop: Header=BB2_3295 Depth=4
	s_or_b64 exec, exec, s[36:37]
.LBB2_3357:                             ;   in Loop: Header=BB2_3295 Depth=4
	s_or_b64 exec, exec, s[34:35]
.LBB2_3358:                             ;   in Loop: Header=BB2_3295 Depth=4
	s_or_b64 exec, exec, s[28:29]
	v_mul_f32_e32 v3, s45, v3
	v_and_b32_e32 v28, 0x7f800000, v3
	v_cmp_ne_u64_e32 vcc, s[76:77], v[28:29]
                                        ; implicit-def: $vgpr23
	s_and_saveexec_b64 s[28:29], vcc
	s_xor_b64 s[34:35], exec, s[28:29]
	s_cbranch_execz .LBB2_3376
; %bb.3359:                             ;   in Loop: Header=BB2_3295 Depth=4
	v_and_b32_e32 v28, 0x7fffffff, v3
	v_cmp_gt_u64_e32 vcc, s[78:79], v[28:29]
	v_and_b32_sdwa v2, v3, s87 dst_sel:DWORD dst_unused:UNUSED_PAD src0_sel:BYTE_3 src1_sel:DWORD
                                        ; implicit-def: $vgpr23
	s_and_saveexec_b64 s[28:29], vcc
	s_xor_b64 s[36:37], exec, s[28:29]
	s_cbranch_execz .LBB2_3373
; %bb.3360:                             ;   in Loop: Header=BB2_3295 Depth=4
	v_cmp_ne_u32_e32 vcc, 0, v3
	v_mov_b32_e32 v23, 0
	s_and_saveexec_b64 s[38:39], vcc
	s_cbranch_execz .LBB2_3372
; %bb.3361:                             ;   in Loop: Header=BB2_3295 Depth=4
	v_and_b32_e32 v7, 0x7fffff, v3
	v_bfe_u32 v3, v3, 23, 8
	v_cmp_gt_u32_e64 s[28:29], s96, v3
	v_sub_u32_e32 v6, 0x79, v3
	v_cmp_eq_u32_e32 vcc, 0, v3
	v_cndmask_b32_e64 v6, 0, v6, s[28:29]
	v_or_b32_e32 v16, 0x800000, v7
	v_cndmask_b32_e32 v6, v6, v36, vcc
	v_cndmask_b32_e32 v28, v16, v7, vcc
	v_add_u32_e32 v7, 20, v6
	v_lshlrev_b64 v[22:23], v7, -1
	v_add_u32_e32 v7, 19, v6
	v_lshlrev_b64 v[33:34], v7, 1
	v_lshrrev_b64 v[40:41], v6, v[28:29]
	v_bfi_b32 v23, v23, 0, 0
	v_bfi_b32 v22, v22, 0, v28
	v_cmp_eq_u64_e64 s[28:29], v[22:23], v[33:34]
	v_mov_b32_e32 v42, v41
	v_mov_b32_e32 v41, v40
	s_and_saveexec_b64 s[48:49], s[28:29]
; %bb.3362:                             ;   in Loop: Header=BB2_3295 Depth=4
	v_bfe_u32 v7, v40, 20, 1
	v_add_co_u32_e64 v7, s[28:29], v40, v7
	v_add_co_u32_e64 v41, s[28:29], -1, v7
; %bb.3363:                             ;   in Loop: Header=BB2_3295 Depth=4
	s_or_b64 exec, exec, s[48:49]
	v_add_u32_e32 v3, 0xffffff81, v3
	v_cndmask_b32_e32 v3, v3, v37, vcc
	v_lshrrev_b32_e32 v7, 23, v40
	v_add3_u32 v7, v6, v3, v7
	v_add_u32_e32 v6, 6, v7
	v_and_b32_e32 v3, 0xfffff, v41
	v_add_u32_e32 v28, v3, v40
	v_cmp_ne_u32_e32 vcc, 0, v6
                                        ; implicit-def: $vgpr40_vgpr41
                                        ; implicit-def: $vgpr3
	s_and_saveexec_b64 s[28:29], vcc
	s_xor_b64 s[28:29], exec, s[28:29]
; %bb.3364:                             ;   in Loop: Header=BB2_3295 Depth=4
	v_cmp_lt_u64_e32 vcc, s[88:89], v[28:29]
	v_add_u32_e32 v3, 7, v7
	v_cndmask_b32_e32 v3, v6, v3, vcc
	v_cndmask_b32_e64 v6, 0, 1, vcc
	v_lshrrev_b64 v[40:41], v6, v[28:29]
; %bb.3365:                             ;   in Loop: Header=BB2_3295 Depth=4
	s_andn2_saveexec_b64 s[28:29], s[28:29]
; %bb.3366:                             ;   in Loop: Header=BB2_3295 Depth=4
	v_mov_b32_e32 v41, v29
	v_bfe_u32 v3, v28, 23, 1
	v_mov_b32_e32 v40, v28
; %bb.3367:                             ;   in Loop: Header=BB2_3295 Depth=4
	s_or_b64 exec, exec, s[28:29]
	v_lshrrev_b64 v[6:7], 20, v[40:41]
	v_cmp_gt_i32_e32 vcc, 16, v3
	v_cndmask_b32_e32 v41, 0, v7, vcc
	v_cndmask_b32_e32 v40, 7, v6, vcc
	v_cmp_ne_u64_e32 vcc, 0, v[40:41]
	v_cmp_ne_u32_e64 s[28:29], 0, v3
	s_or_b64 s[28:29], s[28:29], vcc
                                        ; implicit-def: $vgpr23
	s_and_saveexec_b64 vcc, s[28:29]
	s_xor_b64 s[28:29], exec, vcc
; %bb.3368:                             ;   in Loop: Header=BB2_3295 Depth=4
	v_min_i32_e32 v3, 15, v3
	v_lshl_or_b32 v2, v3, 3, v2
	v_and_or_b32 v23, v40, 7, v2
                                        ; implicit-def: $vgpr2
; %bb.3369:                             ;   in Loop: Header=BB2_3295 Depth=4
	s_andn2_saveexec_b64 s[28:29], s[28:29]
; %bb.3370:                             ;   in Loop: Header=BB2_3295 Depth=4
	v_mov_b32_e32 v23, v2
; %bb.3371:                             ;   in Loop: Header=BB2_3295 Depth=4
	s_or_b64 exec, exec, s[28:29]
.LBB2_3372:                             ;   in Loop: Header=BB2_3295 Depth=4
	s_or_b64 exec, exec, s[38:39]
                                        ; implicit-def: $vgpr2
.LBB2_3373:                             ;   in Loop: Header=BB2_3295 Depth=4
	s_andn2_saveexec_b64 s[28:29], s[36:37]
; %bb.3374:                             ;   in Loop: Header=BB2_3295 Depth=4
	v_or_b32_e32 v23, 0x7e, v2
; %bb.3375:                             ;   in Loop: Header=BB2_3295 Depth=4
	s_or_b64 exec, exec, s[28:29]
                                        ; implicit-def: $vgpr3
.LBB2_3376:                             ;   in Loop: Header=BB2_3295 Depth=4
	s_andn2_saveexec_b64 s[28:29], s[34:35]
; %bb.3377:                             ;   in Loop: Header=BB2_3295 Depth=4
	v_or_b32_sdwa v23, v3, s85 dst_sel:DWORD dst_unused:UNUSED_PAD src0_sel:BYTE_3 src1_sel:DWORD
; %bb.3378:                             ;   in Loop: Header=BB2_3295 Depth=4
	s_or_b64 exec, exec, s[28:29]
	flat_load_ubyte v2, v[8:9] offset:192 glc slc
	v_mov_b32_e32 v3, 0
	s_waitcnt vmcnt(0) lgkmcnt(0)
	v_cmp_ne_u16_e32 vcc, 0, v2
	s_and_saveexec_b64 s[28:29], vcc
	s_cbranch_execz .LBB2_3384
; %bb.3379:                             ;   in Loop: Header=BB2_3295 Depth=4
	v_cmp_ne_u16_e32 vcc, s87, v2
	v_bfrev_b32_e32 v3, 1
	s_and_saveexec_b64 s[34:35], vcc
	s_cbranch_execz .LBB2_3383
; %bb.3380:                             ;   in Loop: Header=BB2_3295 Depth=4
	v_and_b32_e32 v28, 0xffff, v2
	v_and_b32_e32 v6, 0x7f, v28
	v_cmp_ne_u32_e32 vcc, s85, v6
	v_mov_b32_e32 v3, 0x7f800001
	s_and_saveexec_b64 s[36:37], vcc
	s_cbranch_execz .LBB2_3382
; %bb.3381:                             ;   in Loop: Header=BB2_3295 Depth=4
	v_and_b32_e32 v3, 7, v28
	v_lshrrev_b32_e32 v16, 3, v6
	v_cmp_gt_u32_e32 vcc, 8, v6
	v_ffbh_u32_e32 v6, v3
	v_min_u32_e32 v22, 32, v6
	v_subrev_u32_e32 v6, 28, v22
	v_lshlrev_b64 v[6:7], v6, v[28:29]
	v_sub_u32_e32 v7, 29, v22
	v_and_b32_e32 v6, 7, v6
	v_cndmask_b32_e32 v7, v16, v7, vcc
	v_cndmask_b32_e32 v3, v3, v6, vcc
	v_lshlrev_b32_e32 v2, 24, v2
	v_lshlrev_b32_e32 v3, 20, v3
	v_and_b32_e32 v2, 0x80000000, v2
	v_lshl_add_u32 v6, v7, 23, v17
	v_or3_b32 v3, v2, v6, v3
.LBB2_3382:                             ;   in Loop: Header=BB2_3295 Depth=4
	s_or_b64 exec, exec, s[36:37]
.LBB2_3383:                             ;   in Loop: Header=BB2_3295 Depth=4
	s_or_b64 exec, exec, s[34:35]
.LBB2_3384:                             ;   in Loop: Header=BB2_3295 Depth=4
	s_or_b64 exec, exec, s[28:29]
	v_mul_f32_e32 v3, s45, v3
	v_and_b32_e32 v28, 0x7f800000, v3
	v_cmp_ne_u64_e32 vcc, s[76:77], v[28:29]
                                        ; implicit-def: $vgpr22
	s_and_saveexec_b64 s[28:29], vcc
	s_xor_b64 s[34:35], exec, s[28:29]
	s_cbranch_execz .LBB2_3402
; %bb.3385:                             ;   in Loop: Header=BB2_3295 Depth=4
	v_and_b32_e32 v28, 0x7fffffff, v3
	v_cmp_gt_u64_e32 vcc, s[78:79], v[28:29]
	v_and_b32_sdwa v2, v3, s87 dst_sel:DWORD dst_unused:UNUSED_PAD src0_sel:BYTE_3 src1_sel:DWORD
                                        ; implicit-def: $vgpr22
	s_and_saveexec_b64 s[28:29], vcc
	s_xor_b64 s[36:37], exec, s[28:29]
	s_cbranch_execz .LBB2_3399
; %bb.3386:                             ;   in Loop: Header=BB2_3295 Depth=4
	v_cmp_ne_u32_e32 vcc, 0, v3
	v_mov_b32_e32 v22, 0
	s_and_saveexec_b64 s[38:39], vcc
	s_cbranch_execz .LBB2_3398
; %bb.3387:                             ;   in Loop: Header=BB2_3295 Depth=4
	v_and_b32_e32 v7, 0x7fffff, v3
	v_bfe_u32 v3, v3, 23, 8
	v_cmp_gt_u32_e64 s[28:29], s96, v3
	v_sub_u32_e32 v6, 0x79, v3
	v_cmp_eq_u32_e32 vcc, 0, v3
	v_cndmask_b32_e64 v6, 0, v6, s[28:29]
	v_or_b32_e32 v16, 0x800000, v7
	v_cndmask_b32_e32 v6, v6, v36, vcc
	v_cndmask_b32_e32 v28, v16, v7, vcc
	v_add_u32_e32 v7, 20, v6
	v_lshlrev_b64 v[33:34], v7, -1
	v_add_u32_e32 v7, 19, v6
	v_lshlrev_b64 v[52:53], v7, 1
	v_lshrrev_b64 v[40:41], v6, v[28:29]
	v_bfi_b32 v34, v34, 0, 0
	v_bfi_b32 v33, v33, 0, v28
	v_cmp_eq_u64_e64 s[28:29], v[33:34], v[52:53]
	v_mov_b32_e32 v42, v41
	v_mov_b32_e32 v41, v40
	s_and_saveexec_b64 s[48:49], s[28:29]
; %bb.3388:                             ;   in Loop: Header=BB2_3295 Depth=4
	v_bfe_u32 v7, v40, 20, 1
	v_add_co_u32_e64 v7, s[28:29], v40, v7
	v_add_co_u32_e64 v41, s[28:29], -1, v7
; %bb.3389:                             ;   in Loop: Header=BB2_3295 Depth=4
	s_or_b64 exec, exec, s[48:49]
	v_add_u32_e32 v3, 0xffffff81, v3
	v_cndmask_b32_e32 v3, v3, v37, vcc
	v_lshrrev_b32_e32 v7, 23, v40
	v_add3_u32 v7, v6, v3, v7
	v_add_u32_e32 v6, 6, v7
	v_and_b32_e32 v3, 0xfffff, v41
	v_add_u32_e32 v28, v3, v40
	v_cmp_ne_u32_e32 vcc, 0, v6
                                        ; implicit-def: $vgpr40_vgpr41
                                        ; implicit-def: $vgpr3
	s_and_saveexec_b64 s[28:29], vcc
	s_xor_b64 s[28:29], exec, s[28:29]
; %bb.3390:                             ;   in Loop: Header=BB2_3295 Depth=4
	v_cmp_lt_u64_e32 vcc, s[88:89], v[28:29]
	v_add_u32_e32 v3, 7, v7
	v_cndmask_b32_e32 v3, v6, v3, vcc
	v_cndmask_b32_e64 v6, 0, 1, vcc
	v_lshrrev_b64 v[40:41], v6, v[28:29]
; %bb.3391:                             ;   in Loop: Header=BB2_3295 Depth=4
	s_andn2_saveexec_b64 s[28:29], s[28:29]
; %bb.3392:                             ;   in Loop: Header=BB2_3295 Depth=4
	v_mov_b32_e32 v41, v29
	v_bfe_u32 v3, v28, 23, 1
	v_mov_b32_e32 v40, v28
; %bb.3393:                             ;   in Loop: Header=BB2_3295 Depth=4
	s_or_b64 exec, exec, s[28:29]
	v_lshrrev_b64 v[6:7], 20, v[40:41]
	v_cmp_gt_i32_e32 vcc, 16, v3
	v_cndmask_b32_e32 v41, 0, v7, vcc
	v_cndmask_b32_e32 v40, 7, v6, vcc
	v_cmp_ne_u64_e32 vcc, 0, v[40:41]
	v_cmp_ne_u32_e64 s[28:29], 0, v3
	s_or_b64 s[28:29], s[28:29], vcc
                                        ; implicit-def: $vgpr22
	s_and_saveexec_b64 vcc, s[28:29]
	s_xor_b64 s[28:29], exec, vcc
; %bb.3394:                             ;   in Loop: Header=BB2_3295 Depth=4
	v_min_i32_e32 v3, 15, v3
	v_lshl_or_b32 v2, v3, 3, v2
	v_and_or_b32 v22, v40, 7, v2
                                        ; implicit-def: $vgpr2
; %bb.3395:                             ;   in Loop: Header=BB2_3295 Depth=4
	s_andn2_saveexec_b64 s[28:29], s[28:29]
; %bb.3396:                             ;   in Loop: Header=BB2_3295 Depth=4
	v_mov_b32_e32 v22, v2
; %bb.3397:                             ;   in Loop: Header=BB2_3295 Depth=4
	s_or_b64 exec, exec, s[28:29]
.LBB2_3398:                             ;   in Loop: Header=BB2_3295 Depth=4
	s_or_b64 exec, exec, s[38:39]
                                        ; implicit-def: $vgpr2
.LBB2_3399:                             ;   in Loop: Header=BB2_3295 Depth=4
	s_andn2_saveexec_b64 s[28:29], s[36:37]
; %bb.3400:                             ;   in Loop: Header=BB2_3295 Depth=4
	v_or_b32_e32 v22, 0x7e, v2
; %bb.3401:                             ;   in Loop: Header=BB2_3295 Depth=4
	s_or_b64 exec, exec, s[28:29]
                                        ; implicit-def: $vgpr3
.LBB2_3402:                             ;   in Loop: Header=BB2_3295 Depth=4
	s_andn2_saveexec_b64 s[28:29], s[34:35]
; %bb.3403:                             ;   in Loop: Header=BB2_3295 Depth=4
	v_or_b32_sdwa v22, v3, s85 dst_sel:DWORD dst_unused:UNUSED_PAD src0_sel:BYTE_3 src1_sel:DWORD
; %bb.3404:                             ;   in Loop: Header=BB2_3295 Depth=4
	s_or_b64 exec, exec, s[28:29]
	flat_load_ubyte v2, v[8:9] offset:256 glc slc
	v_mov_b32_e32 v3, 0
	s_waitcnt vmcnt(0) lgkmcnt(0)
	v_cmp_ne_u16_e32 vcc, 0, v2
	s_and_saveexec_b64 s[28:29], vcc
	s_cbranch_execz .LBB2_3410
; %bb.3405:                             ;   in Loop: Header=BB2_3295 Depth=4
	v_cmp_ne_u16_e32 vcc, s87, v2
	v_bfrev_b32_e32 v3, 1
	s_and_saveexec_b64 s[34:35], vcc
	s_cbranch_execz .LBB2_3409
; %bb.3406:                             ;   in Loop: Header=BB2_3295 Depth=4
	v_and_b32_e32 v28, 0xffff, v2
	v_and_b32_e32 v6, 0x7f, v28
	v_cmp_ne_u32_e32 vcc, s85, v6
	v_mov_b32_e32 v3, 0x7f800001
	s_and_saveexec_b64 s[36:37], vcc
	s_cbranch_execz .LBB2_3408
; %bb.3407:                             ;   in Loop: Header=BB2_3295 Depth=4
	v_and_b32_e32 v3, 7, v28
	v_lshrrev_b32_e32 v16, 3, v6
	v_cmp_gt_u32_e32 vcc, 8, v6
	v_ffbh_u32_e32 v6, v3
	v_min_u32_e32 v31, 32, v6
	v_subrev_u32_e32 v6, 28, v31
	v_lshlrev_b64 v[6:7], v6, v[28:29]
	v_sub_u32_e32 v7, 29, v31
	v_and_b32_e32 v6, 7, v6
	v_cndmask_b32_e32 v7, v16, v7, vcc
	v_cndmask_b32_e32 v3, v3, v6, vcc
	v_lshlrev_b32_e32 v2, 24, v2
	v_lshlrev_b32_e32 v3, 20, v3
	v_and_b32_e32 v2, 0x80000000, v2
	v_lshl_add_u32 v6, v7, 23, v17
	v_or3_b32 v3, v2, v6, v3
.LBB2_3408:                             ;   in Loop: Header=BB2_3295 Depth=4
	s_or_b64 exec, exec, s[36:37]
.LBB2_3409:                             ;   in Loop: Header=BB2_3295 Depth=4
	s_or_b64 exec, exec, s[34:35]
.LBB2_3410:                             ;   in Loop: Header=BB2_3295 Depth=4
	s_or_b64 exec, exec, s[28:29]
	v_mul_f32_e32 v3, s45, v3
	v_and_b32_e32 v28, 0x7f800000, v3
	v_cmp_ne_u64_e32 vcc, s[76:77], v[28:29]
                                        ; implicit-def: $vgpr16
	s_and_saveexec_b64 s[28:29], vcc
	s_xor_b64 s[34:35], exec, s[28:29]
	s_cbranch_execz .LBB2_3428
; %bb.3411:                             ;   in Loop: Header=BB2_3295 Depth=4
	v_and_b32_e32 v28, 0x7fffffff, v3
	v_cmp_gt_u64_e32 vcc, s[78:79], v[28:29]
	v_and_b32_sdwa v2, v3, s87 dst_sel:DWORD dst_unused:UNUSED_PAD src0_sel:BYTE_3 src1_sel:DWORD
                                        ; implicit-def: $vgpr16
	s_and_saveexec_b64 s[28:29], vcc
	s_xor_b64 s[36:37], exec, s[28:29]
	s_cbranch_execz .LBB2_3425
; %bb.3412:                             ;   in Loop: Header=BB2_3295 Depth=4
	v_cmp_ne_u32_e32 vcc, 0, v3
	v_mov_b32_e32 v16, 0
	s_and_saveexec_b64 s[38:39], vcc
	s_cbranch_execz .LBB2_3424
; %bb.3413:                             ;   in Loop: Header=BB2_3295 Depth=4
	v_and_b32_e32 v7, 0x7fffff, v3
	v_bfe_u32 v3, v3, 23, 8
	v_cmp_gt_u32_e64 s[28:29], s96, v3
	v_sub_u32_e32 v6, 0x79, v3
	v_cmp_eq_u32_e32 vcc, 0, v3
	v_cndmask_b32_e64 v6, 0, v6, s[28:29]
	v_or_b32_e32 v16, 0x800000, v7
	v_cndmask_b32_e32 v6, v6, v36, vcc
	v_cndmask_b32_e32 v28, v16, v7, vcc
	v_add_u32_e32 v7, 20, v6
	v_lshlrev_b64 v[33:34], v7, -1
	v_add_u32_e32 v7, 19, v6
	v_lshlrev_b64 v[52:53], v7, 1
	v_lshrrev_b64 v[40:41], v6, v[28:29]
	v_bfi_b32 v34, v34, 0, 0
	v_bfi_b32 v33, v33, 0, v28
	v_cmp_eq_u64_e64 s[28:29], v[33:34], v[52:53]
	v_mov_b32_e32 v42, v41
	v_mov_b32_e32 v41, v40
	s_and_saveexec_b64 s[48:49], s[28:29]
; %bb.3414:                             ;   in Loop: Header=BB2_3295 Depth=4
	v_bfe_u32 v7, v40, 20, 1
	v_add_co_u32_e64 v7, s[28:29], v40, v7
	v_add_co_u32_e64 v41, s[28:29], -1, v7
; %bb.3415:                             ;   in Loop: Header=BB2_3295 Depth=4
	s_or_b64 exec, exec, s[48:49]
	v_add_u32_e32 v3, 0xffffff81, v3
	v_cndmask_b32_e32 v3, v3, v37, vcc
	v_lshrrev_b32_e32 v7, 23, v40
	v_add3_u32 v7, v6, v3, v7
	v_add_u32_e32 v6, 6, v7
	v_and_b32_e32 v3, 0xfffff, v41
	v_add_u32_e32 v28, v3, v40
	v_cmp_ne_u32_e32 vcc, 0, v6
                                        ; implicit-def: $vgpr40_vgpr41
                                        ; implicit-def: $vgpr3
	s_and_saveexec_b64 s[28:29], vcc
	s_xor_b64 s[28:29], exec, s[28:29]
; %bb.3416:                             ;   in Loop: Header=BB2_3295 Depth=4
	v_cmp_lt_u64_e32 vcc, s[88:89], v[28:29]
	v_add_u32_e32 v3, 7, v7
	v_cndmask_b32_e32 v3, v6, v3, vcc
	v_cndmask_b32_e64 v6, 0, 1, vcc
	v_lshrrev_b64 v[40:41], v6, v[28:29]
; %bb.3417:                             ;   in Loop: Header=BB2_3295 Depth=4
	s_andn2_saveexec_b64 s[28:29], s[28:29]
; %bb.3418:                             ;   in Loop: Header=BB2_3295 Depth=4
	v_mov_b32_e32 v41, v29
	v_bfe_u32 v3, v28, 23, 1
	v_mov_b32_e32 v40, v28
; %bb.3419:                             ;   in Loop: Header=BB2_3295 Depth=4
	s_or_b64 exec, exec, s[28:29]
	v_lshrrev_b64 v[6:7], 20, v[40:41]
	v_cmp_gt_i32_e32 vcc, 16, v3
	v_cndmask_b32_e32 v41, 0, v7, vcc
	v_cndmask_b32_e32 v40, 7, v6, vcc
	v_cmp_ne_u64_e32 vcc, 0, v[40:41]
	v_cmp_ne_u32_e64 s[28:29], 0, v3
	s_or_b64 s[28:29], s[28:29], vcc
                                        ; implicit-def: $vgpr16
	s_and_saveexec_b64 vcc, s[28:29]
	s_xor_b64 s[28:29], exec, vcc
; %bb.3420:                             ;   in Loop: Header=BB2_3295 Depth=4
	v_min_i32_e32 v3, 15, v3
	v_lshl_or_b32 v2, v3, 3, v2
	v_and_or_b32 v16, v40, 7, v2
                                        ; implicit-def: $vgpr2
; %bb.3421:                             ;   in Loop: Header=BB2_3295 Depth=4
	s_andn2_saveexec_b64 s[28:29], s[28:29]
; %bb.3422:                             ;   in Loop: Header=BB2_3295 Depth=4
	v_mov_b32_e32 v16, v2
; %bb.3423:                             ;   in Loop: Header=BB2_3295 Depth=4
	s_or_b64 exec, exec, s[28:29]
.LBB2_3424:                             ;   in Loop: Header=BB2_3295 Depth=4
	s_or_b64 exec, exec, s[38:39]
                                        ; implicit-def: $vgpr2
.LBB2_3425:                             ;   in Loop: Header=BB2_3295 Depth=4
	s_andn2_saveexec_b64 s[28:29], s[36:37]
; %bb.3426:                             ;   in Loop: Header=BB2_3295 Depth=4
	v_or_b32_e32 v16, 0x7e, v2
; %bb.3427:                             ;   in Loop: Header=BB2_3295 Depth=4
	s_or_b64 exec, exec, s[28:29]
                                        ; implicit-def: $vgpr3
.LBB2_3428:                             ;   in Loop: Header=BB2_3295 Depth=4
	s_andn2_saveexec_b64 s[28:29], s[34:35]
; %bb.3429:                             ;   in Loop: Header=BB2_3295 Depth=4
	v_or_b32_sdwa v16, v3, s85 dst_sel:DWORD dst_unused:UNUSED_PAD src0_sel:BYTE_3 src1_sel:DWORD
; %bb.3430:                             ;   in Loop: Header=BB2_3295 Depth=4
	s_or_b64 exec, exec, s[28:29]
	flat_load_ubyte v2, v[8:9] offset:320 glc slc
	v_mov_b32_e32 v3, 0
	s_waitcnt vmcnt(0) lgkmcnt(0)
	v_cmp_ne_u16_e32 vcc, 0, v2
	s_and_saveexec_b64 s[28:29], vcc
	s_cbranch_execz .LBB2_3436
; %bb.3431:                             ;   in Loop: Header=BB2_3295 Depth=4
	v_cmp_ne_u16_e32 vcc, s87, v2
	v_bfrev_b32_e32 v3, 1
	s_and_saveexec_b64 s[34:35], vcc
	s_cbranch_execz .LBB2_3435
; %bb.3432:                             ;   in Loop: Header=BB2_3295 Depth=4
	v_and_b32_e32 v28, 0xffff, v2
	v_and_b32_e32 v6, 0x7f, v28
	v_cmp_ne_u32_e32 vcc, s85, v6
	v_mov_b32_e32 v3, 0x7f800001
	s_and_saveexec_b64 s[36:37], vcc
	s_cbranch_execz .LBB2_3434
; %bb.3433:                             ;   in Loop: Header=BB2_3295 Depth=4
	v_and_b32_e32 v3, 7, v28
	v_lshrrev_b32_e32 v31, 3, v6
	v_cmp_gt_u32_e32 vcc, 8, v6
	v_ffbh_u32_e32 v6, v3
	v_min_u32_e32 v33, 32, v6
	v_subrev_u32_e32 v6, 28, v33
	v_lshlrev_b64 v[6:7], v6, v[28:29]
	v_sub_u32_e32 v7, 29, v33
	v_and_b32_e32 v6, 7, v6
	v_cndmask_b32_e32 v7, v31, v7, vcc
	v_cndmask_b32_e32 v3, v3, v6, vcc
	v_lshlrev_b32_e32 v2, 24, v2
	v_lshlrev_b32_e32 v3, 20, v3
	v_and_b32_e32 v2, 0x80000000, v2
	v_lshl_add_u32 v6, v7, 23, v17
	v_or3_b32 v3, v2, v6, v3
.LBB2_3434:                             ;   in Loop: Header=BB2_3295 Depth=4
	s_or_b64 exec, exec, s[36:37]
.LBB2_3435:                             ;   in Loop: Header=BB2_3295 Depth=4
	s_or_b64 exec, exec, s[34:35]
.LBB2_3436:                             ;   in Loop: Header=BB2_3295 Depth=4
	s_or_b64 exec, exec, s[28:29]
	v_mul_f32_e32 v3, s45, v3
	v_and_b32_e32 v28, 0x7f800000, v3
	v_cmp_ne_u64_e32 vcc, s[76:77], v[28:29]
                                        ; implicit-def: $vgpr7
	s_and_saveexec_b64 s[28:29], vcc
	s_xor_b64 s[34:35], exec, s[28:29]
	s_cbranch_execz .LBB2_3454
; %bb.3437:                             ;   in Loop: Header=BB2_3295 Depth=4
	v_and_b32_e32 v28, 0x7fffffff, v3
	v_cmp_gt_u64_e32 vcc, s[78:79], v[28:29]
	v_and_b32_sdwa v2, v3, s87 dst_sel:DWORD dst_unused:UNUSED_PAD src0_sel:BYTE_3 src1_sel:DWORD
                                        ; implicit-def: $vgpr7
	s_and_saveexec_b64 s[28:29], vcc
	s_xor_b64 s[36:37], exec, s[28:29]
	s_cbranch_execz .LBB2_3451
; %bb.3438:                             ;   in Loop: Header=BB2_3295 Depth=4
	v_cmp_ne_u32_e32 vcc, 0, v3
	v_mov_b32_e32 v7, 0
	s_and_saveexec_b64 s[38:39], vcc
	s_cbranch_execz .LBB2_3450
; %bb.3439:                             ;   in Loop: Header=BB2_3295 Depth=4
	v_and_b32_e32 v7, 0x7fffff, v3
	v_bfe_u32 v3, v3, 23, 8
	v_cmp_gt_u32_e64 s[28:29], s96, v3
	v_sub_u32_e32 v6, 0x79, v3
	v_cmp_eq_u32_e32 vcc, 0, v3
	v_cndmask_b32_e64 v6, 0, v6, s[28:29]
	v_or_b32_e32 v28, 0x800000, v7
	v_cndmask_b32_e32 v6, v6, v36, vcc
	v_cndmask_b32_e32 v28, v28, v7, vcc
	v_add_u32_e32 v7, 20, v6
	v_lshlrev_b64 v[33:34], v7, -1
	v_add_u32_e32 v7, 19, v6
	v_lshlrev_b64 v[52:53], v7, 1
	v_lshrrev_b64 v[40:41], v6, v[28:29]
	v_bfi_b32 v34, v34, 0, 0
	v_bfi_b32 v33, v33, 0, v28
	v_cmp_eq_u64_e64 s[28:29], v[33:34], v[52:53]
	v_mov_b32_e32 v42, v41
	v_mov_b32_e32 v41, v40
	s_and_saveexec_b64 s[48:49], s[28:29]
; %bb.3440:                             ;   in Loop: Header=BB2_3295 Depth=4
	v_bfe_u32 v7, v40, 20, 1
	v_add_co_u32_e64 v7, s[28:29], v40, v7
	v_add_co_u32_e64 v41, s[28:29], -1, v7
; %bb.3441:                             ;   in Loop: Header=BB2_3295 Depth=4
	s_or_b64 exec, exec, s[48:49]
	v_add_u32_e32 v3, 0xffffff81, v3
	v_cndmask_b32_e32 v3, v3, v37, vcc
	v_lshrrev_b32_e32 v7, 23, v40
	v_add3_u32 v7, v6, v3, v7
	v_add_u32_e32 v6, 6, v7
	v_and_b32_e32 v3, 0xfffff, v41
	v_add_u32_e32 v28, v3, v40
	v_cmp_ne_u32_e32 vcc, 0, v6
                                        ; implicit-def: $vgpr40_vgpr41
                                        ; implicit-def: $vgpr3
	s_and_saveexec_b64 s[28:29], vcc
	s_xor_b64 s[28:29], exec, s[28:29]
; %bb.3442:                             ;   in Loop: Header=BB2_3295 Depth=4
	v_cmp_lt_u64_e32 vcc, s[88:89], v[28:29]
	v_add_u32_e32 v3, 7, v7
	v_cndmask_b32_e32 v3, v6, v3, vcc
	v_cndmask_b32_e64 v6, 0, 1, vcc
	v_lshrrev_b64 v[40:41], v6, v[28:29]
; %bb.3443:                             ;   in Loop: Header=BB2_3295 Depth=4
	s_andn2_saveexec_b64 s[28:29], s[28:29]
; %bb.3444:                             ;   in Loop: Header=BB2_3295 Depth=4
	v_mov_b32_e32 v41, v29
	v_bfe_u32 v3, v28, 23, 1
	v_mov_b32_e32 v40, v28
; %bb.3445:                             ;   in Loop: Header=BB2_3295 Depth=4
	s_or_b64 exec, exec, s[28:29]
	v_lshrrev_b64 v[6:7], 20, v[40:41]
	v_cmp_gt_i32_e32 vcc, 16, v3
	v_cndmask_b32_e32 v41, 0, v7, vcc
	v_cndmask_b32_e32 v40, 7, v6, vcc
	v_cmp_ne_u64_e32 vcc, 0, v[40:41]
	v_cmp_ne_u32_e64 s[28:29], 0, v3
	s_or_b64 s[28:29], s[28:29], vcc
                                        ; implicit-def: $vgpr7
	s_and_saveexec_b64 vcc, s[28:29]
	s_xor_b64 s[28:29], exec, vcc
; %bb.3446:                             ;   in Loop: Header=BB2_3295 Depth=4
	v_min_i32_e32 v3, 15, v3
	v_lshl_or_b32 v2, v3, 3, v2
	v_and_or_b32 v7, v40, 7, v2
                                        ; implicit-def: $vgpr2
; %bb.3447:                             ;   in Loop: Header=BB2_3295 Depth=4
	s_andn2_saveexec_b64 s[28:29], s[28:29]
; %bb.3448:                             ;   in Loop: Header=BB2_3295 Depth=4
	v_mov_b32_e32 v7, v2
; %bb.3449:                             ;   in Loop: Header=BB2_3295 Depth=4
	s_or_b64 exec, exec, s[28:29]
.LBB2_3450:                             ;   in Loop: Header=BB2_3295 Depth=4
	s_or_b64 exec, exec, s[38:39]
                                        ; implicit-def: $vgpr2
.LBB2_3451:                             ;   in Loop: Header=BB2_3295 Depth=4
	s_andn2_saveexec_b64 s[28:29], s[36:37]
; %bb.3452:                             ;   in Loop: Header=BB2_3295 Depth=4
	v_or_b32_e32 v7, 0x7e, v2
; %bb.3453:                             ;   in Loop: Header=BB2_3295 Depth=4
	s_or_b64 exec, exec, s[28:29]
                                        ; implicit-def: $vgpr3
.LBB2_3454:                             ;   in Loop: Header=BB2_3295 Depth=4
	s_andn2_saveexec_b64 s[28:29], s[34:35]
; %bb.3455:                             ;   in Loop: Header=BB2_3295 Depth=4
	v_or_b32_sdwa v7, v3, s85 dst_sel:DWORD dst_unused:UNUSED_PAD src0_sel:BYTE_3 src1_sel:DWORD
; %bb.3456:                             ;   in Loop: Header=BB2_3295 Depth=4
	s_or_b64 exec, exec, s[28:29]
	flat_load_ubyte v2, v[8:9] offset:384 glc slc
	v_mov_b32_e32 v3, 0
	s_waitcnt vmcnt(0) lgkmcnt(0)
	v_cmp_ne_u16_e32 vcc, 0, v2
	s_and_saveexec_b64 s[28:29], vcc
	s_cbranch_execz .LBB2_3462
; %bb.3457:                             ;   in Loop: Header=BB2_3295 Depth=4
	v_cmp_ne_u16_e32 vcc, s87, v2
	v_bfrev_b32_e32 v3, 1
	s_and_saveexec_b64 s[34:35], vcc
	s_cbranch_execz .LBB2_3461
; %bb.3458:                             ;   in Loop: Header=BB2_3295 Depth=4
	v_and_b32_e32 v28, 0xffff, v2
	v_and_b32_e32 v6, 0x7f, v28
	v_cmp_ne_u32_e32 vcc, s85, v6
	v_mov_b32_e32 v3, 0x7f800001
	s_and_saveexec_b64 s[36:37], vcc
	s_cbranch_execz .LBB2_3460
; %bb.3459:                             ;   in Loop: Header=BB2_3295 Depth=4
	v_and_b32_e32 v3, 7, v28
	v_lshrrev_b32_e32 v31, 3, v6
	v_cmp_gt_u32_e32 vcc, 8, v6
	v_ffbh_u32_e32 v6, v3
	v_min_u32_e32 v6, 32, v6
	v_subrev_u32_e32 v33, 28, v6
	v_lshlrev_b64 v[33:34], v33, v[28:29]
	v_sub_u32_e32 v6, 29, v6
	v_and_b32_e32 v28, 7, v33
	v_cndmask_b32_e32 v6, v31, v6, vcc
	v_cndmask_b32_e32 v3, v3, v28, vcc
	v_lshlrev_b32_e32 v2, 24, v2
	v_lshlrev_b32_e32 v3, 20, v3
	v_and_b32_e32 v2, 0x80000000, v2
	v_lshl_add_u32 v6, v6, 23, v17
	v_or3_b32 v3, v2, v6, v3
.LBB2_3460:                             ;   in Loop: Header=BB2_3295 Depth=4
	s_or_b64 exec, exec, s[36:37]
.LBB2_3461:                             ;   in Loop: Header=BB2_3295 Depth=4
	s_or_b64 exec, exec, s[34:35]
.LBB2_3462:                             ;   in Loop: Header=BB2_3295 Depth=4
	s_or_b64 exec, exec, s[28:29]
	v_mul_f32_e32 v3, s45, v3
	v_and_b32_e32 v28, 0x7f800000, v3
	v_cmp_ne_u64_e32 vcc, s[76:77], v[28:29]
                                        ; implicit-def: $vgpr6
	s_and_saveexec_b64 s[28:29], vcc
	s_xor_b64 s[34:35], exec, s[28:29]
	s_cbranch_execz .LBB2_3480
; %bb.3463:                             ;   in Loop: Header=BB2_3295 Depth=4
	v_and_b32_e32 v28, 0x7fffffff, v3
	v_cmp_gt_u64_e32 vcc, s[78:79], v[28:29]
	v_and_b32_sdwa v2, v3, s87 dst_sel:DWORD dst_unused:UNUSED_PAD src0_sel:BYTE_3 src1_sel:DWORD
                                        ; implicit-def: $vgpr6
	s_and_saveexec_b64 s[28:29], vcc
	s_xor_b64 s[36:37], exec, s[28:29]
	s_cbranch_execz .LBB2_3477
; %bb.3464:                             ;   in Loop: Header=BB2_3295 Depth=4
	v_cmp_ne_u32_e32 vcc, 0, v3
	v_mov_b32_e32 v6, 0
	s_and_saveexec_b64 s[38:39], vcc
	s_cbranch_execz .LBB2_3476
; %bb.3465:                             ;   in Loop: Header=BB2_3295 Depth=4
	v_and_b32_e32 v28, 0x7fffff, v3
	v_bfe_u32 v3, v3, 23, 8
	v_cmp_gt_u32_e64 s[28:29], s96, v3
	v_sub_u32_e32 v6, 0x79, v3
	v_cmp_eq_u32_e32 vcc, 0, v3
	v_cndmask_b32_e64 v6, 0, v6, s[28:29]
	v_or_b32_e32 v31, 0x800000, v28
	v_cndmask_b32_e32 v6, v6, v36, vcc
	v_cndmask_b32_e32 v28, v31, v28, vcc
	v_add_u32_e32 v31, 20, v6
	v_lshlrev_b64 v[33:34], v31, -1
	v_add_u32_e32 v31, 19, v6
	v_lshlrev_b64 v[52:53], v31, 1
	v_lshrrev_b64 v[40:41], v6, v[28:29]
	v_bfi_b32 v34, v34, 0, 0
	v_bfi_b32 v33, v33, 0, v28
	v_cmp_eq_u64_e64 s[28:29], v[33:34], v[52:53]
	v_mov_b32_e32 v42, v41
	v_mov_b32_e32 v41, v40
	s_and_saveexec_b64 s[48:49], s[28:29]
; %bb.3466:                             ;   in Loop: Header=BB2_3295 Depth=4
	v_bfe_u32 v28, v40, 20, 1
	v_add_co_u32_e64 v28, s[28:29], v40, v28
	v_add_co_u32_e64 v41, s[28:29], -1, v28
; %bb.3467:                             ;   in Loop: Header=BB2_3295 Depth=4
	s_or_b64 exec, exec, s[48:49]
	v_add_u32_e32 v3, 0xffffff81, v3
	v_cndmask_b32_e32 v3, v3, v37, vcc
	v_lshrrev_b32_e32 v28, 23, v40
	v_add3_u32 v31, v6, v3, v28
	v_add_u32_e32 v6, 6, v31
	v_and_b32_e32 v3, 0xfffff, v41
	v_add_u32_e32 v28, v3, v40
	v_cmp_ne_u32_e32 vcc, 0, v6
                                        ; implicit-def: $vgpr40_vgpr41
                                        ; implicit-def: $vgpr3
	s_and_saveexec_b64 s[28:29], vcc
	s_xor_b64 s[28:29], exec, s[28:29]
; %bb.3468:                             ;   in Loop: Header=BB2_3295 Depth=4
	v_cmp_lt_u64_e32 vcc, s[88:89], v[28:29]
	v_add_u32_e32 v3, 7, v31
	v_cndmask_b32_e32 v3, v6, v3, vcc
	v_cndmask_b32_e64 v6, 0, 1, vcc
	v_lshrrev_b64 v[40:41], v6, v[28:29]
; %bb.3469:                             ;   in Loop: Header=BB2_3295 Depth=4
	s_andn2_saveexec_b64 s[28:29], s[28:29]
; %bb.3470:                             ;   in Loop: Header=BB2_3295 Depth=4
	v_mov_b32_e32 v41, v29
	v_bfe_u32 v3, v28, 23, 1
	v_mov_b32_e32 v40, v28
; %bb.3471:                             ;   in Loop: Header=BB2_3295 Depth=4
	s_or_b64 exec, exec, s[28:29]
	v_lshrrev_b64 v[33:34], 20, v[40:41]
	v_cmp_gt_i32_e32 vcc, 16, v3
	v_cndmask_b32_e32 v41, 0, v34, vcc
	v_cndmask_b32_e32 v40, 7, v33, vcc
	v_cmp_ne_u64_e32 vcc, 0, v[40:41]
	v_cmp_ne_u32_e64 s[28:29], 0, v3
	s_or_b64 s[28:29], s[28:29], vcc
                                        ; implicit-def: $vgpr6
	s_and_saveexec_b64 vcc, s[28:29]
	s_xor_b64 s[28:29], exec, vcc
; %bb.3472:                             ;   in Loop: Header=BB2_3295 Depth=4
	v_min_i32_e32 v3, 15, v3
	v_lshl_or_b32 v2, v3, 3, v2
	v_and_or_b32 v6, v40, 7, v2
                                        ; implicit-def: $vgpr2
; %bb.3473:                             ;   in Loop: Header=BB2_3295 Depth=4
	s_andn2_saveexec_b64 s[28:29], s[28:29]
; %bb.3474:                             ;   in Loop: Header=BB2_3295 Depth=4
	v_mov_b32_e32 v6, v2
; %bb.3475:                             ;   in Loop: Header=BB2_3295 Depth=4
	s_or_b64 exec, exec, s[28:29]
.LBB2_3476:                             ;   in Loop: Header=BB2_3295 Depth=4
	s_or_b64 exec, exec, s[38:39]
                                        ; implicit-def: $vgpr2
.LBB2_3477:                             ;   in Loop: Header=BB2_3295 Depth=4
	s_andn2_saveexec_b64 s[28:29], s[36:37]
; %bb.3478:                             ;   in Loop: Header=BB2_3295 Depth=4
	v_or_b32_e32 v6, 0x7e, v2
; %bb.3479:                             ;   in Loop: Header=BB2_3295 Depth=4
	s_or_b64 exec, exec, s[28:29]
                                        ; implicit-def: $vgpr3
.LBB2_3480:                             ;   in Loop: Header=BB2_3295 Depth=4
	s_andn2_saveexec_b64 s[28:29], s[34:35]
; %bb.3481:                             ;   in Loop: Header=BB2_3295 Depth=4
	v_or_b32_sdwa v6, v3, s85 dst_sel:DWORD dst_unused:UNUSED_PAD src0_sel:BYTE_3 src1_sel:DWORD
; %bb.3482:                             ;   in Loop: Header=BB2_3295 Depth=4
	s_or_b64 exec, exec, s[28:29]
	flat_load_ubyte v2, v[8:9] offset:448 glc slc
	v_mov_b32_e32 v3, 0
	s_waitcnt vmcnt(0) lgkmcnt(0)
	v_cmp_ne_u16_e32 vcc, 0, v2
	s_and_saveexec_b64 s[28:29], vcc
	s_cbranch_execz .LBB2_3488
; %bb.3483:                             ;   in Loop: Header=BB2_3295 Depth=4
	v_cmp_ne_u16_e32 vcc, s87, v2
	v_bfrev_b32_e32 v3, 1
	s_and_saveexec_b64 s[34:35], vcc
	s_cbranch_execz .LBB2_3487
; %bb.3484:                             ;   in Loop: Header=BB2_3295 Depth=4
	v_and_b32_e32 v28, 0xffff, v2
	v_and_b32_e32 v31, 0x7f, v28
	v_cmp_ne_u32_e32 vcc, s85, v31
	v_mov_b32_e32 v3, 0x7f800001
	s_and_saveexec_b64 s[36:37], vcc
	s_cbranch_execz .LBB2_3486
; %bb.3485:                             ;   in Loop: Header=BB2_3295 Depth=4
	v_and_b32_e32 v3, 7, v28
	v_lshrrev_b32_e32 v35, 3, v31
	v_cmp_gt_u32_e32 vcc, 8, v31
	v_ffbh_u32_e32 v31, v3
	v_min_u32_e32 v31, 32, v31
	v_subrev_u32_e32 v33, 28, v31
	v_lshlrev_b64 v[33:34], v33, v[28:29]
	v_sub_u32_e32 v28, 29, v31
	v_and_b32_e32 v31, 7, v33
	v_cndmask_b32_e32 v28, v35, v28, vcc
	v_cndmask_b32_e32 v3, v3, v31, vcc
	v_lshlrev_b32_e32 v2, 24, v2
	v_lshlrev_b32_e32 v3, 20, v3
	v_and_b32_e32 v2, 0x80000000, v2
	v_lshl_add_u32 v28, v28, 23, v17
	v_or3_b32 v3, v2, v28, v3
.LBB2_3486:                             ;   in Loop: Header=BB2_3295 Depth=4
	s_or_b64 exec, exec, s[36:37]
.LBB2_3487:                             ;   in Loop: Header=BB2_3295 Depth=4
	s_or_b64 exec, exec, s[34:35]
.LBB2_3488:                             ;   in Loop: Header=BB2_3295 Depth=4
	s_or_b64 exec, exec, s[28:29]
	v_mul_f32_e32 v31, s45, v3
	v_and_b32_e32 v28, 0x7f800000, v31
	v_cmp_ne_u64_e32 vcc, s[76:77], v[28:29]
                                        ; implicit-def: $vgpr2
	s_and_saveexec_b64 s[28:29], vcc
	s_xor_b64 s[34:35], exec, s[28:29]
	s_cbranch_execz .LBB2_3506
; %bb.3489:                             ;   in Loop: Header=BB2_3295 Depth=4
	v_and_b32_e32 v28, 0x7fffffff, v31
	v_cmp_gt_u64_e32 vcc, s[78:79], v[28:29]
	v_and_b32_sdwa v3, v31, s87 dst_sel:DWORD dst_unused:UNUSED_PAD src0_sel:BYTE_3 src1_sel:DWORD
                                        ; implicit-def: $vgpr2
	s_and_saveexec_b64 s[28:29], vcc
	s_xor_b64 s[36:37], exec, s[28:29]
	s_cbranch_execz .LBB2_3503
; %bb.3490:                             ;   in Loop: Header=BB2_3295 Depth=4
	v_cmp_ne_u32_e32 vcc, 0, v31
	v_mov_b32_e32 v2, 0
	s_and_saveexec_b64 s[38:39], vcc
	s_cbranch_execz .LBB2_3502
; %bb.3491:                             ;   in Loop: Header=BB2_3295 Depth=4
	v_bfe_u32 v2, v31, 23, 8
	v_and_b32_e32 v28, 0x7fffff, v31
	v_cmp_gt_u32_e64 s[28:29], s96, v2
	v_sub_u32_e32 v31, 0x79, v2
	v_cmp_eq_u32_e32 vcc, 0, v2
	v_cndmask_b32_e64 v31, 0, v31, s[28:29]
	v_or_b32_e32 v33, 0x800000, v28
	v_cndmask_b32_e32 v31, v31, v36, vcc
	v_cndmask_b32_e32 v28, v33, v28, vcc
	v_add_u32_e32 v33, 20, v31
	v_lshlrev_b64 v[33:34], v33, -1
	v_add_u32_e32 v35, 19, v31
	v_lshlrev_b64 v[52:53], v35, 1
	v_lshrrev_b64 v[40:41], v31, v[28:29]
	v_bfi_b32 v34, v34, 0, 0
	v_bfi_b32 v33, v33, 0, v28
	v_cmp_eq_u64_e64 s[28:29], v[33:34], v[52:53]
	v_mov_b32_e32 v42, v41
	v_mov_b32_e32 v41, v40
	s_and_saveexec_b64 s[48:49], s[28:29]
; %bb.3492:                             ;   in Loop: Header=BB2_3295 Depth=4
	v_bfe_u32 v28, v40, 20, 1
	v_add_co_u32_e64 v28, s[28:29], v40, v28
	v_add_co_u32_e64 v41, s[28:29], -1, v28
; %bb.3493:                             ;   in Loop: Header=BB2_3295 Depth=4
	s_or_b64 exec, exec, s[48:49]
	v_add_u32_e32 v2, 0xffffff81, v2
	v_cndmask_b32_e32 v2, v2, v37, vcc
	v_lshrrev_b32_e32 v28, 23, v40
	v_add3_u32 v33, v31, v2, v28
	v_add_u32_e32 v2, 6, v33
	v_and_b32_e32 v28, 0xfffff, v41
	v_add_u32_e32 v28, v28, v40
	v_cmp_ne_u32_e32 vcc, 0, v2
                                        ; implicit-def: $vgpr40_vgpr41
                                        ; implicit-def: $vgpr31
	s_and_saveexec_b64 s[28:29], vcc
	s_xor_b64 s[28:29], exec, s[28:29]
; %bb.3494:                             ;   in Loop: Header=BB2_3295 Depth=4
	v_cmp_lt_u64_e32 vcc, s[88:89], v[28:29]
	v_add_u32_e32 v31, 7, v33
	v_cndmask_b32_e32 v31, v2, v31, vcc
	v_cndmask_b32_e64 v2, 0, 1, vcc
	v_lshrrev_b64 v[40:41], v2, v[28:29]
; %bb.3495:                             ;   in Loop: Header=BB2_3295 Depth=4
	s_andn2_saveexec_b64 s[28:29], s[28:29]
; %bb.3496:                             ;   in Loop: Header=BB2_3295 Depth=4
	v_mov_b32_e32 v41, v29
	v_bfe_u32 v31, v28, 23, 1
	v_mov_b32_e32 v40, v28
; %bb.3497:                             ;   in Loop: Header=BB2_3295 Depth=4
	s_or_b64 exec, exec, s[28:29]
	v_lshrrev_b64 v[33:34], 20, v[40:41]
	v_cmp_gt_i32_e32 vcc, 16, v31
	v_cndmask_b32_e32 v41, 0, v34, vcc
	v_cndmask_b32_e32 v40, 7, v33, vcc
	v_cmp_ne_u64_e32 vcc, 0, v[40:41]
	v_cmp_ne_u32_e64 s[28:29], 0, v31
	s_or_b64 s[28:29], s[28:29], vcc
                                        ; implicit-def: $vgpr2
	s_and_saveexec_b64 vcc, s[28:29]
	s_xor_b64 s[28:29], exec, vcc
; %bb.3498:                             ;   in Loop: Header=BB2_3295 Depth=4
	v_min_i32_e32 v2, 15, v31
	v_lshl_or_b32 v2, v2, 3, v3
	v_and_or_b32 v2, v40, 7, v2
                                        ; implicit-def: $vgpr3
; %bb.3499:                             ;   in Loop: Header=BB2_3295 Depth=4
	s_andn2_saveexec_b64 s[28:29], s[28:29]
; %bb.3500:                             ;   in Loop: Header=BB2_3295 Depth=4
	v_mov_b32_e32 v2, v3
; %bb.3501:                             ;   in Loop: Header=BB2_3295 Depth=4
	s_or_b64 exec, exec, s[28:29]
.LBB2_3502:                             ;   in Loop: Header=BB2_3295 Depth=4
	s_or_b64 exec, exec, s[38:39]
                                        ; implicit-def: $vgpr3
.LBB2_3503:                             ;   in Loop: Header=BB2_3295 Depth=4
	s_andn2_saveexec_b64 s[28:29], s[36:37]
; %bb.3504:                             ;   in Loop: Header=BB2_3295 Depth=4
	v_or_b32_e32 v2, 0x7e, v3
; %bb.3505:                             ;   in Loop: Header=BB2_3295 Depth=4
	s_or_b64 exec, exec, s[28:29]
                                        ; implicit-def: $vgpr31
.LBB2_3506:                             ;   in Loop: Header=BB2_3295 Depth=4
	s_andn2_saveexec_b64 s[28:29], s[34:35]
; %bb.3507:                             ;   in Loop: Header=BB2_3295 Depth=4
	v_or_b32_sdwa v2, v31, s85 dst_sel:DWORD dst_unused:UNUSED_PAD src0_sel:BYTE_3 src1_sel:DWORD
; %bb.3508:                             ;   in Loop: Header=BB2_3295 Depth=4
	s_or_b64 exec, exec, s[28:29]
	flat_load_ubyte v40, v[10:11] glc slc
	flat_load_ubyte v53, v[10:11] offset:64 glc slc
	flat_load_ubyte v52, v[10:11] offset:128 glc slc
	;; [unrolled: 1-line block ×7, first 2 shown]
	v_and_b32_e32 v28, 0xff, v5
	v_cmp_ne_u16_e32 vcc, 0, v28
	v_mov_b32_e32 v41, 0
	v_mov_b32_e32 v42, 0
	s_and_saveexec_b64 s[28:29], vcc
	s_cbranch_execz .LBB2_3514
; %bb.3509:                             ;   in Loop: Header=BB2_3295 Depth=4
	v_cmp_ne_u16_e32 vcc, s87, v28
	v_bfrev_b32_e32 v42, 1
	s_and_saveexec_b64 s[34:35], vcc
	s_cbranch_execz .LBB2_3513
; %bb.3510:                             ;   in Loop: Header=BB2_3295 Depth=4
	v_and_b32_e32 v43, 0x7f, v5
	v_cmp_ne_u32_e32 vcc, s85, v43
	v_mov_b32_e32 v42, 0x7f800001
	s_and_saveexec_b64 s[36:37], vcc
	s_cbranch_execz .LBB2_3512
; %bb.3511:                             ;   in Loop: Header=BB2_3295 Depth=4
	v_and_b32_e32 v44, 7, v28
	v_ffbh_u32_e32 v42, v44
	v_min_u32_e32 v46, 32, v42
	v_subrev_u32_e32 v42, 28, v46
	v_lshrrev_b32_e32 v45, 3, v43
	v_cmp_gt_u32_e32 vcc, 8, v43
	v_lshlrev_b64 v[42:43], v42, v[28:29]
	v_sub_u32_e32 v28, 29, v46
	v_and_b32_e32 v42, 7, v42
	v_cndmask_b32_e32 v28, v45, v28, vcc
	v_cndmask_b32_e32 v42, v44, v42, vcc
	v_lshlrev_b32_e32 v5, 24, v5
	v_lshlrev_b32_e32 v42, 20, v42
	v_and_b32_e32 v5, 0x80000000, v5
	v_lshl_add_u32 v28, v28, 23, v17
	v_or3_b32 v42, v5, v28, v42
.LBB2_3512:                             ;   in Loop: Header=BB2_3295 Depth=4
	s_or_b64 exec, exec, s[36:37]
.LBB2_3513:                             ;   in Loop: Header=BB2_3295 Depth=4
	s_or_b64 exec, exec, s[34:35]
.LBB2_3514:                             ;   in Loop: Header=BB2_3295 Depth=4
	s_or_b64 exec, exec, s[28:29]
	s_waitcnt vmcnt(0) lgkmcnt(0)
	v_and_b32_e32 v28, 0xff, v40
	v_cmp_ne_u16_e32 vcc, 0, v28
	s_and_saveexec_b64 s[28:29], vcc
	s_cbranch_execz .LBB2_3520
; %bb.3515:                             ;   in Loop: Header=BB2_3295 Depth=4
	v_cmp_ne_u16_e32 vcc, s87, v28
	v_bfrev_b32_e32 v41, 1
	s_and_saveexec_b64 s[34:35], vcc
	s_cbranch_execz .LBB2_3519
; %bb.3516:                             ;   in Loop: Header=BB2_3295 Depth=4
	v_and_b32_e32 v5, 0x7f, v40
	v_cmp_ne_u32_e32 vcc, s85, v5
	v_mov_b32_e32 v41, 0x7f800001
	s_and_saveexec_b64 s[36:37], vcc
	s_cbranch_execz .LBB2_3518
; %bb.3517:                             ;   in Loop: Header=BB2_3295 Depth=4
	v_and_b32_e32 v41, 7, v28
	v_lshrrev_b32_e32 v45, 3, v5
	v_cmp_gt_u32_e32 vcc, 8, v5
	v_ffbh_u32_e32 v5, v41
	v_min_u32_e32 v5, 32, v5
	v_subrev_u32_e32 v43, 28, v5
	v_lshlrev_b64 v[43:44], v43, v[28:29]
	v_sub_u32_e32 v5, 29, v5
	v_and_b32_e32 v28, 7, v43
	v_cndmask_b32_e32 v5, v45, v5, vcc
	v_cndmask_b32_e32 v28, v41, v28, vcc
	v_lshlrev_b32_e32 v40, 24, v40
	v_lshlrev_b32_e32 v28, 20, v28
	v_and_b32_e32 v40, 0x80000000, v40
	v_lshl_add_u32 v5, v5, 23, v17
	v_or3_b32 v41, v40, v5, v28
.LBB2_3518:                             ;   in Loop: Header=BB2_3295 Depth=4
	s_or_b64 exec, exec, s[36:37]
.LBB2_3519:                             ;   in Loop: Header=BB2_3295 Depth=4
	s_or_b64 exec, exec, s[34:35]
.LBB2_3520:                             ;   in Loop: Header=BB2_3295 Depth=4
	s_or_b64 exec, exec, s[28:29]
	v_add_f32_e32 v40, v42, v41
	v_and_b32_e32 v28, 0x7f800000, v40
	v_cmp_ne_u64_e32 vcc, s[76:77], v[28:29]
                                        ; implicit-def: $vgpr5
	s_and_saveexec_b64 s[28:29], vcc
	s_xor_b64 s[34:35], exec, s[28:29]
	s_cbranch_execz .LBB2_3538
; %bb.3521:                             ;   in Loop: Header=BB2_3295 Depth=4
	v_and_b32_e32 v28, 0x7fffffff, v40
	v_cmp_gt_u64_e32 vcc, s[78:79], v[28:29]
	v_and_b32_sdwa v43, v40, s87 dst_sel:DWORD dst_unused:UNUSED_PAD src0_sel:BYTE_3 src1_sel:DWORD
                                        ; implicit-def: $vgpr5
	s_and_saveexec_b64 s[28:29], vcc
	s_xor_b64 s[36:37], exec, s[28:29]
	s_cbranch_execz .LBB2_3535
; %bb.3522:                             ;   in Loop: Header=BB2_3295 Depth=4
	v_cmp_ne_u32_e32 vcc, 0, v40
	v_mov_b32_e32 v5, 0
	s_and_saveexec_b64 s[38:39], vcc
	s_cbranch_execz .LBB2_3534
; %bb.3523:                             ;   in Loop: Header=BB2_3295 Depth=4
	v_bfe_u32 v5, v40, 23, 8
	v_and_b32_e32 v28, 0x7fffff, v40
	v_cmp_gt_u32_e64 s[28:29], s96, v5
	v_sub_u32_e32 v40, 0x79, v5
	v_cmp_eq_u32_e32 vcc, 0, v5
	v_cndmask_b32_e64 v40, 0, v40, s[28:29]
	v_cndmask_b32_e32 v44, v40, v36, vcc
	v_or_b32_e32 v41, 0x800000, v28
	v_add_u32_e32 v40, 20, v44
	v_cndmask_b32_e32 v28, v41, v28, vcc
	v_lshlrev_b64 v[40:41], v40, -1
	v_add_u32_e32 v42, 19, v44
	v_lshlrev_b64 v[45:46], v42, 1
	v_bfi_b32 v41, v41, 0, 0
	v_bfi_b32 v40, v40, 0, v28
	v_cmp_eq_u64_e64 s[28:29], v[40:41], v[45:46]
	v_lshrrev_b64 v[40:41], v44, v[28:29]
	v_mov_b32_e32 v42, v41
	v_mov_b32_e32 v41, v40
	s_and_saveexec_b64 s[48:49], s[28:29]
; %bb.3524:                             ;   in Loop: Header=BB2_3295 Depth=4
	v_bfe_u32 v28, v40, 20, 1
	v_add_co_u32_e64 v28, s[28:29], v40, v28
	v_add_co_u32_e64 v41, s[28:29], -1, v28
; %bb.3525:                             ;   in Loop: Header=BB2_3295 Depth=4
	s_or_b64 exec, exec, s[48:49]
	v_add_u32_e32 v5, 0xffffff81, v5
	v_cndmask_b32_e32 v5, v5, v37, vcc
	v_lshrrev_b32_e32 v28, 23, v40
	v_add3_u32 v44, v44, v5, v28
	v_add_u32_e32 v5, 6, v44
	v_and_b32_e32 v28, 0xfffff, v41
	v_add_u32_e32 v28, v28, v40
	v_cmp_ne_u32_e32 vcc, 0, v5
                                        ; implicit-def: $vgpr40_vgpr41
                                        ; implicit-def: $vgpr42
	s_and_saveexec_b64 s[28:29], vcc
	s_xor_b64 s[28:29], exec, s[28:29]
; %bb.3526:                             ;   in Loop: Header=BB2_3295 Depth=4
	v_cmp_lt_u64_e32 vcc, s[88:89], v[28:29]
	v_add_u32_e32 v40, 7, v44
	v_cndmask_b32_e32 v42, v5, v40, vcc
	v_cndmask_b32_e64 v5, 0, 1, vcc
	v_lshrrev_b64 v[40:41], v5, v[28:29]
; %bb.3527:                             ;   in Loop: Header=BB2_3295 Depth=4
	s_andn2_saveexec_b64 s[28:29], s[28:29]
; %bb.3528:                             ;   in Loop: Header=BB2_3295 Depth=4
	v_mov_b32_e32 v41, v29
	v_bfe_u32 v42, v28, 23, 1
	v_mov_b32_e32 v40, v28
; %bb.3529:                             ;   in Loop: Header=BB2_3295 Depth=4
	s_or_b64 exec, exec, s[28:29]
	v_lshrrev_b64 v[40:41], 20, v[40:41]
	v_cmp_gt_i32_e32 vcc, 16, v42
	v_cndmask_b32_e32 v41, 0, v41, vcc
	v_cndmask_b32_e32 v40, 7, v40, vcc
	v_cmp_ne_u64_e32 vcc, 0, v[40:41]
	v_cmp_ne_u32_e64 s[28:29], 0, v42
	s_or_b64 s[28:29], s[28:29], vcc
                                        ; implicit-def: $vgpr5
	s_and_saveexec_b64 vcc, s[28:29]
	s_xor_b64 s[28:29], exec, vcc
; %bb.3530:                             ;   in Loop: Header=BB2_3295 Depth=4
	v_min_i32_e32 v5, 15, v42
	v_lshl_or_b32 v5, v5, 3, v43
	v_and_or_b32 v5, v40, 7, v5
                                        ; implicit-def: $vgpr43
; %bb.3531:                             ;   in Loop: Header=BB2_3295 Depth=4
	s_andn2_saveexec_b64 s[28:29], s[28:29]
; %bb.3532:                             ;   in Loop: Header=BB2_3295 Depth=4
	v_mov_b32_e32 v5, v43
; %bb.3533:                             ;   in Loop: Header=BB2_3295 Depth=4
	s_or_b64 exec, exec, s[28:29]
.LBB2_3534:                             ;   in Loop: Header=BB2_3295 Depth=4
	s_or_b64 exec, exec, s[38:39]
                                        ; implicit-def: $vgpr43
.LBB2_3535:                             ;   in Loop: Header=BB2_3295 Depth=4
	s_andn2_saveexec_b64 s[28:29], s[36:37]
; %bb.3536:                             ;   in Loop: Header=BB2_3295 Depth=4
	v_or_b32_e32 v5, 0x7e, v43
; %bb.3537:                             ;   in Loop: Header=BB2_3295 Depth=4
	s_or_b64 exec, exec, s[28:29]
                                        ; implicit-def: $vgpr40
.LBB2_3538:                             ;   in Loop: Header=BB2_3295 Depth=4
	s_andn2_saveexec_b64 s[28:29], s[34:35]
; %bb.3539:                             ;   in Loop: Header=BB2_3295 Depth=4
	v_or_b32_sdwa v5, v40, s85 dst_sel:DWORD dst_unused:UNUSED_PAD src0_sel:BYTE_3 src1_sel:DWORD
; %bb.3540:                             ;   in Loop: Header=BB2_3295 Depth=4
	s_or_b64 exec, exec, s[28:29]
	v_and_b32_e32 v28, 0xff, v30
	v_cmp_ne_u16_e32 vcc, 0, v28
	v_mov_b32_e32 v40, 0
	v_mov_b32_e32 v41, 0
	s_and_saveexec_b64 s[28:29], vcc
	s_cbranch_execz .LBB2_3546
; %bb.3541:                             ;   in Loop: Header=BB2_3295 Depth=4
	v_cmp_ne_u16_e32 vcc, s87, v28
	v_bfrev_b32_e32 v41, 1
	s_and_saveexec_b64 s[34:35], vcc
	s_cbranch_execz .LBB2_3545
; %bb.3542:                             ;   in Loop: Header=BB2_3295 Depth=4
	v_and_b32_e32 v42, 0x7f, v30
	v_cmp_ne_u32_e32 vcc, s85, v42
	v_mov_b32_e32 v41, 0x7f800001
	s_and_saveexec_b64 s[36:37], vcc
	s_cbranch_execz .LBB2_3544
; %bb.3543:                             ;   in Loop: Header=BB2_3295 Depth=4
	v_and_b32_e32 v43, 7, v28
	v_ffbh_u32_e32 v41, v43
	v_min_u32_e32 v45, 32, v41
	v_subrev_u32_e32 v41, 28, v45
	v_lshrrev_b32_e32 v44, 3, v42
	v_cmp_gt_u32_e32 vcc, 8, v42
	v_lshlrev_b64 v[41:42], v41, v[28:29]
	v_sub_u32_e32 v28, 29, v45
	v_and_b32_e32 v41, 7, v41
	v_cndmask_b32_e32 v28, v44, v28, vcc
	v_cndmask_b32_e32 v41, v43, v41, vcc
	v_lshlrev_b32_e32 v30, 24, v30
	v_lshlrev_b32_e32 v41, 20, v41
	v_and_b32_e32 v30, 0x80000000, v30
	v_lshl_add_u32 v28, v28, 23, v17
	v_or3_b32 v41, v30, v28, v41
.LBB2_3544:                             ;   in Loop: Header=BB2_3295 Depth=4
	s_or_b64 exec, exec, s[36:37]
.LBB2_3545:                             ;   in Loop: Header=BB2_3295 Depth=4
	s_or_b64 exec, exec, s[34:35]
.LBB2_3546:                             ;   in Loop: Header=BB2_3295 Depth=4
	s_or_b64 exec, exec, s[28:29]
	v_and_b32_e32 v28, 0xff, v53
	v_cmp_ne_u16_e32 vcc, 0, v28
	s_and_saveexec_b64 s[28:29], vcc
	s_cbranch_execz .LBB2_3552
; %bb.3547:                             ;   in Loop: Header=BB2_3295 Depth=4
	v_cmp_ne_u16_e32 vcc, s87, v28
	v_bfrev_b32_e32 v40, 1
	s_and_saveexec_b64 s[34:35], vcc
	s_cbranch_execz .LBB2_3551
; %bb.3548:                             ;   in Loop: Header=BB2_3295 Depth=4
	v_and_b32_e32 v30, 0x7f, v53
	v_cmp_ne_u32_e32 vcc, s85, v30
	v_mov_b32_e32 v40, 0x7f800001
	s_and_saveexec_b64 s[36:37], vcc
	s_cbranch_execz .LBB2_3550
; %bb.3549:                             ;   in Loop: Header=BB2_3295 Depth=4
	v_and_b32_e32 v40, 7, v28
	v_lshrrev_b32_e32 v44, 3, v30
	v_cmp_gt_u32_e32 vcc, 8, v30
	v_ffbh_u32_e32 v30, v40
	v_min_u32_e32 v30, 32, v30
	v_subrev_u32_e32 v42, 28, v30
	v_lshlrev_b64 v[42:43], v42, v[28:29]
	v_sub_u32_e32 v28, 29, v30
	v_and_b32_e32 v30, 7, v42
	v_cndmask_b32_e32 v28, v44, v28, vcc
	v_cndmask_b32_e32 v30, v40, v30, vcc
	v_lshlrev_b32_e32 v53, 24, v53
	v_lshlrev_b32_e32 v30, 20, v30
	v_and_b32_e32 v53, 0x80000000, v53
	v_lshl_add_u32 v28, v28, 23, v17
	v_or3_b32 v40, v53, v28, v30
.LBB2_3550:                             ;   in Loop: Header=BB2_3295 Depth=4
	s_or_b64 exec, exec, s[36:37]
.LBB2_3551:                             ;   in Loop: Header=BB2_3295 Depth=4
	s_or_b64 exec, exec, s[34:35]
.LBB2_3552:                             ;   in Loop: Header=BB2_3295 Depth=4
	s_or_b64 exec, exec, s[28:29]
	v_add_f32_e32 v40, v41, v40
	v_and_b32_e32 v28, 0x7f800000, v40
	v_cmp_ne_u64_e32 vcc, s[76:77], v[28:29]
                                        ; implicit-def: $vgpr30
	s_and_saveexec_b64 s[28:29], vcc
	s_xor_b64 s[34:35], exec, s[28:29]
	s_cbranch_execz .LBB2_3570
; %bb.3553:                             ;   in Loop: Header=BB2_3295 Depth=4
	v_and_b32_e32 v28, 0x7fffffff, v40
	v_cmp_gt_u64_e32 vcc, s[78:79], v[28:29]
	v_and_b32_sdwa v53, v40, s87 dst_sel:DWORD dst_unused:UNUSED_PAD src0_sel:BYTE_3 src1_sel:DWORD
                                        ; implicit-def: $vgpr30
	s_and_saveexec_b64 s[28:29], vcc
	s_xor_b64 s[36:37], exec, s[28:29]
	s_cbranch_execz .LBB2_3567
; %bb.3554:                             ;   in Loop: Header=BB2_3295 Depth=4
	v_cmp_ne_u32_e32 vcc, 0, v40
	v_mov_b32_e32 v30, 0
	s_and_saveexec_b64 s[38:39], vcc
	s_cbranch_execz .LBB2_3566
; %bb.3555:                             ;   in Loop: Header=BB2_3295 Depth=4
	v_bfe_u32 v30, v40, 23, 8
	v_and_b32_e32 v28, 0x7fffff, v40
	v_cmp_gt_u32_e64 s[28:29], s96, v30
	v_sub_u32_e32 v40, 0x79, v30
	v_cmp_eq_u32_e32 vcc, 0, v30
	v_cndmask_b32_e64 v40, 0, v40, s[28:29]
	v_cndmask_b32_e32 v43, v40, v36, vcc
	v_or_b32_e32 v41, 0x800000, v28
	v_add_u32_e32 v40, 20, v43
	v_cndmask_b32_e32 v28, v41, v28, vcc
	v_lshlrev_b64 v[40:41], v40, -1
	v_add_u32_e32 v42, 19, v43
	v_lshlrev_b64 v[44:45], v42, 1
	v_bfi_b32 v41, v41, 0, 0
	v_bfi_b32 v40, v40, 0, v28
	v_cmp_eq_u64_e64 s[28:29], v[40:41], v[44:45]
	v_lshrrev_b64 v[40:41], v43, v[28:29]
	v_mov_b32_e32 v42, v41
	v_mov_b32_e32 v41, v40
	s_and_saveexec_b64 s[48:49], s[28:29]
; %bb.3556:                             ;   in Loop: Header=BB2_3295 Depth=4
	v_bfe_u32 v28, v40, 20, 1
	v_add_co_u32_e64 v28, s[28:29], v40, v28
	v_add_co_u32_e64 v41, s[28:29], -1, v28
; %bb.3557:                             ;   in Loop: Header=BB2_3295 Depth=4
	s_or_b64 exec, exec, s[48:49]
	v_add_u32_e32 v28, 0xffffff81, v30
	v_cndmask_b32_e32 v28, v28, v37, vcc
	v_lshrrev_b32_e32 v30, 23, v40
	v_add3_u32 v43, v43, v28, v30
	v_add_u32_e32 v30, 6, v43
	v_and_b32_e32 v28, 0xfffff, v41
	v_add_u32_e32 v28, v28, v40
	v_cmp_ne_u32_e32 vcc, 0, v30
                                        ; implicit-def: $vgpr40_vgpr41
                                        ; implicit-def: $vgpr42
	s_and_saveexec_b64 s[28:29], vcc
	s_xor_b64 s[28:29], exec, s[28:29]
; %bb.3558:                             ;   in Loop: Header=BB2_3295 Depth=4
	v_cmp_lt_u64_e32 vcc, s[88:89], v[28:29]
	v_add_u32_e32 v40, 7, v43
	v_cndmask_b32_e32 v42, v30, v40, vcc
	v_cndmask_b32_e64 v30, 0, 1, vcc
	v_lshrrev_b64 v[40:41], v30, v[28:29]
; %bb.3559:                             ;   in Loop: Header=BB2_3295 Depth=4
	s_andn2_saveexec_b64 s[28:29], s[28:29]
; %bb.3560:                             ;   in Loop: Header=BB2_3295 Depth=4
	v_mov_b32_e32 v41, v29
	v_bfe_u32 v42, v28, 23, 1
	v_mov_b32_e32 v40, v28
; %bb.3561:                             ;   in Loop: Header=BB2_3295 Depth=4
	s_or_b64 exec, exec, s[28:29]
	v_lshrrev_b64 v[40:41], 20, v[40:41]
	v_cmp_gt_i32_e32 vcc, 16, v42
	v_cndmask_b32_e32 v41, 0, v41, vcc
	v_cndmask_b32_e32 v40, 7, v40, vcc
	v_cmp_ne_u64_e32 vcc, 0, v[40:41]
	v_cmp_ne_u32_e64 s[28:29], 0, v42
	s_or_b64 s[28:29], s[28:29], vcc
                                        ; implicit-def: $vgpr30
	s_and_saveexec_b64 vcc, s[28:29]
	s_xor_b64 s[28:29], exec, vcc
; %bb.3562:                             ;   in Loop: Header=BB2_3295 Depth=4
	v_min_i32_e32 v28, 15, v42
	v_lshl_or_b32 v28, v28, 3, v53
	v_and_or_b32 v30, v40, 7, v28
                                        ; implicit-def: $vgpr53
; %bb.3563:                             ;   in Loop: Header=BB2_3295 Depth=4
	s_andn2_saveexec_b64 s[28:29], s[28:29]
; %bb.3564:                             ;   in Loop: Header=BB2_3295 Depth=4
	v_mov_b32_e32 v30, v53
; %bb.3565:                             ;   in Loop: Header=BB2_3295 Depth=4
	s_or_b64 exec, exec, s[28:29]
.LBB2_3566:                             ;   in Loop: Header=BB2_3295 Depth=4
	s_or_b64 exec, exec, s[38:39]
                                        ; implicit-def: $vgpr53
.LBB2_3567:                             ;   in Loop: Header=BB2_3295 Depth=4
	s_andn2_saveexec_b64 s[28:29], s[36:37]
; %bb.3568:                             ;   in Loop: Header=BB2_3295 Depth=4
	v_or_b32_e32 v30, 0x7e, v53
; %bb.3569:                             ;   in Loop: Header=BB2_3295 Depth=4
	s_or_b64 exec, exec, s[28:29]
                                        ; implicit-def: $vgpr40
.LBB2_3570:                             ;   in Loop: Header=BB2_3295 Depth=4
	s_andn2_saveexec_b64 s[28:29], s[34:35]
; %bb.3571:                             ;   in Loop: Header=BB2_3295 Depth=4
	v_or_b32_sdwa v30, v40, s85 dst_sel:DWORD dst_unused:UNUSED_PAD src0_sel:BYTE_3 src1_sel:DWORD
; %bb.3572:                             ;   in Loop: Header=BB2_3295 Depth=4
	s_or_b64 exec, exec, s[28:29]
	v_and_b32_e32 v28, 0xff, v23
	v_cmp_ne_u16_e32 vcc, 0, v28
	v_mov_b32_e32 v53, 0
	v_mov_b32_e32 v40, 0
	s_and_saveexec_b64 s[28:29], vcc
	s_cbranch_execz .LBB2_3578
; %bb.3573:                             ;   in Loop: Header=BB2_3295 Depth=4
	v_cmp_ne_u16_e32 vcc, s87, v28
	v_bfrev_b32_e32 v40, 1
	s_and_saveexec_b64 s[34:35], vcc
	s_cbranch_execz .LBB2_3577
; %bb.3574:                             ;   in Loop: Header=BB2_3295 Depth=4
	v_and_b32_e32 v41, 0x7f, v23
	v_cmp_ne_u32_e32 vcc, s85, v41
	v_mov_b32_e32 v40, 0x7f800001
	s_and_saveexec_b64 s[36:37], vcc
	s_cbranch_execz .LBB2_3576
; %bb.3575:                             ;   in Loop: Header=BB2_3295 Depth=4
	v_and_b32_e32 v42, 7, v28
	v_ffbh_u32_e32 v40, v42
	v_min_u32_e32 v44, 32, v40
	v_subrev_u32_e32 v40, 28, v44
	v_lshrrev_b32_e32 v43, 3, v41
	v_cmp_gt_u32_e32 vcc, 8, v41
	v_lshlrev_b64 v[40:41], v40, v[28:29]
	v_sub_u32_e32 v28, 29, v44
	v_and_b32_e32 v40, 7, v40
	v_cndmask_b32_e32 v28, v43, v28, vcc
	v_cndmask_b32_e32 v40, v42, v40, vcc
	v_lshlrev_b32_e32 v23, 24, v23
	v_lshlrev_b32_e32 v40, 20, v40
	v_and_b32_e32 v23, 0x80000000, v23
	v_lshl_add_u32 v28, v28, 23, v17
	v_or3_b32 v40, v23, v28, v40
.LBB2_3576:                             ;   in Loop: Header=BB2_3295 Depth=4
	s_or_b64 exec, exec, s[36:37]
.LBB2_3577:                             ;   in Loop: Header=BB2_3295 Depth=4
	s_or_b64 exec, exec, s[34:35]
.LBB2_3578:                             ;   in Loop: Header=BB2_3295 Depth=4
	s_or_b64 exec, exec, s[28:29]
	v_and_b32_e32 v28, 0xff, v52
	v_cmp_ne_u16_e32 vcc, 0, v28
	s_and_saveexec_b64 s[28:29], vcc
	s_cbranch_execz .LBB2_3584
; %bb.3579:                             ;   in Loop: Header=BB2_3295 Depth=4
	v_cmp_ne_u16_e32 vcc, s87, v28
	v_bfrev_b32_e32 v53, 1
	s_and_saveexec_b64 s[34:35], vcc
	s_cbranch_execz .LBB2_3583
; %bb.3580:                             ;   in Loop: Header=BB2_3295 Depth=4
	v_and_b32_e32 v23, 0x7f, v52
	v_cmp_ne_u32_e32 vcc, s85, v23
	v_mov_b32_e32 v53, 0x7f800001
	s_and_saveexec_b64 s[36:37], vcc
	s_cbranch_execz .LBB2_3582
; %bb.3581:                             ;   in Loop: Header=BB2_3295 Depth=4
	v_and_b32_e32 v53, 7, v28
	v_lshrrev_b32_e32 v43, 3, v23
	v_cmp_gt_u32_e32 vcc, 8, v23
	v_ffbh_u32_e32 v23, v53
	v_min_u32_e32 v23, 32, v23
	v_subrev_u32_e32 v41, 28, v23
	v_lshlrev_b64 v[41:42], v41, v[28:29]
	v_sub_u32_e32 v23, 29, v23
	v_and_b32_e32 v28, 7, v41
	v_cndmask_b32_e32 v23, v43, v23, vcc
	v_cndmask_b32_e32 v28, v53, v28, vcc
	v_lshlrev_b32_e32 v52, 24, v52
	v_lshlrev_b32_e32 v28, 20, v28
	v_and_b32_e32 v52, 0x80000000, v52
	v_lshl_add_u32 v23, v23, 23, v17
	v_or3_b32 v53, v52, v23, v28
.LBB2_3582:                             ;   in Loop: Header=BB2_3295 Depth=4
	s_or_b64 exec, exec, s[36:37]
.LBB2_3583:                             ;   in Loop: Header=BB2_3295 Depth=4
	s_or_b64 exec, exec, s[34:35]
.LBB2_3584:                             ;   in Loop: Header=BB2_3295 Depth=4
	s_or_b64 exec, exec, s[28:29]
	v_add_f32_e32 v53, v40, v53
	v_and_b32_e32 v28, 0x7f800000, v53
	v_cmp_ne_u64_e32 vcc, s[76:77], v[28:29]
                                        ; implicit-def: $vgpr23
	s_and_saveexec_b64 s[28:29], vcc
	s_xor_b64 s[34:35], exec, s[28:29]
	s_cbranch_execz .LBB2_3602
; %bb.3585:                             ;   in Loop: Header=BB2_3295 Depth=4
	v_and_b32_e32 v28, 0x7fffffff, v53
	v_cmp_gt_u64_e32 vcc, s[78:79], v[28:29]
	v_and_b32_sdwa v52, v53, s87 dst_sel:DWORD dst_unused:UNUSED_PAD src0_sel:BYTE_3 src1_sel:DWORD
                                        ; implicit-def: $vgpr23
	s_and_saveexec_b64 s[28:29], vcc
	s_xor_b64 s[36:37], exec, s[28:29]
	s_cbranch_execz .LBB2_3599
; %bb.3586:                             ;   in Loop: Header=BB2_3295 Depth=4
	v_cmp_ne_u32_e32 vcc, 0, v53
	v_mov_b32_e32 v23, 0
	s_and_saveexec_b64 s[38:39], vcc
	s_cbranch_execz .LBB2_3598
; %bb.3587:                             ;   in Loop: Header=BB2_3295 Depth=4
	v_bfe_u32 v23, v53, 23, 8
	v_and_b32_e32 v28, 0x7fffff, v53
	v_cmp_gt_u32_e64 s[28:29], s96, v23
	v_sub_u32_e32 v53, 0x79, v23
	v_cmp_eq_u32_e32 vcc, 0, v23
	v_cndmask_b32_e64 v53, 0, v53, s[28:29]
	v_or_b32_e32 v40, 0x800000, v28
	v_cndmask_b32_e32 v53, v53, v36, vcc
	v_cndmask_b32_e32 v28, v40, v28, vcc
	v_add_u32_e32 v40, 20, v53
	v_lshlrev_b64 v[40:41], v40, -1
	v_add_u32_e32 v42, 19, v53
	v_lshlrev_b64 v[42:43], v42, 1
	v_bfi_b32 v41, v41, 0, 0
	v_bfi_b32 v40, v40, 0, v28
	v_cmp_eq_u64_e64 s[28:29], v[40:41], v[42:43]
	v_lshrrev_b64 v[40:41], v53, v[28:29]
	v_mov_b32_e32 v42, v41
	v_mov_b32_e32 v41, v40
	s_and_saveexec_b64 s[48:49], s[28:29]
; %bb.3588:                             ;   in Loop: Header=BB2_3295 Depth=4
	v_bfe_u32 v28, v40, 20, 1
	v_add_co_u32_e64 v28, s[28:29], v40, v28
	v_add_co_u32_e64 v41, s[28:29], -1, v28
; %bb.3589:                             ;   in Loop: Header=BB2_3295 Depth=4
	s_or_b64 exec, exec, s[48:49]
	v_add_u32_e32 v23, 0xffffff81, v23
	v_cndmask_b32_e32 v23, v23, v37, vcc
	v_lshrrev_b32_e32 v28, 23, v40
	v_add3_u32 v42, v53, v23, v28
	v_add_u32_e32 v23, 6, v42
	v_and_b32_e32 v28, 0xfffff, v41
	v_add_u32_e32 v28, v28, v40
	v_cmp_ne_u32_e32 vcc, 0, v23
                                        ; implicit-def: $vgpr40_vgpr41
                                        ; implicit-def: $vgpr53
	s_and_saveexec_b64 s[28:29], vcc
	s_xor_b64 s[28:29], exec, s[28:29]
; %bb.3590:                             ;   in Loop: Header=BB2_3295 Depth=4
	v_cmp_lt_u64_e32 vcc, s[88:89], v[28:29]
	v_add_u32_e32 v53, 7, v42
	v_cndmask_b32_e32 v53, v23, v53, vcc
	v_cndmask_b32_e64 v23, 0, 1, vcc
	v_lshrrev_b64 v[40:41], v23, v[28:29]
; %bb.3591:                             ;   in Loop: Header=BB2_3295 Depth=4
	s_andn2_saveexec_b64 s[28:29], s[28:29]
; %bb.3592:                             ;   in Loop: Header=BB2_3295 Depth=4
	v_mov_b32_e32 v41, v29
	v_bfe_u32 v53, v28, 23, 1
	v_mov_b32_e32 v40, v28
; %bb.3593:                             ;   in Loop: Header=BB2_3295 Depth=4
	s_or_b64 exec, exec, s[28:29]
	v_lshrrev_b64 v[40:41], 20, v[40:41]
	v_cmp_gt_i32_e32 vcc, 16, v53
	v_cndmask_b32_e32 v41, 0, v41, vcc
	v_cndmask_b32_e32 v40, 7, v40, vcc
	v_cmp_ne_u64_e32 vcc, 0, v[40:41]
	v_cmp_ne_u32_e64 s[28:29], 0, v53
	s_or_b64 s[28:29], s[28:29], vcc
                                        ; implicit-def: $vgpr23
	s_and_saveexec_b64 vcc, s[28:29]
	s_xor_b64 s[28:29], exec, vcc
; %bb.3594:                             ;   in Loop: Header=BB2_3295 Depth=4
	v_min_i32_e32 v23, 15, v53
	v_lshl_or_b32 v23, v23, 3, v52
	v_and_or_b32 v23, v40, 7, v23
                                        ; implicit-def: $vgpr52
; %bb.3595:                             ;   in Loop: Header=BB2_3295 Depth=4
	s_andn2_saveexec_b64 s[28:29], s[28:29]
; %bb.3596:                             ;   in Loop: Header=BB2_3295 Depth=4
	v_mov_b32_e32 v23, v52
; %bb.3597:                             ;   in Loop: Header=BB2_3295 Depth=4
	s_or_b64 exec, exec, s[28:29]
.LBB2_3598:                             ;   in Loop: Header=BB2_3295 Depth=4
	s_or_b64 exec, exec, s[38:39]
                                        ; implicit-def: $vgpr52
.LBB2_3599:                             ;   in Loop: Header=BB2_3295 Depth=4
	s_andn2_saveexec_b64 s[28:29], s[36:37]
; %bb.3600:                             ;   in Loop: Header=BB2_3295 Depth=4
	v_or_b32_e32 v23, 0x7e, v52
; %bb.3601:                             ;   in Loop: Header=BB2_3295 Depth=4
	s_or_b64 exec, exec, s[28:29]
                                        ; implicit-def: $vgpr53
.LBB2_3602:                             ;   in Loop: Header=BB2_3295 Depth=4
	s_andn2_saveexec_b64 s[28:29], s[34:35]
; %bb.3603:                             ;   in Loop: Header=BB2_3295 Depth=4
	v_or_b32_sdwa v23, v53, s85 dst_sel:DWORD dst_unused:UNUSED_PAD src0_sel:BYTE_3 src1_sel:DWORD
; %bb.3604:                             ;   in Loop: Header=BB2_3295 Depth=4
	s_or_b64 exec, exec, s[28:29]
	v_and_b32_e32 v28, 0xff, v22
	v_cmp_ne_u16_e32 vcc, 0, v28
	v_mov_b32_e32 v52, 0
	v_mov_b32_e32 v53, 0
	s_and_saveexec_b64 s[28:29], vcc
	s_cbranch_execz .LBB2_3610
; %bb.3605:                             ;   in Loop: Header=BB2_3295 Depth=4
	v_cmp_ne_u16_e32 vcc, s87, v28
	v_bfrev_b32_e32 v53, 1
	s_and_saveexec_b64 s[34:35], vcc
	s_cbranch_execz .LBB2_3609
; %bb.3606:                             ;   in Loop: Header=BB2_3295 Depth=4
	v_and_b32_e32 v40, 0x7f, v22
	v_cmp_ne_u32_e32 vcc, s85, v40
	v_mov_b32_e32 v53, 0x7f800001
	s_and_saveexec_b64 s[36:37], vcc
	s_cbranch_execz .LBB2_3608
; %bb.3607:                             ;   in Loop: Header=BB2_3295 Depth=4
	v_and_b32_e32 v53, 7, v28
	v_lshrrev_b32_e32 v42, 3, v40
	v_cmp_gt_u32_e32 vcc, 8, v40
	v_ffbh_u32_e32 v40, v53
	v_min_u32_e32 v43, 32, v40
	v_subrev_u32_e32 v40, 28, v43
	v_lshlrev_b64 v[40:41], v40, v[28:29]
	v_sub_u32_e32 v28, 29, v43
	v_and_b32_e32 v40, 7, v40
	v_cndmask_b32_e32 v28, v42, v28, vcc
	v_cndmask_b32_e32 v53, v53, v40, vcc
	v_lshlrev_b32_e32 v22, 24, v22
	v_lshlrev_b32_e32 v53, 20, v53
	v_and_b32_e32 v22, 0x80000000, v22
	v_lshl_add_u32 v28, v28, 23, v17
	v_or3_b32 v53, v22, v28, v53
.LBB2_3608:                             ;   in Loop: Header=BB2_3295 Depth=4
	s_or_b64 exec, exec, s[36:37]
.LBB2_3609:                             ;   in Loop: Header=BB2_3295 Depth=4
	s_or_b64 exec, exec, s[34:35]
.LBB2_3610:                             ;   in Loop: Header=BB2_3295 Depth=4
	s_or_b64 exec, exec, s[28:29]
	v_and_b32_e32 v28, 0xff, v35
	v_cmp_ne_u16_e32 vcc, 0, v28
	s_and_saveexec_b64 s[28:29], vcc
	s_cbranch_execz .LBB2_3616
; %bb.3611:                             ;   in Loop: Header=BB2_3295 Depth=4
	v_cmp_ne_u16_e32 vcc, s87, v28
	v_bfrev_b32_e32 v52, 1
	s_and_saveexec_b64 s[34:35], vcc
	s_cbranch_execz .LBB2_3615
; %bb.3612:                             ;   in Loop: Header=BB2_3295 Depth=4
	v_and_b32_e32 v22, 0x7f, v35
	v_cmp_ne_u32_e32 vcc, s85, v22
	v_mov_b32_e32 v52, 0x7f800001
	s_and_saveexec_b64 s[36:37], vcc
	s_cbranch_execz .LBB2_3614
; %bb.3613:                             ;   in Loop: Header=BB2_3295 Depth=4
	v_and_b32_e32 v52, 7, v28
	v_lshrrev_b32_e32 v42, 3, v22
	v_cmp_gt_u32_e32 vcc, 8, v22
	v_ffbh_u32_e32 v22, v52
	v_min_u32_e32 v22, 32, v22
	v_subrev_u32_e32 v40, 28, v22
	v_lshlrev_b64 v[40:41], v40, v[28:29]
	v_sub_u32_e32 v22, 29, v22
	v_and_b32_e32 v28, 7, v40
	v_cndmask_b32_e32 v22, v42, v22, vcc
	v_cndmask_b32_e32 v28, v52, v28, vcc
	v_lshlrev_b32_e32 v35, 24, v35
	v_lshlrev_b32_e32 v28, 20, v28
	v_and_b32_e32 v35, 0x80000000, v35
	v_lshl_add_u32 v22, v22, 23, v17
	v_or3_b32 v52, v35, v22, v28
.LBB2_3614:                             ;   in Loop: Header=BB2_3295 Depth=4
	s_or_b64 exec, exec, s[36:37]
.LBB2_3615:                             ;   in Loop: Header=BB2_3295 Depth=4
	s_or_b64 exec, exec, s[34:35]
.LBB2_3616:                             ;   in Loop: Header=BB2_3295 Depth=4
	s_or_b64 exec, exec, s[28:29]
	v_add_f32_e32 v52, v53, v52
	v_and_b32_e32 v28, 0x7f800000, v52
	v_cmp_ne_u64_e32 vcc, s[76:77], v[28:29]
                                        ; implicit-def: $vgpr22
	s_and_saveexec_b64 s[28:29], vcc
	s_xor_b64 s[34:35], exec, s[28:29]
	s_cbranch_execz .LBB2_3634
; %bb.3617:                             ;   in Loop: Header=BB2_3295 Depth=4
	v_and_b32_e32 v28, 0x7fffffff, v52
	v_cmp_gt_u64_e32 vcc, s[78:79], v[28:29]
	v_and_b32_sdwa v35, v52, s87 dst_sel:DWORD dst_unused:UNUSED_PAD src0_sel:BYTE_3 src1_sel:DWORD
                                        ; implicit-def: $vgpr22
	s_and_saveexec_b64 s[28:29], vcc
	s_xor_b64 s[36:37], exec, s[28:29]
	s_cbranch_execz .LBB2_3631
; %bb.3618:                             ;   in Loop: Header=BB2_3295 Depth=4
	v_cmp_ne_u32_e32 vcc, 0, v52
	v_mov_b32_e32 v22, 0
	s_and_saveexec_b64 s[38:39], vcc
	s_cbranch_execz .LBB2_3630
; %bb.3619:                             ;   in Loop: Header=BB2_3295 Depth=4
	v_bfe_u32 v22, v52, 23, 8
	v_and_b32_e32 v28, 0x7fffff, v52
	v_cmp_gt_u32_e64 s[28:29], s96, v22
	v_sub_u32_e32 v52, 0x79, v22
	v_cmp_eq_u32_e32 vcc, 0, v22
	v_cndmask_b32_e64 v52, 0, v52, s[28:29]
	v_or_b32_e32 v53, 0x800000, v28
	v_cndmask_b32_e32 v52, v52, v36, vcc
	v_cndmask_b32_e32 v28, v53, v28, vcc
	v_add_u32_e32 v53, 20, v52
	v_lshlrev_b64 v[40:41], v53, -1
	v_add_u32_e32 v53, 19, v52
	v_lshlrev_b64 v[42:43], v53, 1
	v_bfi_b32 v41, v41, 0, 0
	v_bfi_b32 v40, v40, 0, v28
	v_cmp_eq_u64_e64 s[28:29], v[40:41], v[42:43]
	v_lshrrev_b64 v[40:41], v52, v[28:29]
	v_mov_b32_e32 v42, v41
	v_mov_b32_e32 v41, v40
	s_and_saveexec_b64 s[48:49], s[28:29]
; %bb.3620:                             ;   in Loop: Header=BB2_3295 Depth=4
	v_bfe_u32 v28, v40, 20, 1
	v_add_co_u32_e64 v28, s[28:29], v40, v28
	v_add_co_u32_e64 v41, s[28:29], -1, v28
; %bb.3621:                             ;   in Loop: Header=BB2_3295 Depth=4
	s_or_b64 exec, exec, s[48:49]
	v_add_u32_e32 v22, 0xffffff81, v22
	v_cndmask_b32_e32 v22, v22, v37, vcc
	v_lshrrev_b32_e32 v28, 23, v40
	v_add3_u32 v53, v52, v22, v28
	v_add_u32_e32 v22, 6, v53
	v_and_b32_e32 v28, 0xfffff, v41
	v_add_u32_e32 v28, v28, v40
	v_cmp_ne_u32_e32 vcc, 0, v22
                                        ; implicit-def: $vgpr40_vgpr41
                                        ; implicit-def: $vgpr52
	s_and_saveexec_b64 s[28:29], vcc
	s_xor_b64 s[28:29], exec, s[28:29]
; %bb.3622:                             ;   in Loop: Header=BB2_3295 Depth=4
	v_cmp_lt_u64_e32 vcc, s[88:89], v[28:29]
	v_add_u32_e32 v52, 7, v53
	v_cndmask_b32_e32 v52, v22, v52, vcc
	v_cndmask_b32_e64 v22, 0, 1, vcc
	v_lshrrev_b64 v[40:41], v22, v[28:29]
; %bb.3623:                             ;   in Loop: Header=BB2_3295 Depth=4
	s_andn2_saveexec_b64 s[28:29], s[28:29]
; %bb.3624:                             ;   in Loop: Header=BB2_3295 Depth=4
	v_mov_b32_e32 v41, v29
	v_bfe_u32 v52, v28, 23, 1
	v_mov_b32_e32 v40, v28
; %bb.3625:                             ;   in Loop: Header=BB2_3295 Depth=4
	s_or_b64 exec, exec, s[28:29]
	v_lshrrev_b64 v[40:41], 20, v[40:41]
	v_cmp_gt_i32_e32 vcc, 16, v52
	v_cndmask_b32_e32 v41, 0, v41, vcc
	v_cndmask_b32_e32 v40, 7, v40, vcc
	v_cmp_ne_u64_e32 vcc, 0, v[40:41]
	v_cmp_ne_u32_e64 s[28:29], 0, v52
	s_or_b64 s[28:29], s[28:29], vcc
                                        ; implicit-def: $vgpr22
	s_and_saveexec_b64 vcc, s[28:29]
	s_xor_b64 s[28:29], exec, vcc
; %bb.3626:                             ;   in Loop: Header=BB2_3295 Depth=4
	v_min_i32_e32 v22, 15, v52
	v_lshl_or_b32 v22, v22, 3, v35
	v_and_or_b32 v22, v40, 7, v22
                                        ; implicit-def: $vgpr35
; %bb.3627:                             ;   in Loop: Header=BB2_3295 Depth=4
	s_andn2_saveexec_b64 s[28:29], s[28:29]
; %bb.3628:                             ;   in Loop: Header=BB2_3295 Depth=4
	v_mov_b32_e32 v22, v35
; %bb.3629:                             ;   in Loop: Header=BB2_3295 Depth=4
	s_or_b64 exec, exec, s[28:29]
.LBB2_3630:                             ;   in Loop: Header=BB2_3295 Depth=4
	s_or_b64 exec, exec, s[38:39]
                                        ; implicit-def: $vgpr35
.LBB2_3631:                             ;   in Loop: Header=BB2_3295 Depth=4
	s_andn2_saveexec_b64 s[28:29], s[36:37]
; %bb.3632:                             ;   in Loop: Header=BB2_3295 Depth=4
	v_or_b32_e32 v22, 0x7e, v35
; %bb.3633:                             ;   in Loop: Header=BB2_3295 Depth=4
	s_or_b64 exec, exec, s[28:29]
                                        ; implicit-def: $vgpr52
.LBB2_3634:                             ;   in Loop: Header=BB2_3295 Depth=4
	s_andn2_saveexec_b64 s[28:29], s[34:35]
; %bb.3635:                             ;   in Loop: Header=BB2_3295 Depth=4
	v_or_b32_sdwa v22, v52, s85 dst_sel:DWORD dst_unused:UNUSED_PAD src0_sel:BYTE_3 src1_sel:DWORD
; %bb.3636:                             ;   in Loop: Header=BB2_3295 Depth=4
	s_or_b64 exec, exec, s[28:29]
	v_and_b32_e32 v28, 0xff, v16
	v_cmp_ne_u16_e32 vcc, 0, v28
	v_mov_b32_e32 v35, 0
	v_mov_b32_e32 v52, 0
	s_and_saveexec_b64 s[28:29], vcc
	s_cbranch_execz .LBB2_3642
; %bb.3637:                             ;   in Loop: Header=BB2_3295 Depth=4
	v_cmp_ne_u16_e32 vcc, s87, v28
	v_bfrev_b32_e32 v52, 1
	s_and_saveexec_b64 s[34:35], vcc
	s_cbranch_execz .LBB2_3641
; %bb.3638:                             ;   in Loop: Header=BB2_3295 Depth=4
	v_and_b32_e32 v53, 0x7f, v16
	v_cmp_ne_u32_e32 vcc, s85, v53
	v_mov_b32_e32 v52, 0x7f800001
	s_and_saveexec_b64 s[36:37], vcc
	s_cbranch_execz .LBB2_3640
; %bb.3639:                             ;   in Loop: Header=BB2_3295 Depth=4
	v_and_b32_e32 v40, 7, v28
	v_ffbh_u32_e32 v52, v40
	v_min_u32_e32 v42, 32, v52
	v_subrev_u32_e32 v52, 28, v42
	v_lshrrev_b32_e32 v41, 3, v53
	v_cmp_gt_u32_e32 vcc, 8, v53
	v_lshlrev_b64 v[52:53], v52, v[28:29]
	v_sub_u32_e32 v28, 29, v42
	v_and_b32_e32 v52, 7, v52
	v_cndmask_b32_e32 v28, v41, v28, vcc
	v_cndmask_b32_e32 v52, v40, v52, vcc
	v_lshlrev_b32_e32 v16, 24, v16
	v_lshlrev_b32_e32 v52, 20, v52
	v_and_b32_e32 v16, 0x80000000, v16
	v_lshl_add_u32 v28, v28, 23, v17
	v_or3_b32 v52, v16, v28, v52
.LBB2_3640:                             ;   in Loop: Header=BB2_3295 Depth=4
	s_or_b64 exec, exec, s[36:37]
.LBB2_3641:                             ;   in Loop: Header=BB2_3295 Depth=4
	s_or_b64 exec, exec, s[34:35]
.LBB2_3642:                             ;   in Loop: Header=BB2_3295 Depth=4
	s_or_b64 exec, exec, s[28:29]
	v_and_b32_e32 v28, 0xff, v34
	v_cmp_ne_u16_e32 vcc, 0, v28
	s_and_saveexec_b64 s[28:29], vcc
	s_cbranch_execz .LBB2_3648
; %bb.3643:                             ;   in Loop: Header=BB2_3295 Depth=4
	v_cmp_ne_u16_e32 vcc, s87, v28
	v_bfrev_b32_e32 v35, 1
	s_and_saveexec_b64 s[34:35], vcc
	s_cbranch_execz .LBB2_3647
; %bb.3644:                             ;   in Loop: Header=BB2_3295 Depth=4
	v_and_b32_e32 v16, 0x7f, v34
	v_cmp_ne_u32_e32 vcc, s85, v16
	v_mov_b32_e32 v35, 0x7f800001
	s_and_saveexec_b64 s[36:37], vcc
	s_cbranch_execz .LBB2_3646
; %bb.3645:                             ;   in Loop: Header=BB2_3295 Depth=4
	v_and_b32_e32 v35, 7, v28
	v_lshrrev_b32_e32 v53, 3, v16
	v_cmp_gt_u32_e32 vcc, 8, v16
	v_ffbh_u32_e32 v16, v35
	v_min_u32_e32 v16, 32, v16
	v_subrev_u32_e32 v40, 28, v16
	v_lshlrev_b64 v[40:41], v40, v[28:29]
	v_sub_u32_e32 v16, 29, v16
	v_and_b32_e32 v28, 7, v40
	v_cndmask_b32_e32 v16, v53, v16, vcc
	v_cndmask_b32_e32 v28, v35, v28, vcc
	v_lshlrev_b32_e32 v34, 24, v34
	v_lshlrev_b32_e32 v28, 20, v28
	v_and_b32_e32 v34, 0x80000000, v34
	v_lshl_add_u32 v16, v16, 23, v17
	v_or3_b32 v35, v34, v16, v28
.LBB2_3646:                             ;   in Loop: Header=BB2_3295 Depth=4
	s_or_b64 exec, exec, s[36:37]
.LBB2_3647:                             ;   in Loop: Header=BB2_3295 Depth=4
	s_or_b64 exec, exec, s[34:35]
.LBB2_3648:                             ;   in Loop: Header=BB2_3295 Depth=4
	s_or_b64 exec, exec, s[28:29]
	v_add_f32_e32 v35, v52, v35
	v_and_b32_e32 v28, 0x7f800000, v35
	v_cmp_ne_u64_e32 vcc, s[76:77], v[28:29]
                                        ; implicit-def: $vgpr16
	s_and_saveexec_b64 s[28:29], vcc
	s_xor_b64 s[34:35], exec, s[28:29]
	s_cbranch_execz .LBB2_3666
; %bb.3649:                             ;   in Loop: Header=BB2_3295 Depth=4
	v_and_b32_e32 v28, 0x7fffffff, v35
	v_cmp_gt_u64_e32 vcc, s[78:79], v[28:29]
	v_and_b32_sdwa v34, v35, s87 dst_sel:DWORD dst_unused:UNUSED_PAD src0_sel:BYTE_3 src1_sel:DWORD
                                        ; implicit-def: $vgpr16
	s_and_saveexec_b64 s[28:29], vcc
	s_xor_b64 s[36:37], exec, s[28:29]
	s_cbranch_execz .LBB2_3663
; %bb.3650:                             ;   in Loop: Header=BB2_3295 Depth=4
	v_cmp_ne_u32_e32 vcc, 0, v35
	v_mov_b32_e32 v16, 0
	s_and_saveexec_b64 s[38:39], vcc
	s_cbranch_execz .LBB2_3662
; %bb.3651:                             ;   in Loop: Header=BB2_3295 Depth=4
	v_bfe_u32 v16, v35, 23, 8
	v_and_b32_e32 v28, 0x7fffff, v35
	v_cmp_gt_u32_e64 s[28:29], s96, v16
	v_sub_u32_e32 v35, 0x79, v16
	v_cmp_eq_u32_e32 vcc, 0, v16
	v_cndmask_b32_e64 v35, 0, v35, s[28:29]
	v_or_b32_e32 v52, 0x800000, v28
	v_cndmask_b32_e32 v35, v35, v36, vcc
	v_cndmask_b32_e32 v28, v52, v28, vcc
	v_add_u32_e32 v52, 20, v35
	v_lshlrev_b64 v[52:53], v52, -1
	v_add_u32_e32 v40, 19, v35
	v_lshlrev_b64 v[40:41], v40, 1
	v_bfi_b32 v53, v53, 0, 0
	v_bfi_b32 v52, v52, 0, v28
	v_cmp_eq_u64_e64 s[28:29], v[52:53], v[40:41]
	v_lshrrev_b64 v[40:41], v35, v[28:29]
	v_mov_b32_e32 v42, v41
	v_mov_b32_e32 v41, v40
	s_and_saveexec_b64 s[48:49], s[28:29]
; %bb.3652:                             ;   in Loop: Header=BB2_3295 Depth=4
	v_bfe_u32 v28, v40, 20, 1
	v_add_co_u32_e64 v28, s[28:29], v40, v28
	v_add_co_u32_e64 v41, s[28:29], -1, v28
; %bb.3653:                             ;   in Loop: Header=BB2_3295 Depth=4
	s_or_b64 exec, exec, s[48:49]
	v_add_u32_e32 v16, 0xffffff81, v16
	v_cndmask_b32_e32 v16, v16, v37, vcc
	v_lshrrev_b32_e32 v28, 23, v40
	v_add3_u32 v52, v35, v16, v28
	v_add_u32_e32 v16, 6, v52
	v_and_b32_e32 v28, 0xfffff, v41
	v_add_u32_e32 v28, v28, v40
	v_cmp_ne_u32_e32 vcc, 0, v16
                                        ; implicit-def: $vgpr40_vgpr41
                                        ; implicit-def: $vgpr35
	s_and_saveexec_b64 s[28:29], vcc
	s_xor_b64 s[28:29], exec, s[28:29]
; %bb.3654:                             ;   in Loop: Header=BB2_3295 Depth=4
	v_cmp_lt_u64_e32 vcc, s[88:89], v[28:29]
	v_add_u32_e32 v35, 7, v52
	v_cndmask_b32_e32 v35, v16, v35, vcc
	v_cndmask_b32_e64 v16, 0, 1, vcc
	v_lshrrev_b64 v[40:41], v16, v[28:29]
; %bb.3655:                             ;   in Loop: Header=BB2_3295 Depth=4
	s_andn2_saveexec_b64 s[28:29], s[28:29]
; %bb.3656:                             ;   in Loop: Header=BB2_3295 Depth=4
	v_mov_b32_e32 v41, v29
	v_bfe_u32 v35, v28, 23, 1
	v_mov_b32_e32 v40, v28
; %bb.3657:                             ;   in Loop: Header=BB2_3295 Depth=4
	s_or_b64 exec, exec, s[28:29]
	v_lshrrev_b64 v[52:53], 20, v[40:41]
	v_cmp_gt_i32_e32 vcc, 16, v35
	v_cndmask_b32_e32 v41, 0, v53, vcc
	v_cndmask_b32_e32 v40, 7, v52, vcc
	v_cmp_ne_u64_e32 vcc, 0, v[40:41]
	v_cmp_ne_u32_e64 s[28:29], 0, v35
	s_or_b64 s[28:29], s[28:29], vcc
                                        ; implicit-def: $vgpr16
	s_and_saveexec_b64 vcc, s[28:29]
	s_xor_b64 s[28:29], exec, vcc
; %bb.3658:                             ;   in Loop: Header=BB2_3295 Depth=4
	v_min_i32_e32 v16, 15, v35
	v_lshl_or_b32 v16, v16, 3, v34
	v_and_or_b32 v16, v40, 7, v16
                                        ; implicit-def: $vgpr34
; %bb.3659:                             ;   in Loop: Header=BB2_3295 Depth=4
	s_andn2_saveexec_b64 s[28:29], s[28:29]
; %bb.3660:                             ;   in Loop: Header=BB2_3295 Depth=4
	v_mov_b32_e32 v16, v34
; %bb.3661:                             ;   in Loop: Header=BB2_3295 Depth=4
	s_or_b64 exec, exec, s[28:29]
.LBB2_3662:                             ;   in Loop: Header=BB2_3295 Depth=4
	s_or_b64 exec, exec, s[38:39]
                                        ; implicit-def: $vgpr34
.LBB2_3663:                             ;   in Loop: Header=BB2_3295 Depth=4
	s_andn2_saveexec_b64 s[28:29], s[36:37]
; %bb.3664:                             ;   in Loop: Header=BB2_3295 Depth=4
	v_or_b32_e32 v16, 0x7e, v34
; %bb.3665:                             ;   in Loop: Header=BB2_3295 Depth=4
	s_or_b64 exec, exec, s[28:29]
                                        ; implicit-def: $vgpr35
.LBB2_3666:                             ;   in Loop: Header=BB2_3295 Depth=4
	s_andn2_saveexec_b64 s[28:29], s[34:35]
; %bb.3667:                             ;   in Loop: Header=BB2_3295 Depth=4
	v_or_b32_sdwa v16, v35, s85 dst_sel:DWORD dst_unused:UNUSED_PAD src0_sel:BYTE_3 src1_sel:DWORD
; %bb.3668:                             ;   in Loop: Header=BB2_3295 Depth=4
	s_or_b64 exec, exec, s[28:29]
	v_and_b32_e32 v28, 0xff, v7
	v_cmp_ne_u16_e32 vcc, 0, v28
	v_mov_b32_e32 v34, 0
	v_mov_b32_e32 v35, 0
	s_and_saveexec_b64 s[28:29], vcc
	s_cbranch_execz .LBB2_3674
; %bb.3669:                             ;   in Loop: Header=BB2_3295 Depth=4
	v_cmp_ne_u16_e32 vcc, s87, v28
	v_bfrev_b32_e32 v35, 1
	s_and_saveexec_b64 s[34:35], vcc
	s_cbranch_execz .LBB2_3673
; %bb.3670:                             ;   in Loop: Header=BB2_3295 Depth=4
	v_and_b32_e32 v52, 0x7f, v7
	v_cmp_ne_u32_e32 vcc, s85, v52
	v_mov_b32_e32 v35, 0x7f800001
	s_and_saveexec_b64 s[36:37], vcc
	s_cbranch_execz .LBB2_3672
; %bb.3671:                             ;   in Loop: Header=BB2_3295 Depth=4
	v_and_b32_e32 v35, 7, v28
	v_lshrrev_b32_e32 v40, 3, v52
	v_cmp_gt_u32_e32 vcc, 8, v52
	v_ffbh_u32_e32 v52, v35
	v_min_u32_e32 v41, 32, v52
	v_subrev_u32_e32 v52, 28, v41
	v_lshlrev_b64 v[52:53], v52, v[28:29]
	v_sub_u32_e32 v28, 29, v41
	v_and_b32_e32 v52, 7, v52
	v_cndmask_b32_e32 v28, v40, v28, vcc
	v_cndmask_b32_e32 v35, v35, v52, vcc
	v_lshlrev_b32_e32 v7, 24, v7
	v_lshlrev_b32_e32 v35, 20, v35
	v_and_b32_e32 v7, 0x80000000, v7
	v_lshl_add_u32 v28, v28, 23, v17
	v_or3_b32 v35, v7, v28, v35
.LBB2_3672:                             ;   in Loop: Header=BB2_3295 Depth=4
	s_or_b64 exec, exec, s[36:37]
.LBB2_3673:                             ;   in Loop: Header=BB2_3295 Depth=4
	s_or_b64 exec, exec, s[34:35]
.LBB2_3674:                             ;   in Loop: Header=BB2_3295 Depth=4
	s_or_b64 exec, exec, s[28:29]
	v_and_b32_e32 v28, 0xff, v33
	v_cmp_ne_u16_e32 vcc, 0, v28
	s_and_saveexec_b64 s[28:29], vcc
	s_cbranch_execz .LBB2_3680
; %bb.3675:                             ;   in Loop: Header=BB2_3295 Depth=4
	v_cmp_ne_u16_e32 vcc, s87, v28
	v_bfrev_b32_e32 v34, 1
	s_and_saveexec_b64 s[34:35], vcc
	s_cbranch_execz .LBB2_3679
; %bb.3676:                             ;   in Loop: Header=BB2_3295 Depth=4
	v_and_b32_e32 v7, 0x7f, v33
	v_cmp_ne_u32_e32 vcc, s85, v7
	v_mov_b32_e32 v34, 0x7f800001
	s_and_saveexec_b64 s[36:37], vcc
	s_cbranch_execz .LBB2_3678
; %bb.3677:                             ;   in Loop: Header=BB2_3295 Depth=4
	v_and_b32_e32 v34, 7, v28
	v_lshrrev_b32_e32 v40, 3, v7
	v_cmp_gt_u32_e32 vcc, 8, v7
	v_ffbh_u32_e32 v7, v34
	v_min_u32_e32 v7, 32, v7
	v_subrev_u32_e32 v52, 28, v7
	v_lshlrev_b64 v[52:53], v52, v[28:29]
	v_sub_u32_e32 v7, 29, v7
	v_and_b32_e32 v28, 7, v52
	v_cndmask_b32_e32 v7, v40, v7, vcc
	v_cndmask_b32_e32 v28, v34, v28, vcc
	v_lshlrev_b32_e32 v33, 24, v33
	v_lshlrev_b32_e32 v28, 20, v28
	v_and_b32_e32 v33, 0x80000000, v33
	v_lshl_add_u32 v7, v7, 23, v17
	v_or3_b32 v34, v33, v7, v28
.LBB2_3678:                             ;   in Loop: Header=BB2_3295 Depth=4
	s_or_b64 exec, exec, s[36:37]
.LBB2_3679:                             ;   in Loop: Header=BB2_3295 Depth=4
	s_or_b64 exec, exec, s[34:35]
.LBB2_3680:                             ;   in Loop: Header=BB2_3295 Depth=4
	s_or_b64 exec, exec, s[28:29]
	v_add_f32_e32 v34, v35, v34
	v_and_b32_e32 v28, 0x7f800000, v34
	v_cmp_ne_u64_e32 vcc, s[76:77], v[28:29]
                                        ; implicit-def: $vgpr7
	s_and_saveexec_b64 s[28:29], vcc
	s_xor_b64 s[34:35], exec, s[28:29]
	s_cbranch_execz .LBB2_3698
; %bb.3681:                             ;   in Loop: Header=BB2_3295 Depth=4
	v_and_b32_e32 v28, 0x7fffffff, v34
	v_cmp_gt_u64_e32 vcc, s[78:79], v[28:29]
	v_and_b32_sdwa v33, v34, s87 dst_sel:DWORD dst_unused:UNUSED_PAD src0_sel:BYTE_3 src1_sel:DWORD
                                        ; implicit-def: $vgpr7
	s_and_saveexec_b64 s[28:29], vcc
	s_xor_b64 s[36:37], exec, s[28:29]
	s_cbranch_execz .LBB2_3695
; %bb.3682:                             ;   in Loop: Header=BB2_3295 Depth=4
	v_cmp_ne_u32_e32 vcc, 0, v34
	v_mov_b32_e32 v7, 0
	s_and_saveexec_b64 s[38:39], vcc
	s_cbranch_execz .LBB2_3694
; %bb.3683:                             ;   in Loop: Header=BB2_3295 Depth=4
	v_bfe_u32 v7, v34, 23, 8
	v_and_b32_e32 v28, 0x7fffff, v34
	v_cmp_gt_u32_e64 s[28:29], s96, v7
	v_sub_u32_e32 v34, 0x79, v7
	v_cmp_eq_u32_e32 vcc, 0, v7
	v_cndmask_b32_e64 v34, 0, v34, s[28:29]
	v_or_b32_e32 v35, 0x800000, v28
	v_cndmask_b32_e32 v34, v34, v36, vcc
	v_cndmask_b32_e32 v28, v35, v28, vcc
	v_add_u32_e32 v35, 20, v34
	v_lshlrev_b64 v[52:53], v35, -1
	v_add_u32_e32 v35, 19, v34
	v_lshlrev_b64 v[40:41], v35, 1
	v_bfi_b32 v53, v53, 0, 0
	v_bfi_b32 v52, v52, 0, v28
	v_cmp_eq_u64_e64 s[28:29], v[52:53], v[40:41]
	v_lshrrev_b64 v[40:41], v34, v[28:29]
	v_mov_b32_e32 v42, v41
	v_mov_b32_e32 v41, v40
	s_and_saveexec_b64 s[48:49], s[28:29]
; %bb.3684:                             ;   in Loop: Header=BB2_3295 Depth=4
	v_bfe_u32 v28, v40, 20, 1
	v_add_co_u32_e64 v28, s[28:29], v40, v28
	v_add_co_u32_e64 v41, s[28:29], -1, v28
; %bb.3685:                             ;   in Loop: Header=BB2_3295 Depth=4
	s_or_b64 exec, exec, s[48:49]
	v_add_u32_e32 v7, 0xffffff81, v7
	v_cndmask_b32_e32 v7, v7, v37, vcc
	v_lshrrev_b32_e32 v28, 23, v40
	v_add3_u32 v35, v34, v7, v28
	v_add_u32_e32 v7, 6, v35
	v_and_b32_e32 v28, 0xfffff, v41
	v_add_u32_e32 v28, v28, v40
	v_cmp_ne_u32_e32 vcc, 0, v7
                                        ; implicit-def: $vgpr40_vgpr41
                                        ; implicit-def: $vgpr34
	s_and_saveexec_b64 s[28:29], vcc
	s_xor_b64 s[28:29], exec, s[28:29]
; %bb.3686:                             ;   in Loop: Header=BB2_3295 Depth=4
	v_cmp_lt_u64_e32 vcc, s[88:89], v[28:29]
	v_add_u32_e32 v34, 7, v35
	v_cndmask_b32_e32 v34, v7, v34, vcc
	v_cndmask_b32_e64 v7, 0, 1, vcc
	v_lshrrev_b64 v[40:41], v7, v[28:29]
; %bb.3687:                             ;   in Loop: Header=BB2_3295 Depth=4
	s_andn2_saveexec_b64 s[28:29], s[28:29]
; %bb.3688:                             ;   in Loop: Header=BB2_3295 Depth=4
	v_mov_b32_e32 v41, v29
	v_bfe_u32 v34, v28, 23, 1
	v_mov_b32_e32 v40, v28
; %bb.3689:                             ;   in Loop: Header=BB2_3295 Depth=4
	s_or_b64 exec, exec, s[28:29]
	v_lshrrev_b64 v[52:53], 20, v[40:41]
	v_cmp_gt_i32_e32 vcc, 16, v34
	v_cndmask_b32_e32 v41, 0, v53, vcc
	v_cndmask_b32_e32 v40, 7, v52, vcc
	v_cmp_ne_u64_e32 vcc, 0, v[40:41]
	v_cmp_ne_u32_e64 s[28:29], 0, v34
	s_or_b64 s[28:29], s[28:29], vcc
                                        ; implicit-def: $vgpr7
	s_and_saveexec_b64 vcc, s[28:29]
	s_xor_b64 s[28:29], exec, vcc
; %bb.3690:                             ;   in Loop: Header=BB2_3295 Depth=4
	v_min_i32_e32 v7, 15, v34
	v_lshl_or_b32 v7, v7, 3, v33
	v_and_or_b32 v7, v40, 7, v7
                                        ; implicit-def: $vgpr33
; %bb.3691:                             ;   in Loop: Header=BB2_3295 Depth=4
	s_andn2_saveexec_b64 s[28:29], s[28:29]
; %bb.3692:                             ;   in Loop: Header=BB2_3295 Depth=4
	v_mov_b32_e32 v7, v33
; %bb.3693:                             ;   in Loop: Header=BB2_3295 Depth=4
	s_or_b64 exec, exec, s[28:29]
.LBB2_3694:                             ;   in Loop: Header=BB2_3295 Depth=4
	s_or_b64 exec, exec, s[38:39]
                                        ; implicit-def: $vgpr33
.LBB2_3695:                             ;   in Loop: Header=BB2_3295 Depth=4
	s_andn2_saveexec_b64 s[28:29], s[36:37]
; %bb.3696:                             ;   in Loop: Header=BB2_3295 Depth=4
	v_or_b32_e32 v7, 0x7e, v33
; %bb.3697:                             ;   in Loop: Header=BB2_3295 Depth=4
	s_or_b64 exec, exec, s[28:29]
                                        ; implicit-def: $vgpr34
.LBB2_3698:                             ;   in Loop: Header=BB2_3295 Depth=4
	s_andn2_saveexec_b64 s[28:29], s[34:35]
; %bb.3699:                             ;   in Loop: Header=BB2_3295 Depth=4
	v_or_b32_sdwa v7, v34, s85 dst_sel:DWORD dst_unused:UNUSED_PAD src0_sel:BYTE_3 src1_sel:DWORD
; %bb.3700:                             ;   in Loop: Header=BB2_3295 Depth=4
	s_or_b64 exec, exec, s[28:29]
	v_and_b32_e32 v28, 0xff, v6
	v_cmp_ne_u16_e32 vcc, 0, v28
	v_mov_b32_e32 v33, 0
	v_mov_b32_e32 v34, 0
	s_and_saveexec_b64 s[28:29], vcc
	s_cbranch_execz .LBB2_3706
; %bb.3701:                             ;   in Loop: Header=BB2_3295 Depth=4
	v_cmp_ne_u16_e32 vcc, s87, v28
	v_bfrev_b32_e32 v34, 1
	s_and_saveexec_b64 s[34:35], vcc
	s_cbranch_execz .LBB2_3705
; %bb.3702:                             ;   in Loop: Header=BB2_3295 Depth=4
	v_and_b32_e32 v35, 0x7f, v6
	v_cmp_ne_u32_e32 vcc, s85, v35
	v_mov_b32_e32 v34, 0x7f800001
	s_and_saveexec_b64 s[36:37], vcc
	s_cbranch_execz .LBB2_3704
; %bb.3703:                             ;   in Loop: Header=BB2_3295 Depth=4
	v_and_b32_e32 v52, 7, v28
	v_ffbh_u32_e32 v34, v52
	v_min_u32_e32 v40, 32, v34
	v_subrev_u32_e32 v34, 28, v40
	v_lshrrev_b32_e32 v53, 3, v35
	v_cmp_gt_u32_e32 vcc, 8, v35
	v_lshlrev_b64 v[34:35], v34, v[28:29]
	v_sub_u32_e32 v28, 29, v40
	v_and_b32_e32 v34, 7, v34
	v_cndmask_b32_e32 v28, v53, v28, vcc
	v_cndmask_b32_e32 v34, v52, v34, vcc
	v_lshlrev_b32_e32 v6, 24, v6
	v_lshlrev_b32_e32 v34, 20, v34
	v_and_b32_e32 v6, 0x80000000, v6
	v_lshl_add_u32 v28, v28, 23, v17
	v_or3_b32 v34, v6, v28, v34
.LBB2_3704:                             ;   in Loop: Header=BB2_3295 Depth=4
	s_or_b64 exec, exec, s[36:37]
.LBB2_3705:                             ;   in Loop: Header=BB2_3295 Depth=4
	s_or_b64 exec, exec, s[34:35]
.LBB2_3706:                             ;   in Loop: Header=BB2_3295 Depth=4
	s_or_b64 exec, exec, s[28:29]
	v_and_b32_e32 v28, 0xff, v31
	v_cmp_ne_u16_e32 vcc, 0, v28
	s_and_saveexec_b64 s[28:29], vcc
	s_cbranch_execz .LBB2_3712
; %bb.3707:                             ;   in Loop: Header=BB2_3295 Depth=4
	v_cmp_ne_u16_e32 vcc, s87, v28
	v_bfrev_b32_e32 v33, 1
	s_and_saveexec_b64 s[34:35], vcc
	s_cbranch_execz .LBB2_3711
; %bb.3708:                             ;   in Loop: Header=BB2_3295 Depth=4
	v_and_b32_e32 v6, 0x7f, v31
	v_cmp_ne_u32_e32 vcc, s85, v6
	v_mov_b32_e32 v33, 0x7f800001
	s_and_saveexec_b64 s[36:37], vcc
	s_cbranch_execz .LBB2_3710
; %bb.3709:                             ;   in Loop: Header=BB2_3295 Depth=4
	v_and_b32_e32 v33, 7, v28
	v_lshrrev_b32_e32 v35, 3, v6
	v_cmp_gt_u32_e32 vcc, 8, v6
	v_ffbh_u32_e32 v6, v33
	v_min_u32_e32 v6, 32, v6
	v_subrev_u32_e32 v52, 28, v6
	v_lshlrev_b64 v[52:53], v52, v[28:29]
	v_sub_u32_e32 v6, 29, v6
	v_and_b32_e32 v28, 7, v52
	v_cndmask_b32_e32 v6, v35, v6, vcc
	v_cndmask_b32_e32 v28, v33, v28, vcc
	v_lshlrev_b32_e32 v31, 24, v31
	v_lshlrev_b32_e32 v28, 20, v28
	v_and_b32_e32 v31, 0x80000000, v31
	v_lshl_add_u32 v6, v6, 23, v17
	v_or3_b32 v33, v31, v6, v28
.LBB2_3710:                             ;   in Loop: Header=BB2_3295 Depth=4
	s_or_b64 exec, exec, s[36:37]
.LBB2_3711:                             ;   in Loop: Header=BB2_3295 Depth=4
	s_or_b64 exec, exec, s[34:35]
.LBB2_3712:                             ;   in Loop: Header=BB2_3295 Depth=4
	s_or_b64 exec, exec, s[28:29]
	v_add_f32_e32 v33, v34, v33
	v_and_b32_e32 v28, 0x7f800000, v33
	v_cmp_ne_u64_e32 vcc, s[76:77], v[28:29]
                                        ; implicit-def: $vgpr6
	s_and_saveexec_b64 s[28:29], vcc
	s_xor_b64 s[34:35], exec, s[28:29]
	s_cbranch_execz .LBB2_3730
; %bb.3713:                             ;   in Loop: Header=BB2_3295 Depth=4
	v_and_b32_e32 v28, 0x7fffffff, v33
	v_cmp_gt_u64_e32 vcc, s[78:79], v[28:29]
	v_and_b32_sdwa v31, v33, s87 dst_sel:DWORD dst_unused:UNUSED_PAD src0_sel:BYTE_3 src1_sel:DWORD
                                        ; implicit-def: $vgpr6
	s_and_saveexec_b64 s[28:29], vcc
	s_xor_b64 s[36:37], exec, s[28:29]
	s_cbranch_execz .LBB2_3727
; %bb.3714:                             ;   in Loop: Header=BB2_3295 Depth=4
	v_cmp_ne_u32_e32 vcc, 0, v33
	v_mov_b32_e32 v6, 0
	s_and_saveexec_b64 s[38:39], vcc
	s_cbranch_execz .LBB2_3726
; %bb.3715:                             ;   in Loop: Header=BB2_3295 Depth=4
	v_bfe_u32 v6, v33, 23, 8
	v_and_b32_e32 v28, 0x7fffff, v33
	v_cmp_gt_u32_e64 s[28:29], s96, v6
	v_sub_u32_e32 v33, 0x79, v6
	v_cmp_eq_u32_e32 vcc, 0, v6
	v_cndmask_b32_e64 v33, 0, v33, s[28:29]
	v_or_b32_e32 v34, 0x800000, v28
	v_cndmask_b32_e32 v33, v33, v36, vcc
	v_cndmask_b32_e32 v28, v34, v28, vcc
	v_add_u32_e32 v34, 20, v33
	v_lshlrev_b64 v[34:35], v34, -1
	v_add_u32_e32 v52, 19, v33
	v_lshlrev_b64 v[52:53], v52, 1
	v_lshrrev_b64 v[40:41], v33, v[28:29]
	v_bfi_b32 v35, v35, 0, 0
	v_bfi_b32 v34, v34, 0, v28
	v_cmp_eq_u64_e64 s[28:29], v[34:35], v[52:53]
	v_mov_b32_e32 v42, v41
	v_mov_b32_e32 v41, v40
	s_and_saveexec_b64 s[48:49], s[28:29]
; %bb.3716:                             ;   in Loop: Header=BB2_3295 Depth=4
	v_bfe_u32 v28, v40, 20, 1
	v_add_co_u32_e64 v28, s[28:29], v40, v28
	v_add_co_u32_e64 v41, s[28:29], -1, v28
; %bb.3717:                             ;   in Loop: Header=BB2_3295 Depth=4
	s_or_b64 exec, exec, s[48:49]
	v_add_u32_e32 v6, 0xffffff81, v6
	v_cndmask_b32_e32 v6, v6, v37, vcc
	v_lshrrev_b32_e32 v28, 23, v40
	v_add3_u32 v34, v33, v6, v28
	v_add_u32_e32 v6, 6, v34
	v_and_b32_e32 v28, 0xfffff, v41
	v_add_u32_e32 v28, v28, v40
	v_cmp_ne_u32_e32 vcc, 0, v6
                                        ; implicit-def: $vgpr40_vgpr41
                                        ; implicit-def: $vgpr33
	s_and_saveexec_b64 s[28:29], vcc
	s_xor_b64 s[28:29], exec, s[28:29]
; %bb.3718:                             ;   in Loop: Header=BB2_3295 Depth=4
	v_cmp_lt_u64_e32 vcc, s[88:89], v[28:29]
	v_add_u32_e32 v33, 7, v34
	v_cndmask_b32_e32 v33, v6, v33, vcc
	v_cndmask_b32_e64 v6, 0, 1, vcc
	v_lshrrev_b64 v[40:41], v6, v[28:29]
; %bb.3719:                             ;   in Loop: Header=BB2_3295 Depth=4
	s_andn2_saveexec_b64 s[28:29], s[28:29]
; %bb.3720:                             ;   in Loop: Header=BB2_3295 Depth=4
	v_mov_b32_e32 v41, v29
	v_bfe_u32 v33, v28, 23, 1
	v_mov_b32_e32 v40, v28
; %bb.3721:                             ;   in Loop: Header=BB2_3295 Depth=4
	s_or_b64 exec, exec, s[28:29]
	v_lshrrev_b64 v[34:35], 20, v[40:41]
	v_cmp_gt_i32_e32 vcc, 16, v33
	v_cndmask_b32_e32 v41, 0, v35, vcc
	v_cndmask_b32_e32 v40, 7, v34, vcc
	v_cmp_ne_u64_e32 vcc, 0, v[40:41]
	v_cmp_ne_u32_e64 s[28:29], 0, v33
	s_or_b64 s[28:29], s[28:29], vcc
                                        ; implicit-def: $vgpr6
	s_and_saveexec_b64 vcc, s[28:29]
	s_xor_b64 s[28:29], exec, vcc
; %bb.3722:                             ;   in Loop: Header=BB2_3295 Depth=4
	v_min_i32_e32 v6, 15, v33
	v_lshl_or_b32 v6, v6, 3, v31
	v_and_or_b32 v6, v40, 7, v6
                                        ; implicit-def: $vgpr31
; %bb.3723:                             ;   in Loop: Header=BB2_3295 Depth=4
	s_andn2_saveexec_b64 s[28:29], s[28:29]
; %bb.3724:                             ;   in Loop: Header=BB2_3295 Depth=4
	v_mov_b32_e32 v6, v31
; %bb.3725:                             ;   in Loop: Header=BB2_3295 Depth=4
	s_or_b64 exec, exec, s[28:29]
.LBB2_3726:                             ;   in Loop: Header=BB2_3295 Depth=4
	s_or_b64 exec, exec, s[38:39]
                                        ; implicit-def: $vgpr31
.LBB2_3727:                             ;   in Loop: Header=BB2_3295 Depth=4
	s_andn2_saveexec_b64 s[28:29], s[36:37]
; %bb.3728:                             ;   in Loop: Header=BB2_3295 Depth=4
	v_or_b32_e32 v6, 0x7e, v31
; %bb.3729:                             ;   in Loop: Header=BB2_3295 Depth=4
	s_or_b64 exec, exec, s[28:29]
                                        ; implicit-def: $vgpr33
.LBB2_3730:                             ;   in Loop: Header=BB2_3295 Depth=4
	s_andn2_saveexec_b64 s[28:29], s[34:35]
; %bb.3731:                             ;   in Loop: Header=BB2_3295 Depth=4
	v_or_b32_sdwa v6, v33, s85 dst_sel:DWORD dst_unused:UNUSED_PAD src0_sel:BYTE_3 src1_sel:DWORD
; %bb.3732:                             ;   in Loop: Header=BB2_3295 Depth=4
	s_or_b64 exec, exec, s[28:29]
	v_and_b32_e32 v28, 0xff, v2
	v_cmp_ne_u16_e32 vcc, 0, v28
	v_mov_b32_e32 v31, 0
	v_mov_b32_e32 v33, 0
	s_and_saveexec_b64 s[28:29], vcc
	s_cbranch_execz .LBB2_3738
; %bb.3733:                             ;   in Loop: Header=BB2_3295 Depth=4
	v_cmp_ne_u16_e32 vcc, s87, v28
	v_bfrev_b32_e32 v33, 1
	s_and_saveexec_b64 s[34:35], vcc
	s_cbranch_execz .LBB2_3737
; %bb.3734:                             ;   in Loop: Header=BB2_3295 Depth=4
	v_and_b32_e32 v34, 0x7f, v2
	v_cmp_ne_u32_e32 vcc, s85, v34
	v_mov_b32_e32 v33, 0x7f800001
	s_and_saveexec_b64 s[36:37], vcc
	s_cbranch_execz .LBB2_3736
; %bb.3735:                             ;   in Loop: Header=BB2_3295 Depth=4
	v_and_b32_e32 v35, 7, v28
	v_ffbh_u32_e32 v33, v35
	v_min_u32_e32 v53, 32, v33
	v_subrev_u32_e32 v33, 28, v53
	v_lshrrev_b32_e32 v52, 3, v34
	v_cmp_gt_u32_e32 vcc, 8, v34
	v_lshlrev_b64 v[33:34], v33, v[28:29]
	v_sub_u32_e32 v28, 29, v53
	v_and_b32_e32 v33, 7, v33
	v_cndmask_b32_e32 v28, v52, v28, vcc
	v_cndmask_b32_e32 v33, v35, v33, vcc
	v_lshlrev_b32_e32 v2, 24, v2
	v_lshlrev_b32_e32 v33, 20, v33
	v_and_b32_e32 v2, 0x80000000, v2
	v_lshl_add_u32 v28, v28, 23, v17
	v_or3_b32 v33, v2, v28, v33
.LBB2_3736:                             ;   in Loop: Header=BB2_3295 Depth=4
	s_or_b64 exec, exec, s[36:37]
.LBB2_3737:                             ;   in Loop: Header=BB2_3295 Depth=4
	s_or_b64 exec, exec, s[34:35]
.LBB2_3738:                             ;   in Loop: Header=BB2_3295 Depth=4
	s_or_b64 exec, exec, s[28:29]
	v_and_b32_e32 v28, 0xff, v3
	v_cmp_ne_u16_e32 vcc, 0, v28
	s_and_saveexec_b64 s[28:29], vcc
	s_cbranch_execz .LBB2_3744
; %bb.3739:                             ;   in Loop: Header=BB2_3295 Depth=4
	v_cmp_ne_u16_e32 vcc, s87, v28
	v_bfrev_b32_e32 v31, 1
	s_and_saveexec_b64 s[34:35], vcc
	s_cbranch_execz .LBB2_3743
; %bb.3740:                             ;   in Loop: Header=BB2_3295 Depth=4
	v_and_b32_e32 v2, 0x7f, v3
	v_cmp_ne_u32_e32 vcc, s85, v2
	v_mov_b32_e32 v31, 0x7f800001
	s_and_saveexec_b64 s[36:37], vcc
	s_cbranch_execz .LBB2_3742
; %bb.3741:                             ;   in Loop: Header=BB2_3295 Depth=4
	v_and_b32_e32 v31, 7, v28
	v_lshrrev_b32_e32 v52, 3, v2
	v_cmp_gt_u32_e32 vcc, 8, v2
	v_ffbh_u32_e32 v2, v31
	v_min_u32_e32 v2, 32, v2
	v_subrev_u32_e32 v34, 28, v2
	v_lshlrev_b64 v[34:35], v34, v[28:29]
	v_sub_u32_e32 v2, 29, v2
	v_and_b32_e32 v28, 7, v34
	v_cndmask_b32_e32 v2, v52, v2, vcc
	v_cndmask_b32_e32 v28, v31, v28, vcc
	v_lshlrev_b32_e32 v3, 24, v3
	v_lshlrev_b32_e32 v28, 20, v28
	v_and_b32_e32 v3, 0x80000000, v3
	v_lshl_add_u32 v2, v2, 23, v17
	v_or3_b32 v31, v3, v2, v28
.LBB2_3742:                             ;   in Loop: Header=BB2_3295 Depth=4
	s_or_b64 exec, exec, s[36:37]
.LBB2_3743:                             ;   in Loop: Header=BB2_3295 Depth=4
	s_or_b64 exec, exec, s[34:35]
.LBB2_3744:                             ;   in Loop: Header=BB2_3295 Depth=4
	s_or_b64 exec, exec, s[28:29]
	v_add_f32_e32 v31, v33, v31
	v_and_b32_e32 v28, 0x7f800000, v31
	v_cmp_ne_u64_e32 vcc, s[76:77], v[28:29]
                                        ; implicit-def: $vgpr3
	s_and_saveexec_b64 s[28:29], vcc
	s_xor_b64 s[34:35], exec, s[28:29]
	s_cbranch_execz .LBB2_3762
; %bb.3745:                             ;   in Loop: Header=BB2_3295 Depth=4
	v_and_b32_e32 v28, 0x7fffffff, v31
	v_cmp_gt_u64_e32 vcc, s[78:79], v[28:29]
	v_and_b32_sdwa v2, v31, s87 dst_sel:DWORD dst_unused:UNUSED_PAD src0_sel:BYTE_3 src1_sel:DWORD
                                        ; implicit-def: $vgpr3
	s_and_saveexec_b64 s[28:29], vcc
	s_xor_b64 s[36:37], exec, s[28:29]
	s_cbranch_execz .LBB2_3759
; %bb.3746:                             ;   in Loop: Header=BB2_3295 Depth=4
	v_cmp_ne_u32_e32 vcc, 0, v31
	v_mov_b32_e32 v3, 0
	s_and_saveexec_b64 s[38:39], vcc
	s_cbranch_execz .LBB2_3758
; %bb.3747:                             ;   in Loop: Header=BB2_3295 Depth=4
	v_bfe_u32 v3, v31, 23, 8
	v_and_b32_e32 v28, 0x7fffff, v31
	v_cmp_gt_u32_e64 s[28:29], s96, v3
	v_sub_u32_e32 v31, 0x79, v3
	v_cmp_eq_u32_e32 vcc, 0, v3
	v_cndmask_b32_e64 v31, 0, v31, s[28:29]
	v_or_b32_e32 v33, 0x800000, v28
	v_cndmask_b32_e32 v31, v31, v36, vcc
	v_cndmask_b32_e32 v28, v33, v28, vcc
	v_add_u32_e32 v33, 20, v31
	v_lshlrev_b64 v[33:34], v33, -1
	v_add_u32_e32 v35, 19, v31
	v_lshlrev_b64 v[52:53], v35, 1
	v_lshrrev_b64 v[40:41], v31, v[28:29]
	v_bfi_b32 v34, v34, 0, 0
	v_bfi_b32 v33, v33, 0, v28
	v_cmp_eq_u64_e64 s[28:29], v[33:34], v[52:53]
	v_mov_b32_e32 v42, v41
	v_mov_b32_e32 v41, v40
	s_and_saveexec_b64 s[48:49], s[28:29]
; %bb.3748:                             ;   in Loop: Header=BB2_3295 Depth=4
	v_bfe_u32 v28, v40, 20, 1
	v_add_co_u32_e64 v28, s[28:29], v40, v28
	v_add_co_u32_e64 v41, s[28:29], -1, v28
; %bb.3749:                             ;   in Loop: Header=BB2_3295 Depth=4
	s_or_b64 exec, exec, s[48:49]
	v_add_u32_e32 v3, 0xffffff81, v3
	v_cndmask_b32_e32 v3, v3, v37, vcc
	v_lshrrev_b32_e32 v28, 23, v40
	v_add3_u32 v33, v31, v3, v28
	v_add_u32_e32 v3, 6, v33
	v_and_b32_e32 v28, 0xfffff, v41
	v_add_u32_e32 v28, v28, v40
	v_cmp_ne_u32_e32 vcc, 0, v3
                                        ; implicit-def: $vgpr40_vgpr41
                                        ; implicit-def: $vgpr31
	s_and_saveexec_b64 s[28:29], vcc
	s_xor_b64 s[28:29], exec, s[28:29]
; %bb.3750:                             ;   in Loop: Header=BB2_3295 Depth=4
	v_cmp_lt_u64_e32 vcc, s[88:89], v[28:29]
	v_add_u32_e32 v31, 7, v33
	v_cndmask_b32_e32 v31, v3, v31, vcc
	v_cndmask_b32_e64 v3, 0, 1, vcc
	v_lshrrev_b64 v[40:41], v3, v[28:29]
; %bb.3751:                             ;   in Loop: Header=BB2_3295 Depth=4
	s_andn2_saveexec_b64 s[28:29], s[28:29]
; %bb.3752:                             ;   in Loop: Header=BB2_3295 Depth=4
	v_mov_b32_e32 v41, v29
	v_bfe_u32 v31, v28, 23, 1
	v_mov_b32_e32 v40, v28
; %bb.3753:                             ;   in Loop: Header=BB2_3295 Depth=4
	s_or_b64 exec, exec, s[28:29]
	v_lshrrev_b64 v[33:34], 20, v[40:41]
	v_cmp_gt_i32_e32 vcc, 16, v31
	v_cndmask_b32_e32 v41, 0, v34, vcc
	v_cndmask_b32_e32 v40, 7, v33, vcc
	v_cmp_ne_u64_e32 vcc, 0, v[40:41]
	v_cmp_ne_u32_e64 s[28:29], 0, v31
	s_or_b64 s[28:29], s[28:29], vcc
                                        ; implicit-def: $vgpr3
	s_and_saveexec_b64 vcc, s[28:29]
	s_xor_b64 s[28:29], exec, vcc
; %bb.3754:                             ;   in Loop: Header=BB2_3295 Depth=4
	v_min_i32_e32 v3, 15, v31
	v_lshl_or_b32 v2, v3, 3, v2
	v_and_or_b32 v3, v40, 7, v2
                                        ; implicit-def: $vgpr2
; %bb.3755:                             ;   in Loop: Header=BB2_3295 Depth=4
	s_andn2_saveexec_b64 s[28:29], s[28:29]
; %bb.3756:                             ;   in Loop: Header=BB2_3295 Depth=4
	v_mov_b32_e32 v3, v2
; %bb.3757:                             ;   in Loop: Header=BB2_3295 Depth=4
	s_or_b64 exec, exec, s[28:29]
.LBB2_3758:                             ;   in Loop: Header=BB2_3295 Depth=4
	s_or_b64 exec, exec, s[38:39]
                                        ; implicit-def: $vgpr2
.LBB2_3759:                             ;   in Loop: Header=BB2_3295 Depth=4
	s_andn2_saveexec_b64 s[28:29], s[36:37]
; %bb.3760:                             ;   in Loop: Header=BB2_3295 Depth=4
	v_or_b32_e32 v3, 0x7e, v2
; %bb.3761:                             ;   in Loop: Header=BB2_3295 Depth=4
	s_or_b64 exec, exec, s[28:29]
                                        ; implicit-def: $vgpr31
.LBB2_3762:                             ;   in Loop: Header=BB2_3295 Depth=4
	s_andn2_saveexec_b64 s[28:29], s[34:35]
	s_cbranch_execz .LBB2_3294
; %bb.3763:                             ;   in Loop: Header=BB2_3295 Depth=4
	v_or_b32_sdwa v3, v31, s85 dst_sel:DWORD dst_unused:UNUSED_PAD src0_sel:BYTE_3 src1_sel:DWORD
	s_branch .LBB2_3294
.LBB2_3764:                             ;   in Loop: Header=BB2_1590 Depth=3
	s_or_b64 exec, exec, s[30:31]
.LBB2_3765:                             ;   in Loop: Header=BB2_1590 Depth=3
	s_or_b64 exec, exec, s[94:95]
	v_lshlrev_b32_e32 v2, 9, v25
	v_cmp_ne_u32_e32 vcc, v1, v2
	s_and_b64 exec, exec, vcc
	s_cbranch_execz .LBB2_3832
; %bb.3766:                             ;   in Loop: Header=BB2_1590 Depth=3
	v_lshlrev_b32_e32 v0, 6, v0
	v_sub_u32_e32 v0, v19, v0
	v_lshlrev_b32_e32 v3, 6, v18
	v_sub_u32_e32 v0, v0, v3
	v_add_u32_e32 v2, v2, v0
	v_sub_u32_e32 v0, v1, v2
	v_cmp_lt_i32_e32 vcc, 0, v0
	s_and_b64 exec, exec, vcc
	s_cbranch_execz .LBB2_3832
; %bb.3767:                             ;   in Loop: Header=BB2_1590 Depth=3
	s_trap 2
	ds_read_b128 v[8:11], v0
	v_add_u32_e32 v3, v2, v24
	ds_read_b64 v[1:2], v0
	v_ashrrev_i32_e32 v5, 31, v3
	s_mov_b64 s[94:95], 0
	s_waitcnt lgkmcnt(0)
	v_add_co_u32_e32 v8, vcc, v8, v3
	v_addc_co_u32_e32 v9, vcc, v9, v5, vcc
	v_add_co_u32_e32 v10, vcc, v10, v3
	v_addc_co_u32_e32 v11, vcc, v11, v5, vcc
	;; [unrolled: 2-line block ×3, first 2 shown]
	s_branch .LBB2_3769
.LBB2_3768:                             ;   in Loop: Header=BB2_3769 Depth=4
	s_or_b64 exec, exec, s[28:29]
	buffer_load_dword v1, off, s[0:3], s33 offset:56 ; 4-byte Folded Reload
	s_waitcnt vmcnt(0)
	v_add_co_u32_e32 v8, vcc, v8, v1
	v_addc_co_u32_e32 v9, vcc, 0, v9, vcc
	v_add_co_u32_e32 v10, vcc, v10, v1
	v_addc_co_u32_e32 v11, vcc, 0, v11, vcc
	v_sub_u32_e32 v0, v0, v1
	v_cmp_gt_i32_e32 vcc, 1, v0
	flat_store_byte v[54:55], v2 glc slc
	s_or_b64 s[94:95], vcc, s[94:95]
	v_add_co_u32_e32 v54, vcc, v54, v1
	v_addc_co_u32_e32 v55, vcc, 0, v55, vcc
	s_andn2_b64 exec, exec, s[94:95]
	s_cbranch_execz .LBB2_3832
.LBB2_3769:                             ;   Parent Loop BB2_47 Depth=1
                                        ;     Parent Loop BB2_1587 Depth=2
                                        ;       Parent Loop BB2_1590 Depth=3
                                        ; =>      This Inner Loop Header: Depth=4
	s_trap 2
	ds_read_b64 v[40:41], v0
	s_waitcnt lgkmcnt(0)
	v_cmp_eq_u32_sdwa vcc, v40, v29 src0_sel:BYTE_0 src1_sel:DWORD
	v_readfirstlane_b32 s28, v40
	v_readfirstlane_b32 s29, v41
	s_and_b64 vcc, exec, vcc
	s_cbranch_vccnz .LBB2_3773
; %bb.3770:                             ;   in Loop: Header=BB2_3769 Depth=4
	v_cmp_eq_u32_sdwa vcc, v40, s87 src0_sel:BYTE_0 src1_sel:DWORD
	s_brev_b32 s45, 1
	s_and_b64 vcc, exec, vcc
	s_cbranch_vccnz .LBB2_3774
; %bb.3771:                             ;   in Loop: Header=BB2_3769 Depth=4
	s_and_b32 vcc_lo, s28, 0x7f
	s_cmpk_eq_i32 vcc_lo, 0x7f
	s_mov_b32 s45, 0x7f800001
	s_cbranch_scc1 .LBB2_3774
; %bb.3772:                             ;   in Loop: Header=BB2_3769 Depth=4
	s_and_b32 s45, s28, 7
	s_flbit_i32_b32 s45, s45
	s_min_u32 s45, s45, 32
	s_lshr_b32 vcc_hi, vcc_lo, 3
	s_sub_i32 s30, s45, 28
	s_sub_i32 s45, 29, s45
	s_cmp_lt_u32 vcc_lo, 8
	s_cselect_b32 s45, s45, vcc_hi
	s_cselect_b32 vcc_lo, s30, 0
	s_lshl_b64 vcc, s[28:29], vcc_lo
	s_lshl_b32 s28, s28, 24
	s_lshl_b32 s45, s45, 23
	s_lshl_b32 s29, vcc_lo, 20
	s_and_b32 s28, s28, 0x80000000
	s_add_i32 s45, s45, 0x3c000000
	s_and_b32 s29, s29, 0x700000
	s_or_b32 s28, s28, s45
	s_or_b32 s45, s28, s29
	s_branch .LBB2_3774
.LBB2_3773:                             ;   in Loop: Header=BB2_3769 Depth=4
	s_mov_b32 s45, 0
.LBB2_3774:                             ;   in Loop: Header=BB2_3769 Depth=4
	flat_load_ubyte v1, v[8:9] glc slc
	v_mov_b32_e32 v2, 0
	s_waitcnt vmcnt(0) lgkmcnt(0)
	v_cmp_ne_u16_e32 vcc, 0, v1
	s_and_saveexec_b64 s[28:29], vcc
	s_cbranch_execz .LBB2_3780
; %bb.3775:                             ;   in Loop: Header=BB2_3769 Depth=4
	v_cmp_ne_u16_e32 vcc, s87, v1
	v_bfrev_b32_e32 v2, 1
	s_and_saveexec_b64 s[30:31], vcc
	s_cbranch_execz .LBB2_3779
; %bb.3776:                             ;   in Loop: Header=BB2_3769 Depth=4
	v_and_b32_e32 v28, 0xffff, v1
	v_and_b32_e32 v3, 0x7f, v28
	v_cmp_ne_u32_e32 vcc, s85, v3
	v_mov_b32_e32 v2, 0x7f800001
	s_and_saveexec_b64 s[34:35], vcc
	s_cbranch_execz .LBB2_3778
; %bb.3777:                             ;   in Loop: Header=BB2_3769 Depth=4
	v_and_b32_e32 v5, 7, v28
	v_ffbh_u32_e32 v2, v5
	v_min_u32_e32 v7, 32, v2
	v_subrev_u32_e32 v2, 28, v7
	v_lshrrev_b32_e32 v6, 3, v3
	v_cmp_gt_u32_e32 vcc, 8, v3
	v_lshlrev_b64 v[2:3], v2, v[28:29]
	v_sub_u32_e32 v3, 29, v7
	v_and_b32_e32 v2, 7, v2
	v_cndmask_b32_e32 v3, v6, v3, vcc
	v_cndmask_b32_e32 v2, v5, v2, vcc
	v_lshlrev_b32_e32 v1, 24, v1
	v_lshlrev_b32_e32 v2, 20, v2
	v_and_b32_e32 v1, 0x80000000, v1
	v_lshl_add_u32 v3, v3, 23, v17
	v_or3_b32 v2, v1, v3, v2
.LBB2_3778:                             ;   in Loop: Header=BB2_3769 Depth=4
	s_or_b64 exec, exec, s[34:35]
.LBB2_3779:                             ;   in Loop: Header=BB2_3769 Depth=4
	s_or_b64 exec, exec, s[30:31]
.LBB2_3780:                             ;   in Loop: Header=BB2_3769 Depth=4
	s_or_b64 exec, exec, s[28:29]
	v_mul_f32_e32 v3, s45, v2
	v_and_b32_e32 v28, 0x7f800000, v3
	v_cmp_ne_u64_e32 vcc, s[76:77], v[28:29]
                                        ; implicit-def: $vgpr2
	s_and_saveexec_b64 s[28:29], vcc
	s_xor_b64 s[30:31], exec, s[28:29]
	s_cbranch_execz .LBB2_3798
; %bb.3781:                             ;   in Loop: Header=BB2_3769 Depth=4
	v_and_b32_e32 v28, 0x7fffffff, v3
	v_cmp_gt_u64_e32 vcc, s[78:79], v[28:29]
	v_and_b32_sdwa v1, v3, s87 dst_sel:DWORD dst_unused:UNUSED_PAD src0_sel:BYTE_3 src1_sel:DWORD
                                        ; implicit-def: $vgpr2
	s_and_saveexec_b64 s[28:29], vcc
	s_xor_b64 s[34:35], exec, s[28:29]
	s_cbranch_execz .LBB2_3795
; %bb.3782:                             ;   in Loop: Header=BB2_3769 Depth=4
	v_cmp_ne_u32_e32 vcc, 0, v3
	v_mov_b32_e32 v2, 0
	s_and_saveexec_b64 s[36:37], vcc
	s_cbranch_execz .LBB2_3794
; %bb.3783:                             ;   in Loop: Header=BB2_3769 Depth=4
	v_bfe_u32 v2, v3, 23, 8
	v_and_b32_e32 v5, 0x7fffff, v3
	v_cmp_gt_u32_e64 s[28:29], s96, v2
	v_sub_u32_e32 v3, 0x79, v2
	v_cmp_eq_u32_e32 vcc, 0, v2
	v_cndmask_b32_e64 v3, 0, v3, s[28:29]
	v_or_b32_e32 v6, 0x800000, v5
	v_cndmask_b32_e32 v3, v3, v36, vcc
	v_cndmask_b32_e32 v28, v6, v5, vcc
	v_add_u32_e32 v5, 20, v3
	v_lshlrev_b64 v[5:6], v5, -1
	v_add_u32_e32 v7, 19, v3
	v_lshlrev_b64 v[18:19], v7, 1
	v_lshrrev_b64 v[40:41], v3, v[28:29]
	v_bfi_b32 v6, v6, 0, 0
	v_bfi_b32 v5, v5, 0, v28
	v_cmp_eq_u64_e64 s[28:29], v[5:6], v[18:19]
	v_mov_b32_e32 v42, v41
	v_mov_b32_e32 v41, v40
	s_and_saveexec_b64 s[38:39], s[28:29]
; %bb.3784:                             ;   in Loop: Header=BB2_3769 Depth=4
	v_bfe_u32 v5, v40, 20, 1
	v_add_co_u32_e64 v5, s[28:29], v40, v5
	v_add_co_u32_e64 v41, s[28:29], -1, v5
; %bb.3785:                             ;   in Loop: Header=BB2_3769 Depth=4
	s_or_b64 exec, exec, s[38:39]
	v_add_u32_e32 v2, 0xffffff81, v2
	v_cndmask_b32_e32 v2, v2, v37, vcc
	v_lshrrev_b32_e32 v5, 23, v40
	v_add3_u32 v5, v3, v2, v5
	v_add_u32_e32 v2, 6, v5
	v_and_b32_e32 v3, 0xfffff, v41
	v_add_u32_e32 v28, v3, v40
	v_cmp_ne_u32_e32 vcc, 0, v2
                                        ; implicit-def: $vgpr40_vgpr41
                                        ; implicit-def: $vgpr3
	s_and_saveexec_b64 s[28:29], vcc
	s_xor_b64 s[28:29], exec, s[28:29]
; %bb.3786:                             ;   in Loop: Header=BB2_3769 Depth=4
	v_cmp_lt_u64_e32 vcc, s[88:89], v[28:29]
	v_add_u32_e32 v3, 7, v5
	v_cndmask_b32_e32 v3, v2, v3, vcc
	v_cndmask_b32_e64 v2, 0, 1, vcc
	v_lshrrev_b64 v[40:41], v2, v[28:29]
; %bb.3787:                             ;   in Loop: Header=BB2_3769 Depth=4
	s_andn2_saveexec_b64 s[28:29], s[28:29]
; %bb.3788:                             ;   in Loop: Header=BB2_3769 Depth=4
	v_mov_b32_e32 v41, v29
	v_bfe_u32 v3, v28, 23, 1
	v_mov_b32_e32 v40, v28
; %bb.3789:                             ;   in Loop: Header=BB2_3769 Depth=4
	s_or_b64 exec, exec, s[28:29]
	v_lshrrev_b64 v[5:6], 20, v[40:41]
	v_cmp_gt_i32_e32 vcc, 16, v3
	v_cndmask_b32_e32 v41, 0, v6, vcc
	v_cndmask_b32_e32 v40, 7, v5, vcc
	v_cmp_ne_u64_e32 vcc, 0, v[40:41]
	v_cmp_ne_u32_e64 s[28:29], 0, v3
	s_or_b64 s[28:29], s[28:29], vcc
                                        ; implicit-def: $vgpr2
	s_and_saveexec_b64 vcc, s[28:29]
	s_xor_b64 s[28:29], exec, vcc
; %bb.3790:                             ;   in Loop: Header=BB2_3769 Depth=4
	v_min_i32_e32 v2, 15, v3
	v_lshl_or_b32 v1, v2, 3, v1
	v_and_or_b32 v2, v40, 7, v1
                                        ; implicit-def: $vgpr1
; %bb.3791:                             ;   in Loop: Header=BB2_3769 Depth=4
	s_andn2_saveexec_b64 s[28:29], s[28:29]
; %bb.3792:                             ;   in Loop: Header=BB2_3769 Depth=4
	v_mov_b32_e32 v2, v1
; %bb.3793:                             ;   in Loop: Header=BB2_3769 Depth=4
	s_or_b64 exec, exec, s[28:29]
.LBB2_3794:                             ;   in Loop: Header=BB2_3769 Depth=4
	s_or_b64 exec, exec, s[36:37]
                                        ; implicit-def: $vgpr1
.LBB2_3795:                             ;   in Loop: Header=BB2_3769 Depth=4
	s_andn2_saveexec_b64 s[28:29], s[34:35]
; %bb.3796:                             ;   in Loop: Header=BB2_3769 Depth=4
	v_or_b32_e32 v2, 0x7e, v1
; %bb.3797:                             ;   in Loop: Header=BB2_3769 Depth=4
	s_or_b64 exec, exec, s[28:29]
                                        ; implicit-def: $vgpr3
.LBB2_3798:                             ;   in Loop: Header=BB2_3769 Depth=4
	s_andn2_saveexec_b64 s[28:29], s[30:31]
; %bb.3799:                             ;   in Loop: Header=BB2_3769 Depth=4
	v_or_b32_sdwa v2, v3, s85 dst_sel:DWORD dst_unused:UNUSED_PAD src0_sel:BYTE_3 src1_sel:DWORD
; %bb.3800:                             ;   in Loop: Header=BB2_3769 Depth=4
	s_or_b64 exec, exec, s[28:29]
	flat_load_ubyte v3, v[10:11] glc slc
	v_and_b32_e32 v28, 0xff, v2
	v_cmp_ne_u16_e32 vcc, 0, v28
	v_mov_b32_e32 v1, 0
	v_mov_b32_e32 v5, 0
	s_and_saveexec_b64 s[28:29], vcc
	s_cbranch_execz .LBB2_3806
; %bb.3801:                             ;   in Loop: Header=BB2_3769 Depth=4
	v_cmp_ne_u16_e32 vcc, s87, v28
	v_bfrev_b32_e32 v5, 1
	s_and_saveexec_b64 s[30:31], vcc
	s_cbranch_execz .LBB2_3805
; %bb.3802:                             ;   in Loop: Header=BB2_3769 Depth=4
	v_and_b32_e32 v6, 0x7f, v2
	v_cmp_ne_u32_e32 vcc, s85, v6
	v_mov_b32_e32 v5, 0x7f800001
	s_and_saveexec_b64 s[34:35], vcc
	s_cbranch_execz .LBB2_3804
; %bb.3803:                             ;   in Loop: Header=BB2_3769 Depth=4
	v_and_b32_e32 v7, 7, v28
	v_ffbh_u32_e32 v5, v7
	v_min_u32_e32 v18, 32, v5
	v_subrev_u32_e32 v5, 28, v18
	v_lshrrev_b32_e32 v16, 3, v6
	v_cmp_gt_u32_e32 vcc, 8, v6
	v_lshlrev_b64 v[5:6], v5, v[28:29]
	v_sub_u32_e32 v6, 29, v18
	v_and_b32_e32 v5, 7, v5
	v_cndmask_b32_e32 v6, v16, v6, vcc
	v_cndmask_b32_e32 v5, v7, v5, vcc
	v_lshlrev_b32_e32 v2, 24, v2
	v_lshlrev_b32_e32 v5, 20, v5
	v_and_b32_e32 v2, 0x80000000, v2
	v_lshl_add_u32 v6, v6, 23, v17
	v_or3_b32 v5, v2, v6, v5
.LBB2_3804:                             ;   in Loop: Header=BB2_3769 Depth=4
	s_or_b64 exec, exec, s[34:35]
.LBB2_3805:                             ;   in Loop: Header=BB2_3769 Depth=4
	s_or_b64 exec, exec, s[30:31]
.LBB2_3806:                             ;   in Loop: Header=BB2_3769 Depth=4
	s_or_b64 exec, exec, s[28:29]
	s_waitcnt vmcnt(0) lgkmcnt(0)
	v_and_b32_e32 v28, 0xff, v3
	v_cmp_ne_u16_e32 vcc, 0, v28
	s_and_saveexec_b64 s[28:29], vcc
	s_cbranch_execz .LBB2_3812
; %bb.3807:                             ;   in Loop: Header=BB2_3769 Depth=4
	v_cmp_ne_u16_e32 vcc, s87, v28
	v_bfrev_b32_e32 v1, 1
	s_and_saveexec_b64 s[30:31], vcc
	s_cbranch_execz .LBB2_3811
; %bb.3808:                             ;   in Loop: Header=BB2_3769 Depth=4
	v_and_b32_e32 v2, 0x7f, v3
	v_cmp_ne_u32_e32 vcc, s85, v2
	v_mov_b32_e32 v1, 0x7f800001
	s_and_saveexec_b64 s[34:35], vcc
	s_cbranch_execz .LBB2_3810
; %bb.3809:                             ;   in Loop: Header=BB2_3769 Depth=4
	v_and_b32_e32 v6, 7, v28
	v_lshlrev_b32_e32 v1, 24, v3
	v_and_b32_e32 v3, 0x80000000, v1
	v_ffbh_u32_e32 v1, v6
	v_min_u32_e32 v16, 32, v1
	v_subrev_u32_e32 v1, 28, v16
	v_lshrrev_b32_e32 v7, 3, v2
	v_cmp_gt_u32_e32 vcc, 8, v2
	v_lshlrev_b64 v[1:2], v1, v[28:29]
	v_sub_u32_e32 v2, 29, v16
	v_and_b32_e32 v1, 7, v1
	v_cndmask_b32_e32 v2, v7, v2, vcc
	v_cndmask_b32_e32 v1, v6, v1, vcc
	v_lshlrev_b32_e32 v1, 20, v1
	v_lshl_add_u32 v2, v2, 23, v17
	v_or3_b32 v1, v3, v2, v1
.LBB2_3810:                             ;   in Loop: Header=BB2_3769 Depth=4
	s_or_b64 exec, exec, s[34:35]
.LBB2_3811:                             ;   in Loop: Header=BB2_3769 Depth=4
	s_or_b64 exec, exec, s[30:31]
.LBB2_3812:                             ;   in Loop: Header=BB2_3769 Depth=4
	s_or_b64 exec, exec, s[28:29]
	v_add_f32_e32 v3, v5, v1
	v_and_b32_e32 v28, 0x7f800000, v3
	v_cmp_ne_u64_e32 vcc, s[76:77], v[28:29]
                                        ; implicit-def: $vgpr2
	s_and_saveexec_b64 s[28:29], vcc
	s_xor_b64 s[30:31], exec, s[28:29]
	s_cbranch_execz .LBB2_3830
; %bb.3813:                             ;   in Loop: Header=BB2_3769 Depth=4
	v_and_b32_e32 v28, 0x7fffffff, v3
	v_cmp_gt_u64_e32 vcc, s[78:79], v[28:29]
	v_and_b32_sdwa v1, v3, s87 dst_sel:DWORD dst_unused:UNUSED_PAD src0_sel:BYTE_3 src1_sel:DWORD
                                        ; implicit-def: $vgpr2
	s_and_saveexec_b64 s[28:29], vcc
	s_xor_b64 s[34:35], exec, s[28:29]
	s_cbranch_execz .LBB2_3827
; %bb.3814:                             ;   in Loop: Header=BB2_3769 Depth=4
	v_cmp_ne_u32_e32 vcc, 0, v3
	v_mov_b32_e32 v2, 0
	s_and_saveexec_b64 s[36:37], vcc
	s_cbranch_execz .LBB2_3826
; %bb.3815:                             ;   in Loop: Header=BB2_3769 Depth=4
	v_bfe_u32 v2, v3, 23, 8
	v_and_b32_e32 v5, 0x7fffff, v3
	v_cmp_gt_u32_e64 s[28:29], s96, v2
	v_sub_u32_e32 v3, 0x79, v2
	v_cmp_eq_u32_e32 vcc, 0, v2
	v_cndmask_b32_e64 v3, 0, v3, s[28:29]
	v_or_b32_e32 v6, 0x800000, v5
	v_cndmask_b32_e32 v3, v3, v36, vcc
	v_cndmask_b32_e32 v28, v6, v5, vcc
	v_add_u32_e32 v5, 20, v3
	v_lshlrev_b64 v[5:6], v5, -1
	v_add_u32_e32 v7, 19, v3
	v_lshlrev_b64 v[18:19], v7, 1
	v_lshrrev_b64 v[40:41], v3, v[28:29]
	v_bfi_b32 v6, v6, 0, 0
	v_bfi_b32 v5, v5, 0, v28
	v_cmp_eq_u64_e64 s[28:29], v[5:6], v[18:19]
	v_mov_b32_e32 v42, v41
	v_mov_b32_e32 v41, v40
	s_and_saveexec_b64 s[38:39], s[28:29]
; %bb.3816:                             ;   in Loop: Header=BB2_3769 Depth=4
	v_bfe_u32 v5, v40, 20, 1
	v_add_co_u32_e64 v5, s[28:29], v40, v5
	v_add_co_u32_e64 v41, s[28:29], -1, v5
; %bb.3817:                             ;   in Loop: Header=BB2_3769 Depth=4
	s_or_b64 exec, exec, s[38:39]
	v_add_u32_e32 v2, 0xffffff81, v2
	v_cndmask_b32_e32 v2, v2, v37, vcc
	v_lshrrev_b32_e32 v5, 23, v40
	v_add3_u32 v5, v3, v2, v5
	v_add_u32_e32 v2, 6, v5
	v_and_b32_e32 v3, 0xfffff, v41
	v_add_u32_e32 v28, v3, v40
	v_cmp_ne_u32_e32 vcc, 0, v2
                                        ; implicit-def: $vgpr40_vgpr41
                                        ; implicit-def: $vgpr3
	s_and_saveexec_b64 s[28:29], vcc
	s_xor_b64 s[28:29], exec, s[28:29]
; %bb.3818:                             ;   in Loop: Header=BB2_3769 Depth=4
	v_cmp_lt_u64_e32 vcc, s[88:89], v[28:29]
	v_add_u32_e32 v3, 7, v5
	v_cndmask_b32_e32 v3, v2, v3, vcc
	v_cndmask_b32_e64 v2, 0, 1, vcc
	v_lshrrev_b64 v[40:41], v2, v[28:29]
; %bb.3819:                             ;   in Loop: Header=BB2_3769 Depth=4
	s_andn2_saveexec_b64 s[28:29], s[28:29]
; %bb.3820:                             ;   in Loop: Header=BB2_3769 Depth=4
	v_mov_b32_e32 v41, v29
	v_bfe_u32 v3, v28, 23, 1
	v_mov_b32_e32 v40, v28
; %bb.3821:                             ;   in Loop: Header=BB2_3769 Depth=4
	s_or_b64 exec, exec, s[28:29]
	v_lshrrev_b64 v[5:6], 20, v[40:41]
	v_cmp_gt_i32_e32 vcc, 16, v3
	v_cndmask_b32_e32 v41, 0, v6, vcc
	v_cndmask_b32_e32 v40, 7, v5, vcc
	v_cmp_ne_u64_e32 vcc, 0, v[40:41]
	v_cmp_ne_u32_e64 s[28:29], 0, v3
	s_or_b64 s[28:29], s[28:29], vcc
                                        ; implicit-def: $vgpr2
	s_and_saveexec_b64 vcc, s[28:29]
	s_xor_b64 s[28:29], exec, vcc
; %bb.3822:                             ;   in Loop: Header=BB2_3769 Depth=4
	v_min_i32_e32 v2, 15, v3
	v_lshl_or_b32 v1, v2, 3, v1
	v_and_or_b32 v2, v40, 7, v1
                                        ; implicit-def: $vgpr1
; %bb.3823:                             ;   in Loop: Header=BB2_3769 Depth=4
	s_andn2_saveexec_b64 s[28:29], s[28:29]
; %bb.3824:                             ;   in Loop: Header=BB2_3769 Depth=4
	v_mov_b32_e32 v2, v1
; %bb.3825:                             ;   in Loop: Header=BB2_3769 Depth=4
	s_or_b64 exec, exec, s[28:29]
.LBB2_3826:                             ;   in Loop: Header=BB2_3769 Depth=4
	s_or_b64 exec, exec, s[36:37]
                                        ; implicit-def: $vgpr1
.LBB2_3827:                             ;   in Loop: Header=BB2_3769 Depth=4
	s_andn2_saveexec_b64 s[28:29], s[34:35]
; %bb.3828:                             ;   in Loop: Header=BB2_3769 Depth=4
	v_or_b32_e32 v2, 0x7e, v1
; %bb.3829:                             ;   in Loop: Header=BB2_3769 Depth=4
	s_or_b64 exec, exec, s[28:29]
                                        ; implicit-def: $vgpr3
.LBB2_3830:                             ;   in Loop: Header=BB2_3769 Depth=4
	s_andn2_saveexec_b64 s[28:29], s[30:31]
	s_cbranch_execz .LBB2_3768
; %bb.3831:                             ;   in Loop: Header=BB2_3769 Depth=4
	v_or_b32_sdwa v2, v3, s85 dst_sel:DWORD dst_unused:UNUSED_PAD src0_sel:BYTE_3 src1_sel:DWORD
	s_branch .LBB2_3768
.LBB2_3832:                             ;   in Loop: Header=BB2_1590 Depth=3
	s_or_b64 exec, exec, s[40:41]
	v_cmp_lt_i32_e64 s[28:29], 0, v51
	s_and_saveexec_b64 s[40:41], s[12:13]
	s_cbranch_execz .LBB2_3851
.LBB2_3833:                             ;   in Loop: Header=BB2_1590 Depth=3
	s_and_saveexec_b64 s[94:95], s[58:59]
	s_xor_b64 s[94:95], exec, s[94:95]
	s_cbranch_execz .LBB2_3848
; %bb.3834:                             ;   in Loop: Header=BB2_1590 Depth=3
	s_and_saveexec_b64 s[30:31], s[6:7]
	s_cbranch_execz .LBB2_3847
; %bb.3835:                             ;   in Loop: Header=BB2_1590 Depth=3
	s_mov_b64 s[36:37], exec
	v_mbcnt_lo_u32_b32 v0, s36, 0
	v_mbcnt_hi_u32_b32 v0, s37, v0
	v_cmp_eq_u32_e32 vcc, 0, v0
	s_waitcnt vmcnt(0) lgkmcnt(0)
	buffer_wbinvl1_vol
	s_and_saveexec_b64 s[34:35], vcc
	s_cbranch_execz .LBB2_3837
; %bb.3836:                             ;   in Loop: Header=BB2_1590 Depth=3
	s_bcnt1_i32_b64 s45, s[36:37]
	v_mov_b32_e32 v0, s45
	v_mov_b32_e32 v1, v29
	ds_add_u64 v0, v[0:1]
	s_trap 2
.LBB2_3837:                             ;   in Loop: Header=BB2_1590 Depth=3
	s_or_b64 exec, exec, s[34:35]
	s_trap 2
	ds_read_b64 v[0:1], v0
	s_waitcnt lgkmcnt(0)
	v_add_co_u32_e32 v12, vcc, v12, v14
	v_addc_co_u32_e32 v13, vcc, 0, v13, vcc
	v_cmp_lt_u64_e32 vcc, v[0:1], v[12:13]
	s_and_saveexec_b64 s[34:35], vcc
	s_cbranch_execz .LBB2_3846
; %bb.3838:                             ;   in Loop: Header=BB2_1590 Depth=3
	s_mov_b32 s45, 0
	s_mov_b64 s[36:37], 0
                                        ; implicit-def: $sgpr38_sgpr39
                                        ; implicit-def: $sgpr48_sgpr49
	s_branch .LBB2_3840
.LBB2_3839:                             ;   in Loop: Header=BB2_3840 Depth=4
	s_or_b64 exec, exec, s[52:53]
	s_and_b64 vcc, exec, vcc
	s_or_b64 s[36:37], vcc, s[36:37]
	s_andn2_b64 vcc, s[38:39], exec
	s_and_b64 s[38:39], s[48:49], exec
	s_or_b64 s[38:39], vcc, s[38:39]
	s_andn2_b64 exec, exec, s[36:37]
	s_cbranch_execz .LBB2_3844
.LBB2_3840:                             ;   Parent Loop BB2_47 Depth=1
                                        ;     Parent Loop BB2_1587 Depth=2
                                        ;       Parent Loop BB2_1590 Depth=3
                                        ; =>      This Inner Loop Header: Depth=4
	s_add_i32 s45, s45, 1
	s_cmpk_lg_i32 s45, 0x2710
	s_cselect_b64 s[50:51], -1, 0
	s_and_b64 vcc, exec, s[50:51]
	s_cbranch_vccz .LBB2_3842
; %bb.3841:                             ;   in Loop: Header=BB2_3840 Depth=4
	s_mov_b64 vcc, -1
	s_or_b64 s[48:49], s[48:49], exec
	s_and_saveexec_b64 s[52:53], s[50:51]
	s_cbranch_execz .LBB2_3839
	s_branch .LBB2_3843
.LBB2_3842:                             ;   in Loop: Header=BB2_3840 Depth=4
	s_trap 2
	ds_read_b64 v[0:1], v0
	s_andn2_b64 s[50:51], s[50:51], exec
	s_mov_b32 s45, 0
	s_waitcnt lgkmcnt(0)
	flat_load_dword v0, v[0:1] glc
	s_waitcnt vmcnt(0) lgkmcnt(0)
	buffer_wbinvl1_vol
	v_cmp_eq_u32_e32 vcc, 0, v0
	s_and_b64 vcc, vcc, exec
	s_or_b64 s[50:51], s[50:51], vcc
	s_mov_b64 vcc, -1
	s_or_b64 s[48:49], s[48:49], exec
	s_and_saveexec_b64 s[52:53], s[50:51]
	s_cbranch_execz .LBB2_3839
.LBB2_3843:                             ;   in Loop: Header=BB2_3840 Depth=4
	s_sleep 1
	s_trap 2
	ds_read_b64 v[0:1], v0
	s_waitcnt lgkmcnt(0)
	s_andn2_b64 s[48:49], s[48:49], exec
	v_cmp_ge_u64_e32 vcc, v[0:1], v[12:13]
	s_orn2_b64 vcc, vcc, exec
	s_branch .LBB2_3839
.LBB2_3844:                             ;   in Loop: Header=BB2_1590 Depth=3
	s_or_b64 exec, exec, s[36:37]
	s_and_saveexec_b64 vcc, s[38:39]
	s_xor_b64 vcc, exec, vcc
	s_cbranch_execz .LBB2_3846
; %bb.3845:                             ;   in Loop: Header=BB2_1590 Depth=3
	v_mov_b32_e32 v0, 1
	ds_write_b32 v0, v0
	s_trap 2
.LBB2_3846:                             ;   in Loop: Header=BB2_1590 Depth=3
	s_or_b64 exec, exec, s[34:35]
	;;#ASMSTART
	s_wakeup
	;;#ASMEND
.LBB2_3847:                             ;   in Loop: Header=BB2_1590 Depth=3
	s_or_b64 exec, exec, s[30:31]
.LBB2_3848:                             ;   in Loop: Header=BB2_1590 Depth=3
	s_andn2_saveexec_b64 s[94:95], s[94:95]
	s_cbranch_execz .LBB2_3850
; %bb.3849:                             ;   in Loop: Header=BB2_1590 Depth=3
	s_waitcnt vmcnt(0) lgkmcnt(0)
	buffer_wbinvl1_vol
	s_barrier
.LBB2_3850:                             ;   in Loop: Header=BB2_1590 Depth=3
	s_or_b64 exec, exec, s[94:95]
.LBB2_3851:                             ;   in Loop: Header=BB2_1590 Depth=3
	s_or_b64 exec, exec, s[40:41]
	v_and_b32_e32 v0, 16, v61
	s_and_saveexec_b64 s[40:41], s[18:19]
	s_xor_b64 s[40:41], exec, s[40:41]
	s_cbranch_execz .LBB2_3855
; %bb.3852:                             ;   in Loop: Header=BB2_1590 Depth=3
	v_and_b32_e32 v1, 16, v61
	v_cmp_ne_u32_e32 vcc, 0, v1
	v_and_b32_e32 v0, 16, v61
	s_and_b64 s[94:95], vcc, s[28:29]
	s_and_saveexec_b64 s[28:29], s[94:95]
	s_cbranch_execz .LBB2_3854
; %bb.3853:                             ;   in Loop: Header=BB2_1590 Depth=3
	v_mov_b32_e32 v0, 1
	s_waitcnt vmcnt(0) lgkmcnt(0)
	buffer_wbinvl1_vol
.LBB2_3854:                             ;   in Loop: Header=BB2_1590 Depth=3
	s_or_b64 exec, exec, s[28:29]
.LBB2_3855:                             ;   in Loop: Header=BB2_1590 Depth=3
	s_andn2_saveexec_b64 s[28:29], s[40:41]
	s_cbranch_execz .LBB2_3874
; %bb.3856:                             ;   in Loop: Header=BB2_1590 Depth=3
	s_and_saveexec_b64 s[40:41], s[58:59]
	s_xor_b64 s[40:41], exec, s[40:41]
	s_cbranch_execz .LBB2_3871
; %bb.3857:                             ;   in Loop: Header=BB2_1590 Depth=3
	s_and_saveexec_b64 s[94:95], s[6:7]
	s_cbranch_execz .LBB2_3870
; %bb.3858:                             ;   in Loop: Header=BB2_1590 Depth=3
	s_mov_b64 s[34:35], exec
	v_mbcnt_lo_u32_b32 v1, s34, 0
	v_mbcnt_hi_u32_b32 v1, s35, v1
	v_cmp_eq_u32_e32 vcc, 0, v1
	;;#ASMSTART
	s_waitcnt lgkmcnt(0) vmcnt(0)
	;;#ASMEND
	s_and_saveexec_b64 s[30:31], vcc
	s_cbranch_execz .LBB2_3860
; %bb.3859:                             ;   in Loop: Header=BB2_1590 Depth=3
	s_bcnt1_i32_b64 s45, s[34:35]
	v_mov_b32_e32 v1, s45
	v_mov_b32_e32 v2, v29
	s_waitcnt lgkmcnt(0)
	ds_add_u64 v0, v[1:2]
	s_trap 2
.LBB2_3860:                             ;   in Loop: Header=BB2_1590 Depth=3
	s_or_b64 exec, exec, s[30:31]
	s_trap 2
	ds_read_b64 v[1:2], v0
	s_waitcnt lgkmcnt(0)
	v_add_co_u32_e32 v12, vcc, v12, v14
	v_addc_co_u32_e32 v13, vcc, 0, v13, vcc
	v_cmp_lt_u64_e32 vcc, v[1:2], v[12:13]
	s_and_saveexec_b64 s[30:31], vcc
	s_cbranch_execz .LBB2_3869
; %bb.3861:                             ;   in Loop: Header=BB2_1590 Depth=3
	s_mov_b32 s45, 0
	s_mov_b64 s[34:35], 0
                                        ; implicit-def: $sgpr36_sgpr37
                                        ; implicit-def: $sgpr38_sgpr39
	s_branch .LBB2_3863
.LBB2_3862:                             ;   in Loop: Header=BB2_3863 Depth=4
	s_or_b64 exec, exec, s[50:51]
	s_and_b64 vcc, exec, vcc
	s_or_b64 s[34:35], vcc, s[34:35]
	s_andn2_b64 vcc, s[36:37], exec
	s_and_b64 s[36:37], s[38:39], exec
	s_or_b64 s[36:37], vcc, s[36:37]
	s_andn2_b64 exec, exec, s[34:35]
	s_cbranch_execz .LBB2_3867
.LBB2_3863:                             ;   Parent Loop BB2_47 Depth=1
                                        ;     Parent Loop BB2_1587 Depth=2
                                        ;       Parent Loop BB2_1590 Depth=3
                                        ; =>      This Inner Loop Header: Depth=4
	s_add_i32 s45, s45, 1
	s_cmpk_lg_i32 s45, 0x2710
	s_cselect_b64 s[48:49], -1, 0
	s_and_b64 vcc, exec, s[48:49]
	s_cbranch_vccz .LBB2_3865
; %bb.3864:                             ;   in Loop: Header=BB2_3863 Depth=4
	s_mov_b64 vcc, -1
	s_or_b64 s[38:39], s[38:39], exec
	s_and_saveexec_b64 s[50:51], s[48:49]
	s_cbranch_execz .LBB2_3862
	s_branch .LBB2_3866
.LBB2_3865:                             ;   in Loop: Header=BB2_3863 Depth=4
	s_trap 2
	ds_read_b64 v[1:2], v0
	s_andn2_b64 s[48:49], s[48:49], exec
	s_mov_b32 s45, 0
	s_waitcnt vmcnt(0) lgkmcnt(0)
	flat_load_dword v1, v[1:2] glc
	s_waitcnt vmcnt(0) lgkmcnt(0)
	buffer_wbinvl1_vol
	v_cmp_eq_u32_e32 vcc, 0, v1
	s_and_b64 vcc, vcc, exec
	s_or_b64 s[48:49], s[48:49], vcc
	s_mov_b64 vcc, -1
	s_or_b64 s[38:39], s[38:39], exec
	s_and_saveexec_b64 s[50:51], s[48:49]
	s_cbranch_execz .LBB2_3862
.LBB2_3866:                             ;   in Loop: Header=BB2_3863 Depth=4
	s_sleep 1
	s_trap 2
	ds_read_b64 v[1:2], v0
	s_waitcnt lgkmcnt(0)
	s_andn2_b64 s[38:39], s[38:39], exec
	v_cmp_ge_u64_e32 vcc, v[1:2], v[12:13]
	s_orn2_b64 vcc, vcc, exec
	s_branch .LBB2_3862
.LBB2_3867:                             ;   in Loop: Header=BB2_1590 Depth=3
	s_or_b64 exec, exec, s[34:35]
	s_and_saveexec_b64 vcc, s[36:37]
	s_xor_b64 vcc, exec, vcc
	s_cbranch_execz .LBB2_3869
; %bb.3868:                             ;   in Loop: Header=BB2_1590 Depth=3
	v_mov_b32_e32 v1, 1
	ds_write_b32 v0, v1
	s_trap 2
.LBB2_3869:                             ;   in Loop: Header=BB2_1590 Depth=3
	s_or_b64 exec, exec, s[30:31]
	;;#ASMSTART
	s_wakeup
	;;#ASMEND
.LBB2_3870:                             ;   in Loop: Header=BB2_1590 Depth=3
	s_or_b64 exec, exec, s[94:95]
.LBB2_3871:                             ;   in Loop: Header=BB2_1590 Depth=3
	s_andn2_saveexec_b64 s[40:41], s[40:41]
	s_cbranch_execz .LBB2_3873
; %bb.3872:                             ;   in Loop: Header=BB2_1590 Depth=3
	;;#ASMSTART
	s_waitcnt lgkmcnt(0) vmcnt(0)
	;;#ASMEND
	s_waitcnt vmcnt(0) lgkmcnt(0)
	s_barrier
.LBB2_3873:                             ;   in Loop: Header=BB2_1590 Depth=3
	s_or_b64 exec, exec, s[40:41]
.LBB2_3874:                             ;   in Loop: Header=BB2_1590 Depth=3
	s_or_b64 exec, exec, s[28:29]
	v_cmp_ne_u32_e32 vcc, 0, v0
	s_xor_b64 s[28:29], s[20:21], -1
	s_and_b64 s[40:41], vcc, s[28:29]
	s_and_saveexec_b64 s[28:29], s[40:41]
	s_cbranch_execz .LBB2_3876
; %bb.3875:                             ;   in Loop: Header=BB2_1590 Depth=3
	buffer_load_dword v0, off, s[0:3], s33 offset:96 ; 4-byte Folded Reload
	buffer_load_dword v1, off, s[0:3], s33 offset:100 ; 4-byte Folded Reload
	v_mov_b32_e32 v2, 1
	s_waitcnt vmcnt(0)
	flat_store_dword v[0:1], v2
.LBB2_3876:                             ;   in Loop: Header=BB2_1590 Depth=3
	s_or_b64 exec, exec, s[28:29]
	v_and_b32_e32 v0, 48, v61
	v_cmp_ne_u32_e32 vcc, 0, v0
	s_and_saveexec_b64 s[28:29], vcc
	s_cbranch_execz .LBB2_1589
; %bb.3877:                             ;   in Loop: Header=BB2_1590 Depth=3
	v_add_co_u32_e32 v38, vcc, 2, v38
	v_addc_co_u32_e32 v39, vcc, 0, v39, vcc
	flat_store_dwordx2 v[20:21], v[38:39]
	s_branch .LBB2_1589
.LBB2_3878:                             ;   in Loop: Header=BB2_1587 Depth=2
	s_or_b64 exec, exec, s[90:91]
.LBB2_3879:                             ;   in Loop: Header=BB2_1587 Depth=2
	s_or_b64 exec, exec, s[42:43]
	v_cmp_gt_i32_e32 vcc, 2, v0
	s_and_saveexec_b64 s[40:41], vcc
	s_cbranch_execz .LBB2_1586
; %bb.3880:                             ;   in Loop: Header=BB2_1587 Depth=2
	v_cmp_eq_u32_e64 s[90:91], 0, v0
	s_mov_b64 s[42:43], 0
	s_branch .LBB2_3882
.LBB2_3881:                             ;   in Loop: Header=BB2_3882 Depth=3
	s_or_b64 exec, exec, s[28:29]
	v_add_u32_e32 v49, v50, v49
	s_mov_b64 s[90:91], 0
	s_andn2_b64 exec, exec, s[42:43]
	s_cbranch_execz .LBB2_1585
.LBB2_3882:                             ;   Parent Loop BB2_47 Depth=1
                                        ;     Parent Loop BB2_1587 Depth=2
                                        ; =>    This Loop Header: Depth=3
                                        ;         Child Loop BB2_3888 Depth 4
                                        ;         Child Loop BB2_3916 Depth 4
                                        ;         Child Loop BB2_3935 Depth 4
	v_sub_u32_e32 v0, v48, v49
	v_min_i32_e32 v50, v50, v0
	v_and_b32_e32 v0, 12, v61
	v_cmp_ne_u32_e32 vcc, 0, v0
	s_and_saveexec_b64 s[92:93], vcc
	s_cbranch_execz .LBB2_3908
; %bb.3883:                             ;   in Loop: Header=BB2_3882 Depth=3
	v_and_b32_e32 v0, 8, v61
	s_waitcnt lgkmcnt(0)
	v_add_co_u32_e32 v1, vcc, v26, v0
	v_addc_co_u32_e32 v2, vcc, 0, v27, vcc
	v_add_co_u32_e32 v8, vcc, 2, v38
	v_addc_co_u32_e32 v9, vcc, 0, v39, vcc
	v_cmp_lt_u64_e32 vcc, v[1:2], v[8:9]
	s_and_saveexec_b64 s[94:95], vcc
	s_cbranch_execz .LBB2_3895
; %bb.3884:                             ;   in Loop: Header=BB2_3882 Depth=3
	v_and_b32_e32 v1, 64, v61
	s_mov_b32 s44, 0
	v_cmp_eq_u32_e32 vcc, 0, v1
	s_mov_b64 s[30:31], 0
                                        ; implicit-def: $sgpr34_sgpr35
                                        ; implicit-def: $sgpr36_sgpr37
                                        ; implicit-def: $sgpr38_sgpr39
	s_branch .LBB2_3888
.LBB2_3885:                             ;   in Loop: Header=BB2_3888 Depth=4
	s_waitcnt vmcnt(0) lgkmcnt(0)
	v_add_co_u32_e64 v2, s[28:29], v26, v0
	v_addc_co_u32_e64 v3, s[28:29], 0, v27, s[28:29]
	v_cmp_ge_u64_e64 s[28:29], v[2:3], v[8:9]
	s_or_b64 s[52:53], s[52:53], exec
	s_orn2_b64 s[50:51], s[28:29], exec
.LBB2_3886:                             ;   in Loop: Header=BB2_3888 Depth=4
	s_or_b64 exec, exec, s[64:65]
	s_andn2_b64 s[28:29], s[38:39], exec
	s_and_b64 s[38:39], s[52:53], exec
	s_or_b64 s[38:39], s[28:29], s[38:39]
	s_andn2_b64 s[28:29], s[36:37], exec
	s_and_b64 s[36:37], s[50:51], exec
	s_or_b64 s[36:37], s[28:29], s[36:37]
.LBB2_3887:                             ;   in Loop: Header=BB2_3888 Depth=4
	s_or_b64 exec, exec, s[48:49]
	s_and_b64 s[28:29], exec, s[36:37]
	s_or_b64 s[30:31], s[28:29], s[30:31]
	s_andn2_b64 s[28:29], s[34:35], exec
	s_and_b64 s[34:35], s[38:39], exec
	s_or_b64 s[34:35], s[28:29], s[34:35]
	s_andn2_b64 exec, exec, s[30:31]
	s_cbranch_execz .LBB2_3892
.LBB2_3888:                             ;   Parent Loop BB2_47 Depth=1
                                        ;     Parent Loop BB2_1587 Depth=2
                                        ;       Parent Loop BB2_3882 Depth=3
                                        ; =>      This Inner Loop Header: Depth=4
	s_sleep 1
	s_waitcnt vmcnt(0) lgkmcnt(0)
	flat_load_dwordx2 v[26:27], v[20:21] glc
	s_or_b64 s[38:39], s[38:39], exec
	s_or_b64 s[36:37], s[36:37], exec
                                        ; implicit-def: $vgpr1
	s_and_saveexec_b64 s[48:49], vcc
	s_cbranch_execz .LBB2_3887
; %bb.3889:                             ;   in Loop: Header=BB2_3888 Depth=4
	s_cmpk_lt_i32 s44, 0x270f
	s_cselect_b64 s[54:55], -1, 0
	s_cmpk_gt_i32 s44, 0x270e
	s_mov_b64 s[50:51], -1
	s_cbranch_scc0 .LBB2_3891
; %bb.3890:                             ;   in Loop: Header=BB2_3888 Depth=4
	s_trap 2
	ds_read_b64 v[1:2], v0
	s_andn2_b64 s[54:55], s[54:55], exec
	s_mov_b32 s44, 0
	s_mov_b64 s[52:53], 0
	s_waitcnt vmcnt(0) lgkmcnt(0)
	flat_load_dword v1, v[1:2] glc
	s_waitcnt vmcnt(0) lgkmcnt(0)
	buffer_wbinvl1_vol
	v_cmp_eq_u32_e64 s[28:29], 0, v1
	s_and_b64 s[28:29], s[28:29], exec
	s_or_b64 s[54:55], s[54:55], s[28:29]
	s_and_saveexec_b64 s[64:65], s[54:55]
	s_cbranch_execz .LBB2_3886
	s_branch .LBB2_3885
.LBB2_3891:                             ;   in Loop: Header=BB2_3888 Depth=4
	s_add_i32 s44, s44, 1
	s_mov_b64 s[52:53], -1
                                        ; implicit-def: $vgpr1
	s_and_saveexec_b64 s[64:65], s[54:55]
	s_cbranch_execz .LBB2_3886
	s_branch .LBB2_3885
.LBB2_3892:                             ;   in Loop: Header=BB2_3882 Depth=3
	s_or_b64 exec, exec, s[30:31]
	s_xor_b64 s[28:29], s[34:35], -1
	s_and_saveexec_b64 s[44:45], s[28:29]
	s_xor_b64 s[28:29], exec, s[44:45]
	s_cbranch_execz .LBB2_3894
; %bb.3893:                             ;   in Loop: Header=BB2_3882 Depth=3
	v_or_b32_e32 v61, 64, v61
	s_waitcnt lgkmcnt(0)
	ds_write_b32 v0, v1
	s_trap 2
.LBB2_3894:                             ;   in Loop: Header=BB2_3882 Depth=3
	s_or_b64 exec, exec, s[28:29]
.LBB2_3895:                             ;   in Loop: Header=BB2_3882 Depth=3
	s_or_b64 exec, exec, s[94:95]
	v_and_b32_e32 v1, 0x108, v61
	v_cmp_ne_u32_e32 vcc, s46, v1
	;;#ASMSTART
	s_wakeup
	;;#ASMEND
                                        ; implicit-def: $vgpr10_vgpr11
	s_and_saveexec_b64 s[28:29], vcc
	s_xor_b64 s[28:29], exec, s[28:29]
; %bb.3896:                             ;   in Loop: Header=BB2_3882 Depth=3
	v_and_b32_e32 v10, 7, v38
	v_mov_b32_e32 v11, v29
                                        ; implicit-def: $vgpr38_vgpr39
; %bb.3897:                             ;   in Loop: Header=BB2_3882 Depth=3
	s_andn2_saveexec_b64 s[28:29], s[28:29]
	s_cbranch_execz .LBB2_3899
; %bb.3898:                             ;   in Loop: Header=BB2_3882 Depth=3
	buffer_load_dword v22, off, s[0:3], s33 offset:80 ; 4-byte Folded Reload
	buffer_load_dword v23, off, s[0:3], s33 offset:84 ; 4-byte Folded Reload
	;; [unrolled: 1-line block ×4, first 2 shown]
	v_and_b32_e32 v10, 7, v38
	v_mov_b32_e32 v11, v29
	v_ashrrev_i32_e32 v51, 31, v50
	s_waitcnt vmcnt(0)
	v_mad_u64_u32 v[1:2], s[44:45], v10, 24, v[22:23]
	flat_store_dwordx2 v[1:2], v[50:51] offset:8
.LBB2_3899:                             ;   in Loop: Header=BB2_3882 Depth=3
	s_or_b64 exec, exec, s[28:29]
	v_and_b32_e32 v1, 0x100, v61
	v_cmp_ne_u32_e32 vcc, 0, v1
	s_mov_b64 s[28:29], -1
                                        ; implicit-def: $vgpr38_vgpr39
	s_and_saveexec_b64 s[94:95], vcc
	s_cbranch_execz .LBB2_3903
; %bb.3900:                             ;   in Loop: Header=BB2_3882 Depth=3
	buffer_load_dword v22, off, s[0:3], s33 offset:80 ; 4-byte Folded Reload
	buffer_load_dword v23, off, s[0:3], s33 offset:84 ; 4-byte Folded Reload
	;; [unrolled: 1-line block ×4, first 2 shown]
                                        ; implicit-def: $vgpr38_vgpr39
	s_waitcnt vmcnt(0)
	v_mad_u64_u32 v[51:52], s[28:29], v10, 24, v[22:23]
	v_mov_b32_e32 v1, v52
	v_mad_u64_u32 v[1:2], s[28:29], v11, 24, v[1:2]
	v_mov_b32_e32 v52, v1
	flat_load_dword v1, v[51:52]
	s_waitcnt vmcnt(0) lgkmcnt(0)
	v_cmp_ne_u32_e32 vcc, 1, v1
	v_cmp_eq_u32_e64 s[28:29], 1, v1
	s_and_saveexec_b64 s[30:31], s[28:29]
	s_cbranch_execz .LBB2_3902
; %bb.3901:                             ;   in Loop: Header=BB2_3882 Depth=3
	flat_load_dword v38, v[51:52] offset:4 glc
	s_waitcnt vmcnt(0) lgkmcnt(0)
	v_ashrrev_i32_e32 v39, 31, v38
.LBB2_3902:                             ;   in Loop: Header=BB2_3882 Depth=3
	s_or_b64 exec, exec, s[30:31]
	s_orn2_b64 s[28:29], vcc, exec
.LBB2_3903:                             ;   in Loop: Header=BB2_3882 Depth=3
	s_or_b64 exec, exec, s[94:95]
	s_and_saveexec_b64 s[94:95], s[28:29]
	s_cbranch_execz .LBB2_3905
; %bb.3904:                             ;   in Loop: Header=BB2_3882 Depth=3
	buffer_load_dword v3, off, s[0:3], s33 offset:104 ; 4-byte Folded Reload
	buffer_load_dword v2, off, s[0:3], s33 offset:124 ; 4-byte Folded Reload
	s_waitcnt vmcnt(0)
	v_mul_lo_u32 v1, v11, v3
	v_mul_lo_u32 v2, v10, v2
	v_mad_u64_u32 v[38:39], s[28:29], v10, v3, 0
	v_add3_u32 v39, v39, v2, v1
.LBB2_3905:                             ;   in Loop: Header=BB2_3882 Depth=3
	s_or_b64 exec, exec, s[94:95]
	v_cmp_eq_u32_e32 vcc, 0, v0
	v_mov_b32_e32 v0, 0xc8
	v_mov_b32_e32 v1, 0x90
	v_cndmask_b32_e32 v2, v0, v1, vcc
	buffer_load_dword v0, off, s[0:3], s33 offset:72 ; 4-byte Folded Reload
	buffer_load_dword v1, off, s[0:3], s33 offset:76 ; 4-byte Folded Reload
	s_waitcnt vmcnt(0)
	v_add_co_u32_e32 v0, vcc, v0, v38
	v_addc_co_u32_e32 v1, vcc, v1, v39, vcc
	v_add_u32_e32 v2, v0, v2
	ds_write_b64 v2, v[0:1] offset:584
	v_and_b32_e32 v0, 0x2000, v61
	v_cmp_ne_u32_e32 vcc, 0, v0
	s_and_saveexec_b64 s[28:29], vcc
	s_cbranch_execz .LBB2_3907
; %bb.3906:                             ;   in Loop: Header=BB2_3882 Depth=3
	ds_read_b64 v[0:1], v0 offset:872
	s_waitcnt lgkmcnt(0)
	v_add_co_u32_e32 v0, vcc, 1, v0
	v_addc_co_u32_e32 v1, vcc, 0, v1, vcc
	ds_write_b64 v0, v[0:1] offset:872
.LBB2_3907:                             ;   in Loop: Header=BB2_3882 Depth=3
	s_or_b64 exec, exec, s[28:29]
	v_mov_b32_e32 v39, v9
	v_mov_b32_e32 v38, v8
.LBB2_3908:                             ;   in Loop: Header=BB2_3882 Depth=3
	s_or_b64 exec, exec, s[92:93]
	s_xor_b64 s[28:29], s[90:91], -1
	s_and_b64 s[28:29], exec, s[28:29]
	s_or_b64 s[42:43], s[28:29], s[42:43]
	s_and_saveexec_b64 s[28:29], s[12:13]
	s_cbranch_execz .LBB2_3927
; %bb.3909:                             ;   in Loop: Header=BB2_3882 Depth=3
	s_and_saveexec_b64 s[44:45], s[58:59]
	s_xor_b64 s[90:91], exec, s[44:45]
	s_cbranch_execz .LBB2_3924
; %bb.3910:                             ;   in Loop: Header=BB2_3882 Depth=3
	s_and_saveexec_b64 s[92:93], s[6:7]
	s_cbranch_execz .LBB2_3923
; %bb.3911:                             ;   in Loop: Header=BB2_3882 Depth=3
	s_mov_b64 s[30:31], exec
	v_mbcnt_lo_u32_b32 v0, s30, 0
	v_mbcnt_hi_u32_b32 v0, s31, v0
	v_cmp_eq_u32_e32 vcc, 0, v0
	s_waitcnt vmcnt(0) lgkmcnt(0)
	buffer_wbinvl1_vol
	s_and_saveexec_b64 s[94:95], vcc
	s_cbranch_execz .LBB2_3913
; %bb.3912:                             ;   in Loop: Header=BB2_3882 Depth=3
	s_bcnt1_i32_b64 s44, s[30:31]
	v_mov_b32_e32 v0, s44
	v_mov_b32_e32 v1, v29
	ds_add_u64 v0, v[0:1]
	s_trap 2
.LBB2_3913:                             ;   in Loop: Header=BB2_3882 Depth=3
	s_or_b64 exec, exec, s[94:95]
	s_trap 2
	ds_read_b64 v[0:1], v0
	s_waitcnt lgkmcnt(0)
	v_add_co_u32_e32 v12, vcc, v12, v14
	v_addc_co_u32_e32 v13, vcc, 0, v13, vcc
	v_cmp_lt_u64_e32 vcc, v[0:1], v[12:13]
	s_and_saveexec_b64 s[94:95], vcc
	s_cbranch_execz .LBB2_3922
; %bb.3914:                             ;   in Loop: Header=BB2_3882 Depth=3
	s_mov_b32 s44, 0
	s_mov_b64 s[30:31], 0
                                        ; implicit-def: $sgpr34_sgpr35
                                        ; implicit-def: $sgpr36_sgpr37
	s_branch .LBB2_3916
.LBB2_3915:                             ;   in Loop: Header=BB2_3916 Depth=4
	s_or_b64 exec, exec, s[48:49]
	s_and_b64 vcc, exec, vcc
	s_or_b64 s[30:31], vcc, s[30:31]
	s_andn2_b64 vcc, s[34:35], exec
	s_and_b64 s[34:35], s[36:37], exec
	s_or_b64 s[34:35], vcc, s[34:35]
	s_andn2_b64 exec, exec, s[30:31]
	s_cbranch_execz .LBB2_3920
.LBB2_3916:                             ;   Parent Loop BB2_47 Depth=1
                                        ;     Parent Loop BB2_1587 Depth=2
                                        ;       Parent Loop BB2_3882 Depth=3
                                        ; =>      This Inner Loop Header: Depth=4
	s_add_i32 s44, s44, 1
	s_cmpk_lg_i32 s44, 0x2710
	s_cselect_b64 s[38:39], -1, 0
	s_and_b64 vcc, exec, s[38:39]
	s_cbranch_vccz .LBB2_3918
; %bb.3917:                             ;   in Loop: Header=BB2_3916 Depth=4
	s_mov_b64 vcc, -1
	s_or_b64 s[36:37], s[36:37], exec
	s_and_saveexec_b64 s[48:49], s[38:39]
	s_cbranch_execz .LBB2_3915
	s_branch .LBB2_3919
.LBB2_3918:                             ;   in Loop: Header=BB2_3916 Depth=4
	s_trap 2
	ds_read_b64 v[0:1], v0
	s_andn2_b64 s[38:39], s[38:39], exec
	s_mov_b32 s44, 0
	s_waitcnt lgkmcnt(0)
	flat_load_dword v0, v[0:1] glc
	s_waitcnt vmcnt(0) lgkmcnt(0)
	buffer_wbinvl1_vol
	v_cmp_eq_u32_e32 vcc, 0, v0
	s_and_b64 vcc, vcc, exec
	s_or_b64 s[38:39], s[38:39], vcc
	s_mov_b64 vcc, -1
	s_or_b64 s[36:37], s[36:37], exec
	s_and_saveexec_b64 s[48:49], s[38:39]
	s_cbranch_execz .LBB2_3915
.LBB2_3919:                             ;   in Loop: Header=BB2_3916 Depth=4
	s_sleep 1
	s_trap 2
	ds_read_b64 v[0:1], v0
	s_waitcnt lgkmcnt(0)
	s_andn2_b64 s[36:37], s[36:37], exec
	v_cmp_ge_u64_e32 vcc, v[0:1], v[12:13]
	s_orn2_b64 vcc, vcc, exec
	s_branch .LBB2_3915
.LBB2_3920:                             ;   in Loop: Header=BB2_3882 Depth=3
	s_or_b64 exec, exec, s[30:31]
	s_and_saveexec_b64 s[44:45], s[34:35]
	s_xor_b64 s[44:45], exec, s[44:45]
	s_cbranch_execz .LBB2_3922
; %bb.3921:                             ;   in Loop: Header=BB2_3882 Depth=3
	v_mov_b32_e32 v0, 1
	ds_write_b32 v0, v0
	s_trap 2
.LBB2_3922:                             ;   in Loop: Header=BB2_3882 Depth=3
	s_or_b64 exec, exec, s[94:95]
	;;#ASMSTART
	s_wakeup
	;;#ASMEND
.LBB2_3923:                             ;   in Loop: Header=BB2_3882 Depth=3
	s_or_b64 exec, exec, s[92:93]
.LBB2_3924:                             ;   in Loop: Header=BB2_3882 Depth=3
	s_andn2_saveexec_b64 s[90:91], s[90:91]
	s_cbranch_execz .LBB2_3926
; %bb.3925:                             ;   in Loop: Header=BB2_3882 Depth=3
	s_waitcnt vmcnt(0) lgkmcnt(0)
	buffer_wbinvl1_vol
	s_barrier
.LBB2_3926:                             ;   in Loop: Header=BB2_3882 Depth=3
	s_or_b64 exec, exec, s[90:91]
.LBB2_3927:                             ;   in Loop: Header=BB2_3882 Depth=3
	s_or_b64 exec, exec, s[28:29]
                                        ; implicit-def: $vgpr0
	s_and_saveexec_b64 s[28:29], s[72:73]
	s_xor_b64 s[28:29], exec, s[28:29]
	s_cbranch_execz .LBB2_3939
; %bb.3928:                             ;   in Loop: Header=BB2_3882 Depth=3
	s_and_saveexec_b64 s[44:45], s[58:59]
	s_xor_b64 s[90:91], exec, s[44:45]
	s_cbranch_execz .LBB2_3944
; %bb.3929:                             ;   in Loop: Header=BB2_3882 Depth=3
	s_and_saveexec_b64 s[92:93], s[6:7]
	s_cbranch_execz .LBB2_3943
; %bb.3930:                             ;   in Loop: Header=BB2_3882 Depth=3
	s_mov_b64 s[30:31], exec
	v_mbcnt_lo_u32_b32 v0, s30, 0
	v_mbcnt_hi_u32_b32 v0, s31, v0
	v_cmp_eq_u32_e32 vcc, 0, v0
	;;#ASMSTART
	s_waitcnt lgkmcnt(0) vmcnt(0)
	;;#ASMEND
	s_and_saveexec_b64 s[94:95], vcc
	s_cbranch_execz .LBB2_3932
; %bb.3931:                             ;   in Loop: Header=BB2_3882 Depth=3
	s_bcnt1_i32_b64 s44, s[30:31]
	v_mov_b32_e32 v0, s44
	v_mov_b32_e32 v1, v29
	s_waitcnt lgkmcnt(0)
	ds_add_u64 v0, v[0:1]
	s_trap 2
.LBB2_3932:                             ;   in Loop: Header=BB2_3882 Depth=3
	s_or_b64 exec, exec, s[94:95]
	s_trap 2
	ds_read_b64 v[0:1], v0
	s_waitcnt lgkmcnt(0)
	v_add_co_u32_e32 v12, vcc, v12, v14
	v_addc_co_u32_e32 v13, vcc, 0, v13, vcc
	v_cmp_lt_u64_e32 vcc, v[0:1], v[12:13]
	s_and_saveexec_b64 s[94:95], vcc
	s_cbranch_execz .LBB2_3942
; %bb.3933:                             ;   in Loop: Header=BB2_3882 Depth=3
	s_mov_b32 s44, 0
	s_mov_b64 s[30:31], 0
                                        ; implicit-def: $sgpr34_sgpr35
                                        ; implicit-def: $sgpr36_sgpr37
	s_branch .LBB2_3935
.LBB2_3934:                             ;   in Loop: Header=BB2_3935 Depth=4
	s_or_b64 exec, exec, s[48:49]
	s_and_b64 vcc, exec, vcc
	s_or_b64 s[30:31], vcc, s[30:31]
	s_andn2_b64 vcc, s[34:35], exec
	s_and_b64 s[34:35], s[36:37], exec
	s_or_b64 s[34:35], vcc, s[34:35]
	s_andn2_b64 exec, exec, s[30:31]
	s_cbranch_execz .LBB2_3940
.LBB2_3935:                             ;   Parent Loop BB2_47 Depth=1
                                        ;     Parent Loop BB2_1587 Depth=2
                                        ;       Parent Loop BB2_3882 Depth=3
                                        ; =>      This Inner Loop Header: Depth=4
	s_add_i32 s44, s44, 1
	s_cmpk_lg_i32 s44, 0x2710
	s_cselect_b64 s[38:39], -1, 0
	s_and_b64 vcc, exec, s[38:39]
	s_cbranch_vccz .LBB2_3937
; %bb.3936:                             ;   in Loop: Header=BB2_3935 Depth=4
	s_mov_b64 vcc, -1
	s_or_b64 s[36:37], s[36:37], exec
	s_and_saveexec_b64 s[48:49], s[38:39]
	s_cbranch_execz .LBB2_3934
	s_branch .LBB2_3938
.LBB2_3937:                             ;   in Loop: Header=BB2_3935 Depth=4
	s_trap 2
	ds_read_b64 v[0:1], v0
	s_andn2_b64 s[38:39], s[38:39], exec
	s_mov_b32 s44, 0
	s_waitcnt vmcnt(0) lgkmcnt(0)
	flat_load_dword v0, v[0:1] glc
	s_waitcnt vmcnt(0) lgkmcnt(0)
	buffer_wbinvl1_vol
	v_cmp_eq_u32_e32 vcc, 0, v0
	s_and_b64 vcc, vcc, exec
	s_or_b64 s[38:39], s[38:39], vcc
	s_mov_b64 vcc, -1
	s_or_b64 s[36:37], s[36:37], exec
	s_and_saveexec_b64 s[48:49], s[38:39]
	s_cbranch_execz .LBB2_3934
.LBB2_3938:                             ;   in Loop: Header=BB2_3935 Depth=4
	s_sleep 1
	s_trap 2
	ds_read_b64 v[0:1], v0
	s_waitcnt lgkmcnt(0)
	s_andn2_b64 s[36:37], s[36:37], exec
	v_cmp_ge_u64_e32 vcc, v[0:1], v[12:13]
	s_orn2_b64 vcc, vcc, exec
	s_branch .LBB2_3934
.LBB2_3939:                             ;   in Loop: Header=BB2_3882 Depth=3
	s_andn2_saveexec_b64 s[28:29], s[28:29]
	s_cbranch_execnz .LBB2_3947
	s_branch .LBB2_3950
.LBB2_3940:                             ;   in Loop: Header=BB2_3882 Depth=3
	s_or_b64 exec, exec, s[30:31]
	s_and_saveexec_b64 s[44:45], s[34:35]
	s_xor_b64 s[44:45], exec, s[44:45]
	s_cbranch_execz .LBB2_3942
; %bb.3941:                             ;   in Loop: Header=BB2_3882 Depth=3
	v_mov_b32_e32 v0, 1
	ds_write_b32 v0, v0
	s_trap 2
.LBB2_3942:                             ;   in Loop: Header=BB2_3882 Depth=3
	s_or_b64 exec, exec, s[94:95]
	;;#ASMSTART
	s_wakeup
	;;#ASMEND
.LBB2_3943:                             ;   in Loop: Header=BB2_3882 Depth=3
	s_or_b64 exec, exec, s[92:93]
.LBB2_3944:                             ;   in Loop: Header=BB2_3882 Depth=3
	s_andn2_saveexec_b64 s[90:91], s[90:91]
	s_cbranch_execz .LBB2_3946
; %bb.3945:                             ;   in Loop: Header=BB2_3882 Depth=3
	;;#ASMSTART
	s_waitcnt lgkmcnt(0) vmcnt(0)
	;;#ASMEND
	s_waitcnt vmcnt(0) lgkmcnt(0)
	s_barrier
.LBB2_3946:                             ;   in Loop: Header=BB2_3882 Depth=3
	s_or_b64 exec, exec, s[90:91]
	v_and_b32_e32 v0, 16, v61
	s_andn2_saveexec_b64 s[28:29], s[28:29]
	s_cbranch_execz .LBB2_3950
.LBB2_3947:                             ;   in Loop: Header=BB2_3882 Depth=3
	s_trap 2
	ds_read_b32 v0, v0
	v_cmp_lt_i32_e32 vcc, 0, v50
	v_and_b32_e32 v1, 16, v61
	s_waitcnt lgkmcnt(0)
	v_readfirstlane_b32 s44, v0
	s_cmp_eq_u32 s44, 0
	s_cselect_b64 s[44:45], -1, 0
	s_and_b64 s[44:45], vcc, s[44:45]
	v_cmp_ne_u32_e32 vcc, 0, v1
	v_and_b32_e32 v0, 16, v61
	s_and_b64 s[44:45], vcc, s[44:45]
	s_and_saveexec_b64 s[90:91], s[44:45]
	s_cbranch_execz .LBB2_3949
; %bb.3948:                             ;   in Loop: Header=BB2_3882 Depth=3
	v_mov_b32_e32 v0, 1
	s_waitcnt vmcnt(0)
	buffer_wbinvl1_vol
.LBB2_3949:                             ;   in Loop: Header=BB2_3882 Depth=3
	s_or_b64 exec, exec, s[90:91]
.LBB2_3950:                             ;   in Loop: Header=BB2_3882 Depth=3
	s_or_b64 exec, exec, s[28:29]
	v_cmp_ne_u32_e32 vcc, 0, v0
	s_xor_b64 s[28:29], s[20:21], -1
	s_and_b64 s[44:45], vcc, s[28:29]
	s_and_saveexec_b64 s[28:29], s[44:45]
	s_cbranch_execz .LBB2_3952
; %bb.3951:                             ;   in Loop: Header=BB2_3882 Depth=3
	buffer_load_dword v0, off, s[0:3], s33 offset:96 ; 4-byte Folded Reload
	buffer_load_dword v1, off, s[0:3], s33 offset:100 ; 4-byte Folded Reload
	v_mov_b32_e32 v2, 1
	s_waitcnt vmcnt(0)
	flat_store_dword v[0:1], v2
.LBB2_3952:                             ;   in Loop: Header=BB2_3882 Depth=3
	s_or_b64 exec, exec, s[28:29]
	v_and_b32_e32 v0, 48, v61
	v_cmp_ne_u32_e32 vcc, 0, v0
	s_and_saveexec_b64 s[28:29], vcc
	s_cbranch_execz .LBB2_3881
; %bb.3953:                             ;   in Loop: Header=BB2_3882 Depth=3
	v_add_co_u32_e32 v38, vcc, 2, v38
	v_addc_co_u32_e32 v39, vcc, 0, v39, vcc
	flat_store_dwordx2 v[20:21], v[38:39]
	s_branch .LBB2_3881
.LBB2_3954:                             ;   in Loop: Header=BB2_47 Depth=1
	buffer_load_dword v2, off, s[0:3], s33 offset:188 ; 4-byte Folded Reload
	buffer_load_dword v3, off, s[0:3], s33 offset:192 ; 4-byte Folded Reload
	v_mov_b32_e32 v59, 0
	s_waitcnt vmcnt(0)
	v_mul_lo_u32 v1, v2, s67
	v_mul_lo_u32 v0, v3, s66
	v_mad_u64_u32 v[8:9], s[28:29], v2, s66, 0
	v_add3_u32 v9, v9, v1, v0
	buffer_load_dword v0, off, s[0:3], s33 offset:180 ; 4-byte Folded Reload
	buffer_load_dword v1, off, s[0:3], s33 offset:184 ; 4-byte Folded Reload
	s_waitcnt vmcnt(0)
	v_sub_co_u32_e32 v0, vcc, v0, v8
	v_subb_co_u32_e32 v1, vcc, v1, v9, vcc
	v_cmp_lt_i64_e32 vcc, v[2:3], v[0:1]
	v_cndmask_b32_e32 v1, v0, v2, vcc
	v_max_i32_e32 v60, 0, v1
	v_add_u32_e32 v2, 31, v60
	v_lshrrev_b32_e32 v2, 1, v2
	v_and_b32_e32 v2, 0x3ffffff0, v2
	v_cmp_lt_i32_e32 vcc, 0, v1
	v_mov_b32_e32 v0, 0
	v_max_i32_e32 v50, s81, v2
	s_and_b64 s[28:29], s[74:75], vcc
	s_and_saveexec_b64 s[90:91], s[28:29]
	s_cbranch_execz .LBB2_8428
; %bb.3955:                             ;   in Loop: Header=BB2_47 Depth=1
	buffer_load_dword v0, off, s[0:3], s33 offset:132 ; 4-byte Folded Reload
	s_mov_b32 s47, 1
	s_mov_b64 s[94:95], -1
	v_mov_b32_e32 v59, 0
	s_mov_b64 s[92:93], 0
	s_waitcnt vmcnt(0)
	v_add_co_u32_e32 v0, vcc, v8, v0
	buffer_store_dword v0, off, s[0:3], s33 offset:164 ; 4-byte Folded Spill
	buffer_load_dword v0, off, s[0:3], s33 offset:136 ; 4-byte Folded Reload
	s_waitcnt vmcnt(0)
	v_addc_co_u32_e32 v0, vcc, v9, v0, vcc
	buffer_store_dword v0, off, s[0:3], s33 offset:168 ; 4-byte Folded Spill
	s_branch .LBB2_3957
.LBB2_3956:                             ;   in Loop: Header=BB2_3957 Depth=2
	s_or_b64 exec, exec, s[28:29]
	v_add_u32_e32 v59, v50, v59
	v_cmp_ge_i32_e32 vcc, v59, v60
	s_xor_b64 s[28:29], s[94:95], -1
	s_or_b64 s[28:29], s[28:29], vcc
	s_and_b64 s[28:29], exec, s[28:29]
	s_or_b64 s[92:93], s[28:29], s[92:93]
	s_mov_b64 s[94:95], 0
	v_mov_b32_e32 v0, s47
	s_mov_b32 s47, 2
	s_andn2_b64 exec, exec, s[92:93]
	s_cbranch_execz .LBB2_8503
.LBB2_3957:                             ;   Parent Loop BB2_47 Depth=1
                                        ; =>  This Loop Header: Depth=2
                                        ;       Child Loop BB2_3965 Depth 3
                                        ;       Child Loop BB2_3993 Depth 3
	;; [unrolled: 1-line block ×4, first 2 shown]
                                        ;         Child Loop BB2_4824 Depth 4
                                        ;       Child Loop BB2_4850 Depth 3
                                        ;         Child Loop BB2_5639 Depth 4
                                        ;       Child Loop BB2_5667 Depth 3
                                        ;       Child Loop BB2_6140 Depth 3
                                        ;         Child Loop BB2_6204 Depth 4
                                        ;       Child Loop BB2_6217 Depth 3
                                        ;       Child Loop BB2_7030 Depth 3
	;; [unrolled: 1-line block ×6, first 2 shown]
	s_and_saveexec_b64 s[28:29], s[4:5]
	s_cbranch_execz .LBB2_3959
; %bb.3958:                             ;   in Loop: Header=BB2_3957 Depth=2
	s_trap 2
	buffer_load_dword v6, off, s[0:3], s33 offset:164 ; 4-byte Folded Reload
	buffer_load_dword v7, off, s[0:3], s33 offset:168 ; 4-byte Folded Reload
	s_waitcnt vmcnt(0)
	ds_read2_b64 v[0:3], v0 offset1:1
	v_ashrrev_i32_e32 v5, 31, v59
	s_waitcnt vmcnt(0) lgkmcnt(0)
	v_add_co_u32_e32 v0, vcc, v0, v6
	v_addc_co_u32_e32 v1, vcc, v1, v7, vcc
	v_add_co_u32_e32 v0, vcc, v0, v59
	v_addc_co_u32_e32 v1, vcc, v1, v5, vcc
	ds_write_b64 v0, v[0:1]
	v_add_co_u32_e32 v0, vcc, v2, v6
	v_addc_co_u32_e32 v1, vcc, v3, v7, vcc
	v_add_co_u32_e32 v0, vcc, v0, v59
	v_addc_co_u32_e32 v1, vcc, v1, v5, vcc
	ds_write_b64 v0, v[0:1]
	ds_read_b64 v[0:1], v0
	s_waitcnt lgkmcnt(0)
	v_add_co_u32_e32 v2, vcc, v0, v6
	v_addc_co_u32_e32 v3, vcc, v1, v7, vcc
	v_add_co_u32_e32 v2, vcc, v2, v59
	v_addc_co_u32_e32 v3, vcc, v3, v5, vcc
	v_cmp_ne_u64_e32 vcc, 0, v[0:1]
	v_cndmask_b32_e32 v1, 0, v3, vcc
	v_cndmask_b32_e32 v0, 0, v2, vcc
	ds_write_b64 v0, v[0:1]
.LBB2_3959:                             ;   in Loop: Header=BB2_3957 Depth=2
	s_or_b64 exec, exec, s[28:29]
	v_sub_u32_e32 v0, v60, v59
	v_min_i32_e32 v50, v50, v0
	v_and_b32_e32 v0, 12, v61
	v_cmp_ne_u32_e32 vcc, 0, v0
	s_and_saveexec_b64 s[40:41], vcc
	s_cbranch_execz .LBB2_3985
; %bb.3960:                             ;   in Loop: Header=BB2_3957 Depth=2
	v_and_b32_e32 v0, 8, v61
	s_waitcnt vmcnt(0) lgkmcnt(0)
	v_add_co_u32_e32 v1, vcc, v26, v0
	v_addc_co_u32_e32 v2, vcc, 0, v27, vcc
	v_add_co_u32_e32 v8, vcc, 2, v38
	v_addc_co_u32_e32 v9, vcc, 0, v39, vcc
	v_cmp_lt_u64_e32 vcc, v[1:2], v[8:9]
	s_and_saveexec_b64 s[42:43], vcc
	s_cbranch_execz .LBB2_3972
; %bb.3961:                             ;   in Loop: Header=BB2_3957 Depth=2
	v_and_b32_e32 v1, 64, v61
	s_mov_b32 s44, 0
	v_cmp_eq_u32_e32 vcc, 0, v1
	s_mov_b64 s[30:31], 0
                                        ; implicit-def: $sgpr34_sgpr35
                                        ; implicit-def: $sgpr36_sgpr37
                                        ; implicit-def: $sgpr38_sgpr39
	s_branch .LBB2_3965
.LBB2_3962:                             ;   in Loop: Header=BB2_3965 Depth=3
	s_waitcnt vmcnt(0) lgkmcnt(0)
	v_add_co_u32_e64 v2, s[28:29], v26, v0
	v_addc_co_u32_e64 v3, s[28:29], 0, v27, s[28:29]
	v_cmp_ge_u64_e64 s[28:29], v[2:3], v[8:9]
	s_or_b64 s[52:53], s[52:53], exec
	s_orn2_b64 s[50:51], s[28:29], exec
.LBB2_3963:                             ;   in Loop: Header=BB2_3965 Depth=3
	s_or_b64 exec, exec, s[64:65]
	s_andn2_b64 s[28:29], s[38:39], exec
	s_and_b64 s[38:39], s[52:53], exec
	s_or_b64 s[38:39], s[28:29], s[38:39]
	s_andn2_b64 s[28:29], s[36:37], exec
	s_and_b64 s[36:37], s[50:51], exec
	s_or_b64 s[36:37], s[28:29], s[36:37]
.LBB2_3964:                             ;   in Loop: Header=BB2_3965 Depth=3
	s_or_b64 exec, exec, s[48:49]
	s_and_b64 s[28:29], exec, s[36:37]
	s_or_b64 s[30:31], s[28:29], s[30:31]
	s_andn2_b64 s[28:29], s[34:35], exec
	s_and_b64 s[34:35], s[38:39], exec
	s_or_b64 s[34:35], s[28:29], s[34:35]
	s_andn2_b64 exec, exec, s[30:31]
	s_cbranch_execz .LBB2_3969
.LBB2_3965:                             ;   Parent Loop BB2_47 Depth=1
                                        ;     Parent Loop BB2_3957 Depth=2
                                        ; =>    This Inner Loop Header: Depth=3
	s_sleep 1
	s_waitcnt vmcnt(0) lgkmcnt(0)
	flat_load_dwordx2 v[26:27], v[20:21] glc
	s_or_b64 s[38:39], s[38:39], exec
	s_or_b64 s[36:37], s[36:37], exec
                                        ; implicit-def: $vgpr1
	s_and_saveexec_b64 s[48:49], vcc
	s_cbranch_execz .LBB2_3964
; %bb.3966:                             ;   in Loop: Header=BB2_3965 Depth=3
	s_cmpk_lt_i32 s44, 0x270f
	s_cselect_b64 s[54:55], -1, 0
	s_cmpk_gt_i32 s44, 0x270e
	s_mov_b64 s[50:51], -1
	s_cbranch_scc0 .LBB2_3968
; %bb.3967:                             ;   in Loop: Header=BB2_3965 Depth=3
	s_trap 2
	ds_read_b64 v[1:2], v0
	s_andn2_b64 s[54:55], s[54:55], exec
	s_mov_b32 s44, 0
	s_mov_b64 s[52:53], 0
	s_waitcnt vmcnt(0) lgkmcnt(0)
	flat_load_dword v1, v[1:2] glc
	s_waitcnt vmcnt(0) lgkmcnt(0)
	buffer_wbinvl1_vol
	v_cmp_eq_u32_e64 s[28:29], 0, v1
	s_and_b64 s[28:29], s[28:29], exec
	s_or_b64 s[54:55], s[54:55], s[28:29]
	s_and_saveexec_b64 s[64:65], s[54:55]
	s_cbranch_execz .LBB2_3963
	s_branch .LBB2_3962
.LBB2_3968:                             ;   in Loop: Header=BB2_3965 Depth=3
	s_add_i32 s44, s44, 1
	s_mov_b64 s[52:53], -1
                                        ; implicit-def: $vgpr1
	s_and_saveexec_b64 s[64:65], s[54:55]
	s_cbranch_execz .LBB2_3963
	s_branch .LBB2_3962
.LBB2_3969:                             ;   in Loop: Header=BB2_3957 Depth=2
	s_or_b64 exec, exec, s[30:31]
	s_xor_b64 s[28:29], s[34:35], -1
	s_and_saveexec_b64 s[44:45], s[28:29]
	s_xor_b64 s[28:29], exec, s[44:45]
	s_cbranch_execz .LBB2_3971
; %bb.3970:                             ;   in Loop: Header=BB2_3957 Depth=2
	v_or_b32_e32 v61, 64, v61
	s_waitcnt lgkmcnt(0)
	ds_write_b32 v0, v1
	s_trap 2
.LBB2_3971:                             ;   in Loop: Header=BB2_3957 Depth=2
	s_or_b64 exec, exec, s[28:29]
.LBB2_3972:                             ;   in Loop: Header=BB2_3957 Depth=2
	s_or_b64 exec, exec, s[42:43]
	v_and_b32_e32 v1, 0x108, v61
	v_cmp_ne_u32_e32 vcc, s46, v1
	;;#ASMSTART
	s_wakeup
	;;#ASMEND
                                        ; implicit-def: $vgpr10_vgpr11
	s_and_saveexec_b64 s[28:29], vcc
	s_xor_b64 s[28:29], exec, s[28:29]
; %bb.3973:                             ;   in Loop: Header=BB2_3957 Depth=2
	v_and_b32_e32 v10, 7, v38
	v_mov_b32_e32 v11, v29
                                        ; implicit-def: $vgpr38_vgpr39
; %bb.3974:                             ;   in Loop: Header=BB2_3957 Depth=2
	s_andn2_saveexec_b64 s[28:29], s[28:29]
	s_cbranch_execz .LBB2_3976
; %bb.3975:                             ;   in Loop: Header=BB2_3957 Depth=2
	buffer_load_dword v22, off, s[0:3], s33 offset:80 ; 4-byte Folded Reload
	buffer_load_dword v23, off, s[0:3], s33 offset:84 ; 4-byte Folded Reload
	;; [unrolled: 1-line block ×4, first 2 shown]
	v_and_b32_e32 v10, 7, v38
	v_mov_b32_e32 v11, v29
	v_ashrrev_i32_e32 v51, 31, v50
	s_waitcnt vmcnt(0)
	v_mad_u64_u32 v[1:2], s[42:43], v10, 24, v[22:23]
	flat_store_dwordx2 v[1:2], v[50:51] offset:8
.LBB2_3976:                             ;   in Loop: Header=BB2_3957 Depth=2
	s_or_b64 exec, exec, s[28:29]
	v_and_b32_e32 v1, 0x100, v61
	v_cmp_ne_u32_e32 vcc, 0, v1
	s_mov_b64 s[28:29], -1
                                        ; implicit-def: $vgpr38_vgpr39
	s_and_saveexec_b64 s[42:43], vcc
	s_cbranch_execz .LBB2_3980
; %bb.3977:                             ;   in Loop: Header=BB2_3957 Depth=2
	buffer_load_dword v22, off, s[0:3], s33 offset:80 ; 4-byte Folded Reload
	buffer_load_dword v23, off, s[0:3], s33 offset:84 ; 4-byte Folded Reload
	;; [unrolled: 1-line block ×4, first 2 shown]
                                        ; implicit-def: $vgpr38_vgpr39
	s_waitcnt vmcnt(0)
	v_mad_u64_u32 v[51:52], s[28:29], v10, 24, v[22:23]
	v_mov_b32_e32 v1, v52
	v_mad_u64_u32 v[1:2], s[28:29], v11, 24, v[1:2]
	v_mov_b32_e32 v52, v1
	flat_load_dword v1, v[51:52]
	s_waitcnt vmcnt(0) lgkmcnt(0)
	v_cmp_ne_u32_e32 vcc, 1, v1
	v_cmp_eq_u32_e64 s[28:29], 1, v1
	s_and_saveexec_b64 s[30:31], s[28:29]
	s_cbranch_execz .LBB2_3979
; %bb.3978:                             ;   in Loop: Header=BB2_3957 Depth=2
	flat_load_dword v38, v[51:52] offset:4 glc
	s_waitcnt vmcnt(0) lgkmcnt(0)
	v_ashrrev_i32_e32 v39, 31, v38
.LBB2_3979:                             ;   in Loop: Header=BB2_3957 Depth=2
	s_or_b64 exec, exec, s[30:31]
	s_orn2_b64 s[28:29], vcc, exec
.LBB2_3980:                             ;   in Loop: Header=BB2_3957 Depth=2
	s_or_b64 exec, exec, s[42:43]
	s_and_saveexec_b64 s[42:43], s[28:29]
	s_cbranch_execz .LBB2_3982
; %bb.3981:                             ;   in Loop: Header=BB2_3957 Depth=2
	buffer_load_dword v3, off, s[0:3], s33 offset:104 ; 4-byte Folded Reload
	buffer_load_dword v2, off, s[0:3], s33 offset:124 ; 4-byte Folded Reload
	s_waitcnt vmcnt(0)
	v_mul_lo_u32 v1, v11, v3
	v_mul_lo_u32 v2, v10, v2
	v_mad_u64_u32 v[38:39], s[28:29], v10, v3, 0
	v_add3_u32 v39, v39, v2, v1
.LBB2_3982:                             ;   in Loop: Header=BB2_3957 Depth=2
	s_or_b64 exec, exec, s[42:43]
	v_cmp_eq_u32_e32 vcc, 0, v0
	v_mov_b32_e32 v0, 0x90
	v_mov_b32_e32 v1, 0xd0
	v_cndmask_b32_e32 v2, v1, v0, vcc
	buffer_load_dword v0, off, s[0:3], s33 offset:72 ; 4-byte Folded Reload
	buffer_load_dword v1, off, s[0:3], s33 offset:76 ; 4-byte Folded Reload
	s_waitcnt vmcnt(0)
	v_add_co_u32_e32 v0, vcc, v0, v38
	v_addc_co_u32_e32 v1, vcc, v1, v39, vcc
	v_add_u32_e32 v2, v0, v2
	ds_write_b64 v2, v[0:1] offset:584
	v_and_b32_e32 v0, 0x2000, v61
	v_cmp_ne_u32_e32 vcc, 0, v0
	s_and_saveexec_b64 s[28:29], vcc
	s_cbranch_execz .LBB2_3984
; %bb.3983:                             ;   in Loop: Header=BB2_3957 Depth=2
	ds_read_b64 v[0:1], v0 offset:872
	s_waitcnt lgkmcnt(0)
	v_add_co_u32_e32 v0, vcc, 1, v0
	v_addc_co_u32_e32 v1, vcc, 0, v1, vcc
	ds_write_b64 v0, v[0:1] offset:872
.LBB2_3984:                             ;   in Loop: Header=BB2_3957 Depth=2
	s_or_b64 exec, exec, s[28:29]
	v_mov_b32_e32 v39, v9
	v_mov_b32_e32 v38, v8
.LBB2_3985:                             ;   in Loop: Header=BB2_3957 Depth=2
	s_or_b64 exec, exec, s[40:41]
	s_and_saveexec_b64 s[28:29], s[12:13]
	s_cbranch_execz .LBB2_4004
; %bb.3986:                             ;   in Loop: Header=BB2_3957 Depth=2
	s_and_saveexec_b64 s[40:41], s[58:59]
	s_xor_b64 s[40:41], exec, s[40:41]
	s_cbranch_execz .LBB2_4001
; %bb.3987:                             ;   in Loop: Header=BB2_3957 Depth=2
	s_and_saveexec_b64 s[42:43], s[6:7]
	s_cbranch_execz .LBB2_4000
; %bb.3988:                             ;   in Loop: Header=BB2_3957 Depth=2
	s_mov_b64 s[34:35], exec
	v_mbcnt_lo_u32_b32 v0, s34, 0
	v_mbcnt_hi_u32_b32 v0, s35, v0
	v_cmp_eq_u32_e32 vcc, 0, v0
	s_waitcnt vmcnt(0) lgkmcnt(0)
	buffer_wbinvl1_vol
	s_and_saveexec_b64 s[30:31], vcc
	s_cbranch_execz .LBB2_3990
; %bb.3989:                             ;   in Loop: Header=BB2_3957 Depth=2
	s_bcnt1_i32_b64 s44, s[34:35]
	v_mov_b32_e32 v0, s44
	v_mov_b32_e32 v1, v29
	ds_add_u64 v0, v[0:1]
	s_trap 2
.LBB2_3990:                             ;   in Loop: Header=BB2_3957 Depth=2
	s_or_b64 exec, exec, s[30:31]
	s_trap 2
	ds_read_b64 v[0:1], v0
	s_waitcnt lgkmcnt(0)
	v_add_co_u32_e32 v12, vcc, v12, v14
	v_addc_co_u32_e32 v13, vcc, 0, v13, vcc
	v_cmp_lt_u64_e32 vcc, v[0:1], v[12:13]
	s_and_saveexec_b64 s[30:31], vcc
	s_cbranch_execz .LBB2_3999
; %bb.3991:                             ;   in Loop: Header=BB2_3957 Depth=2
	s_mov_b32 s44, 0
	s_mov_b64 s[34:35], 0
                                        ; implicit-def: $sgpr36_sgpr37
                                        ; implicit-def: $sgpr38_sgpr39
	s_branch .LBB2_3993
.LBB2_3992:                             ;   in Loop: Header=BB2_3993 Depth=3
	s_or_b64 exec, exec, s[50:51]
	s_and_b64 vcc, exec, vcc
	s_or_b64 s[34:35], vcc, s[34:35]
	s_andn2_b64 vcc, s[36:37], exec
	s_and_b64 s[36:37], s[38:39], exec
	s_or_b64 s[36:37], vcc, s[36:37]
	s_andn2_b64 exec, exec, s[34:35]
	s_cbranch_execz .LBB2_3997
.LBB2_3993:                             ;   Parent Loop BB2_47 Depth=1
                                        ;     Parent Loop BB2_3957 Depth=2
                                        ; =>    This Inner Loop Header: Depth=3
	s_add_i32 s44, s44, 1
	s_cmpk_lg_i32 s44, 0x2710
	s_cselect_b64 s[48:49], -1, 0
	s_and_b64 vcc, exec, s[48:49]
	s_cbranch_vccz .LBB2_3995
; %bb.3994:                             ;   in Loop: Header=BB2_3993 Depth=3
	s_mov_b64 vcc, -1
	s_or_b64 s[38:39], s[38:39], exec
	s_and_saveexec_b64 s[50:51], s[48:49]
	s_cbranch_execz .LBB2_3992
	s_branch .LBB2_3996
.LBB2_3995:                             ;   in Loop: Header=BB2_3993 Depth=3
	s_trap 2
	ds_read_b64 v[0:1], v0
	s_andn2_b64 s[48:49], s[48:49], exec
	s_mov_b32 s44, 0
	s_waitcnt lgkmcnt(0)
	flat_load_dword v0, v[0:1] glc
	s_waitcnt vmcnt(0) lgkmcnt(0)
	buffer_wbinvl1_vol
	v_cmp_eq_u32_e32 vcc, 0, v0
	s_and_b64 vcc, vcc, exec
	s_or_b64 s[48:49], s[48:49], vcc
	s_mov_b64 vcc, -1
	s_or_b64 s[38:39], s[38:39], exec
	s_and_saveexec_b64 s[50:51], s[48:49]
	s_cbranch_execz .LBB2_3992
.LBB2_3996:                             ;   in Loop: Header=BB2_3993 Depth=3
	s_sleep 1
	s_trap 2
	ds_read_b64 v[0:1], v0
	s_waitcnt lgkmcnt(0)
	s_andn2_b64 s[38:39], s[38:39], exec
	v_cmp_ge_u64_e32 vcc, v[0:1], v[12:13]
	s_orn2_b64 vcc, vcc, exec
	s_branch .LBB2_3992
.LBB2_3997:                             ;   in Loop: Header=BB2_3957 Depth=2
	s_or_b64 exec, exec, s[34:35]
	s_and_saveexec_b64 s[44:45], s[36:37]
	s_xor_b64 s[44:45], exec, s[44:45]
	s_cbranch_execz .LBB2_3999
; %bb.3998:                             ;   in Loop: Header=BB2_3957 Depth=2
	v_mov_b32_e32 v0, 1
	ds_write_b32 v0, v0
	s_trap 2
.LBB2_3999:                             ;   in Loop: Header=BB2_3957 Depth=2
	s_or_b64 exec, exec, s[30:31]
	;;#ASMSTART
	s_wakeup
	;;#ASMEND
.LBB2_4000:                             ;   in Loop: Header=BB2_3957 Depth=2
	s_or_b64 exec, exec, s[42:43]
.LBB2_4001:                             ;   in Loop: Header=BB2_3957 Depth=2
	s_andn2_saveexec_b64 s[40:41], s[40:41]
	s_cbranch_execz .LBB2_4003
; %bb.4002:                             ;   in Loop: Header=BB2_3957 Depth=2
	s_waitcnt vmcnt(0) lgkmcnt(0)
	buffer_wbinvl1_vol
	s_barrier
.LBB2_4003:                             ;   in Loop: Header=BB2_3957 Depth=2
	s_or_b64 exec, exec, s[40:41]
.LBB2_4004:                             ;   in Loop: Header=BB2_3957 Depth=2
	s_or_b64 exec, exec, s[28:29]
	s_trap 2
	ds_read_b32 v0, v0
	s_waitcnt vmcnt(0)
	v_and_b32_e32 v1, 0x4000, v61
	v_cmp_ne_u32_e32 vcc, 0, v1
	s_xor_b64 s[28:29], s[10:11], -1
	s_and_b64 s[40:41], s[28:29], vcc
	s_and_saveexec_b64 s[28:29], s[40:41]
	s_cbranch_execz .LBB2_4023
; %bb.4005:                             ;   in Loop: Header=BB2_3957 Depth=2
	s_and_saveexec_b64 s[40:41], s[58:59]
	s_xor_b64 s[40:41], exec, s[40:41]
	s_cbranch_execz .LBB2_4020
; %bb.4006:                             ;   in Loop: Header=BB2_3957 Depth=2
	s_and_saveexec_b64 s[42:43], s[6:7]
	s_cbranch_execz .LBB2_4019
; %bb.4007:                             ;   in Loop: Header=BB2_3957 Depth=2
	s_mov_b64 s[34:35], exec
	v_mbcnt_lo_u32_b32 v1, s34, 0
	v_mbcnt_hi_u32_b32 v1, s35, v1
	v_cmp_eq_u32_e32 vcc, 0, v1
	s_waitcnt vmcnt(0) lgkmcnt(0)
	buffer_wbinvl1_vol
	s_and_saveexec_b64 s[30:31], vcc
	s_cbranch_execz .LBB2_4009
; %bb.4008:                             ;   in Loop: Header=BB2_3957 Depth=2
	s_bcnt1_i32_b64 s44, s[34:35]
	v_mov_b32_e32 v1, s44
	v_mov_b32_e32 v2, v29
	ds_add_u64 v0, v[1:2]
	s_trap 2
.LBB2_4009:                             ;   in Loop: Header=BB2_3957 Depth=2
	s_or_b64 exec, exec, s[30:31]
	s_trap 2
	ds_read_b64 v[1:2], v0
	s_waitcnt lgkmcnt(0)
	v_add_co_u32_e32 v12, vcc, v12, v14
	v_addc_co_u32_e32 v13, vcc, 0, v13, vcc
	v_cmp_lt_u64_e32 vcc, v[1:2], v[12:13]
	s_and_saveexec_b64 s[30:31], vcc
	s_cbranch_execz .LBB2_4018
; %bb.4010:                             ;   in Loop: Header=BB2_3957 Depth=2
	s_mov_b32 s44, 0
	s_mov_b64 s[34:35], 0
                                        ; implicit-def: $sgpr36_sgpr37
                                        ; implicit-def: $sgpr38_sgpr39
	s_branch .LBB2_4012
.LBB2_4011:                             ;   in Loop: Header=BB2_4012 Depth=3
	s_or_b64 exec, exec, s[50:51]
	s_and_b64 vcc, exec, vcc
	s_or_b64 s[34:35], vcc, s[34:35]
	s_andn2_b64 vcc, s[36:37], exec
	s_and_b64 s[36:37], s[38:39], exec
	s_or_b64 s[36:37], vcc, s[36:37]
	s_andn2_b64 exec, exec, s[34:35]
	s_cbranch_execz .LBB2_4016
.LBB2_4012:                             ;   Parent Loop BB2_47 Depth=1
                                        ;     Parent Loop BB2_3957 Depth=2
                                        ; =>    This Inner Loop Header: Depth=3
	s_add_i32 s44, s44, 1
	s_cmpk_lg_i32 s44, 0x2710
	s_cselect_b64 s[48:49], -1, 0
	s_and_b64 vcc, exec, s[48:49]
	s_cbranch_vccz .LBB2_4014
; %bb.4013:                             ;   in Loop: Header=BB2_4012 Depth=3
	s_mov_b64 vcc, -1
	s_or_b64 s[38:39], s[38:39], exec
	s_and_saveexec_b64 s[50:51], s[48:49]
	s_cbranch_execz .LBB2_4011
	s_branch .LBB2_4015
.LBB2_4014:                             ;   in Loop: Header=BB2_4012 Depth=3
	s_trap 2
	ds_read_b64 v[1:2], v0
	s_andn2_b64 s[48:49], s[48:49], exec
	s_mov_b32 s44, 0
	s_waitcnt lgkmcnt(0)
	flat_load_dword v1, v[1:2] glc
	s_waitcnt vmcnt(0) lgkmcnt(0)
	buffer_wbinvl1_vol
	v_cmp_eq_u32_e32 vcc, 0, v1
	s_and_b64 vcc, vcc, exec
	s_or_b64 s[48:49], s[48:49], vcc
	s_mov_b64 vcc, -1
	s_or_b64 s[38:39], s[38:39], exec
	s_and_saveexec_b64 s[50:51], s[48:49]
	s_cbranch_execz .LBB2_4011
.LBB2_4015:                             ;   in Loop: Header=BB2_4012 Depth=3
	s_sleep 1
	s_trap 2
	ds_read_b64 v[1:2], v0
	s_waitcnt lgkmcnt(0)
	s_andn2_b64 s[38:39], s[38:39], exec
	v_cmp_ge_u64_e32 vcc, v[1:2], v[12:13]
	s_orn2_b64 vcc, vcc, exec
	s_branch .LBB2_4011
.LBB2_4016:                             ;   in Loop: Header=BB2_3957 Depth=2
	s_or_b64 exec, exec, s[34:35]
	s_and_saveexec_b64 s[44:45], s[36:37]
	s_xor_b64 s[44:45], exec, s[44:45]
	s_cbranch_execz .LBB2_4018
; %bb.4017:                             ;   in Loop: Header=BB2_3957 Depth=2
	v_mov_b32_e32 v1, 1
	ds_write_b32 v0, v1
	s_trap 2
.LBB2_4018:                             ;   in Loop: Header=BB2_3957 Depth=2
	s_or_b64 exec, exec, s[30:31]
	;;#ASMSTART
	s_wakeup
	;;#ASMEND
.LBB2_4019:                             ;   in Loop: Header=BB2_3957 Depth=2
	s_or_b64 exec, exec, s[42:43]
.LBB2_4020:                             ;   in Loop: Header=BB2_3957 Depth=2
	s_andn2_saveexec_b64 s[40:41], s[40:41]
	s_cbranch_execz .LBB2_4022
; %bb.4021:                             ;   in Loop: Header=BB2_3957 Depth=2
	s_waitcnt vmcnt(0) lgkmcnt(0)
	buffer_wbinvl1_vol
	s_barrier
.LBB2_4022:                             ;   in Loop: Header=BB2_3957 Depth=2
	s_or_b64 exec, exec, s[40:41]
.LBB2_4023:                             ;   in Loop: Header=BB2_3957 Depth=2
	s_or_b64 exec, exec, s[28:29]
	s_trap 2
	s_waitcnt lgkmcnt(0)
	ds_read_b64 v[5:6], v0
	s_waitcnt lgkmcnt(0)
	v_cmp_eq_u64_e32 vcc, 0, v[5:6]
	s_cbranch_vccnz .LBB2_4032
; %bb.4024:                             ;   in Loop: Header=BB2_3957 Depth=2
	s_trap 2
	ds_read_b64 v[1:2], v0
	s_waitcnt lgkmcnt(0)
	v_cmp_eq_u64_e32 vcc, 0, v[1:2]
	s_cbranch_vccnz .LBB2_4032
; %bb.4025:                             ;   in Loop: Header=BB2_3957 Depth=2
	buffer_store_dword v5, off, s[0:3], s33 offset:156 ; 4-byte Folded Spill
	s_nop 0
	buffer_store_dword v6, off, s[0:3], s33 offset:160 ; 4-byte Folded Spill
	buffer_store_dword v1, off, s[0:3], s33 offset:140 ; 4-byte Folded Spill
	s_nop 0
	buffer_store_dword v2, off, s[0:3], s33 offset:144 ; 4-byte Folded Spill
	s_trap 2
	ds_read_b64 v[10:11], v0
	v_cmp_eq_u32_e64 s[28:29], 0, v0
	v_cndmask_b32_e64 v58, 0, v50, s[28:29]
	s_mov_b64 s[28:29], -1
	s_waitcnt lgkmcnt(0)
	v_cmp_ne_u64_e32 vcc, 0, v[10:11]
	s_cbranch_vccz .LBB2_6207
; %bb.4026:                             ;   in Loop: Header=BB2_3957 Depth=2
	s_and_saveexec_b64 s[40:41], s[24:25]
	s_cbranch_execz .LBB2_4028
; %bb.4027:                             ;   in Loop: Header=BB2_3957 Depth=2
	ds_read_b32 v0, v0 offset:720
	s_waitcnt lgkmcnt(0)
	v_and_b32_e32 v0, 15, v0
	v_cmp_eq_u32_e32 vcc, 0, v0
	s_orn2_b64 s[28:29], vcc, exec
.LBB2_4028:                             ;   in Loop: Header=BB2_3957 Depth=2
	s_or_b64 exec, exec, s[40:41]
	s_and_saveexec_b64 s[40:41], s[24:25]
	s_cbranch_execz .LBB2_4030
; %bb.4029:                             ;   in Loop: Header=BB2_3957 Depth=2
	ds_read_b32 v0, v0 offset:784
	s_waitcnt lgkmcnt(0)
	v_and_b32_e32 v0, 15, v0
	v_cmp_eq_u32_e32 vcc, 0, v0
	s_and_b64 s[42:43], s[28:29], vcc
	s_andn2_b64 s[28:29], s[28:29], exec
	s_and_b64 s[42:43], s[42:43], exec
	s_or_b64 s[28:29], s[28:29], s[42:43]
.LBB2_4030:                             ;   in Loop: Header=BB2_3957 Depth=2
	s_or_b64 exec, exec, s[40:41]
	buffer_load_dword v18, off, s[0:3], s33 offset:128 ; 4-byte Folded Reload
	s_xor_b64 s[28:29], s[28:29], -1
	v_cndmask_b32_e64 v1, 0, 1, s[28:29]
	s_mov_b64 s[40:41], -1
	v_mov_b32_e32 v0, 0
	v_cmp_ne_u32_e32 vcc, 0, v1
	v_mov_b32_e32 v1, v58
	s_cbranch_vccz .LBB2_4033
; %bb.4031:                             ;   in Loop: Header=BB2_3957 Depth=2
	s_and_saveexec_b64 s[42:43], s[40:41]
	s_cbranch_execz .LBB2_6206
	s_branch .LBB2_5664
.LBB2_4032:                             ;   in Loop: Header=BB2_3957 Depth=2
	s_mov_b64 s[28:29], 0
	s_and_saveexec_b64 s[40:41], s[12:13]
	s_cbranch_execz .LBB2_8401
	s_branch .LBB2_8383
.LBB2_4033:                             ;   in Loop: Header=BB2_3957 Depth=2
	buffer_load_dword v0, off, s[0:3], s33 offset:148 ; 4-byte Folded Reload
	s_waitcnt vmcnt(0)
	v_sub_u32_e32 v48, v58, v0
	v_ashrrev_i32_e32 v0, 31, v58
	v_lshrrev_b32_e32 v0, 22, v0
	v_add_u32_e32 v0, v58, v0
	v_ashrrev_i32_e32 v1, 10, v0
	v_and_b32_e32 v3, 0xfffffc00, v0
	buffer_load_dword v0, off, s[0:3], s33 offset:152 ; 4-byte Folded Reload
	v_sub_u32_e32 v6, v58, v3
	v_cmp_lt_i32_e64 s[28:29], 15, v6
	s_waitcnt vmcnt(0)
	v_sub_u32_e32 v0, v1, v0
	v_addc_co_u32_e64 v49, vcc, 0, v0, s[28:29]
	v_cmp_lt_i32_e32 vcc, 15, v48
	s_mov_b64 s[30:31], exec
	s_and_b64 s[40:41], s[30:31], vcc
	buffer_store_dword v58, off, s[0:3], s33 offset:172 ; 4-byte Folded Spill
	s_mov_b64 exec, s[40:41]
	s_cbranch_execz .LBB2_4847
; %bb.4034:                             ;   in Loop: Header=BB2_3957 Depth=2
	buffer_store_dword v6, off, s[0:3], s33 offset:208 ; 4-byte Folded Spill
	buffer_store_dword v3, off, s[0:3], s33 offset:204 ; 4-byte Folded Spill
	buffer_load_dword v2, off, s[0:3], s33 offset:148 ; 4-byte Folded Reload
	buffer_load_dword v0, off, s[0:3], s33 offset:140 ; 4-byte Folded Reload
	;; [unrolled: 1-line block ×3, first 2 shown]
	s_mov_b64 s[34:35], 0
	s_waitcnt vmcnt(1)
	v_add_co_u32_e32 v51, vcc, v0, v2
	s_waitcnt vmcnt(0)
	v_addc_co_u32_e32 v52, vcc, 0, v1, vcc
	v_add_co_u32_e32 v40, vcc, v10, v2
	buffer_store_dword v10, off, s[0:3], s33 offset:196 ; 4-byte Folded Spill
	s_nop 0
	buffer_store_dword v11, off, s[0:3], s33 offset:200 ; 4-byte Folded Spill
	s_trap 2
	ds_read_b64 v[0:1], v0
	buffer_load_dword v5, off, s[0:3], s33 offset:156 ; 4-byte Folded Reload
	buffer_load_dword v6, off, s[0:3], s33 offset:160 ; 4-byte Folded Reload
	s_waitcnt lgkmcnt(0)
	v_readfirstlane_b32 s40, v0
	s_and_b32 s41, s40, 7
	s_flbit_i32_b32 s41, s41
	s_min_u32 s41, s41, 32
	s_and_b32 s42, s40, 0x7f
	s_bfe_u32 s43, s40, 0x40003
	s_sub_i32 s44, s41, 28
	s_sub_i32 s41, 29, s41
	s_cmp_lt_u32 s42, 8
	s_cselect_b32 s44, s44, 0
	s_cselect_b32 s41, s41, s43
	s_lshl_b32 s43, s40, 24
	s_lshl_b32 s41, s41, 23
	s_and_b32 s43, s43, 0x80000000
	s_add_i32 s41, s41, 0x3c000000
	s_or_b32 s41, s43, s41
	s_cmpk_lg_i32 s42, 0x7f
	v_addc_co_u32_e32 v41, vcc, 0, v11, vcc
	s_waitcnt vmcnt(1)
	v_add_co_u32_e32 v42, vcc, v5, v2
	s_waitcnt vmcnt(0)
	v_addc_co_u32_e32 v43, vcc, 0, v6, vcc
	v_add_co_u32_e32 v44, vcc, v0, v2
	v_addc_co_u32_e32 v45, vcc, 0, v1, vcc
	v_lshlrev_b64 v[0:1], s44, v[0:1]
	s_cselect_b64 vcc, -1, 0
	v_lshlrev_b32_e32 v0, 20, v0
	v_and_b32_e32 v0, 0x700000, v0
	v_or_b32_e32 v0, s41, v0
	v_cndmask_b32_e32 v0, v4, v0, vcc
	s_and_b32 s44, s40, 0xff
.LBB2_4035:                             ;   Parent Loop BB2_47 Depth=1
                                        ;     Parent Loop BB2_3957 Depth=2
                                        ; =>    This Loop Header: Depth=3
                                        ;         Child Loop BB2_4824 Depth 4
	s_cmpk_lt_i32 s44, 0x80
	s_cbranch_scc1 .LBB2_4039
; %bb.4036:                             ;   in Loop: Header=BB2_4035 Depth=3
	s_and_b32 s42, 0xffff, s44
	s_mov_b64 s[40:41], -1
	s_cmpk_eq_i32 s42, 0x80
	s_cbranch_scc0 .LBB2_4038
; %bb.4037:                             ;   in Loop: Header=BB2_4035 Depth=3
	s_mov_b64 s[40:41], 0
.LBB2_4038:                             ;   in Loop: Header=BB2_4035 Depth=3
	s_brev_b32 s45, 1
	s_branch .LBB2_4041
.LBB2_4039:                             ;   in Loop: Header=BB2_4035 Depth=3
	s_mov_b64 s[40:41], 0
	s_brev_b32 s45, 1
	s_cbranch_execz .LBB2_4041
; %bb.4040:                             ;   in Loop: Header=BB2_4035 Depth=3
	s_and_b32 s40, 0xffff, s44
	s_cmp_lg_u32 s40, 0
	s_mov_b32 s45, 0
	s_cselect_b64 s[40:41], -1, 0
.LBB2_4041:                             ;   in Loop: Header=BB2_4035 Depth=3
	s_andn2_b64 vcc, exec, s[40:41]
	v_mov_b32_e32 v2, s45
	s_cbranch_vccnz .LBB2_4043
; %bb.4042:                             ;   in Loop: Header=BB2_4035 Depth=3
	v_mov_b32_e32 v2, v0
.LBB2_4043:                             ;   in Loop: Header=BB2_4035 Depth=3
	global_load_dwordx4 v[8:11], v[42:43], off glc slc
	v_mov_b32_e32 v1, 0
	s_waitcnt vmcnt(0)
	v_cmp_ne_u16_sdwa s[42:43], v8, v29 src0_sel:BYTE_0 src1_sel:DWORD
	s_and_saveexec_b64 s[40:41], s[42:43]
	s_cbranch_execz .LBB2_4049
; %bb.4044:                             ;   in Loop: Header=BB2_4035 Depth=3
	v_cmp_ne_u16_sdwa vcc, v8, s87 src0_sel:BYTE_0 src1_sel:DWORD
	v_bfrev_b32_e32 v1, 1
	s_and_saveexec_b64 s[42:43], vcc
	s_cbranch_execz .LBB2_4048
; %bb.4045:                             ;   in Loop: Header=BB2_4035 Depth=3
	v_and_b32_e32 v3, 0x7f, v8
	v_cmp_ne_u32_e32 vcc, s85, v3
	v_mov_b32_e32 v1, 0x7f800001
	s_and_saveexec_b64 s[36:37], vcc
	s_cbranch_execz .LBB2_4047
; %bb.4046:                             ;   in Loop: Header=BB2_4035 Depth=3
	v_and_b32_e32 v1, 7, v8
	v_ffbh_u32_e32 v1, v1
	v_min_u32_e32 v1, 32, v1
	v_lshrrev_b32_e32 v5, 3, v3
	v_cmp_gt_u32_e32 vcc, 8, v3
	v_subrev_u32_e32 v3, 28, v1
	v_sub_u32_e32 v1, 29, v1
	v_cndmask_b32_e32 v3, 0, v3, vcc
	v_cndmask_b32_e32 v1, v5, v1, vcc
	v_lshlrev_b64 v[5:6], v3, v[8:9]
	v_lshl_add_u32 v1, v1, 23, v17
	v_lshlrev_b32_e32 v3, 20, v5
	v_lshlrev_b32_e32 v5, 24, v8
	v_and_b32_e32 v3, 0x700000, v3
	v_and_b32_e32 v5, 0x80000000, v5
	v_or3_b32 v1, v5, v1, v3
.LBB2_4047:                             ;   in Loop: Header=BB2_4035 Depth=3
	s_or_b64 exec, exec, s[36:37]
.LBB2_4048:                             ;   in Loop: Header=BB2_4035 Depth=3
	s_or_b64 exec, exec, s[42:43]
.LBB2_4049:                             ;   in Loop: Header=BB2_4035 Depth=3
	s_or_b64 exec, exec, s[40:41]
	v_mul_f32_e32 v5, v2, v1
	v_and_b32_e32 v28, 0x7f800000, v5
	v_cmp_ne_u64_e32 vcc, s[76:77], v[28:29]
                                        ; implicit-def: $vgpr1
	s_and_saveexec_b64 s[40:41], vcc
	s_xor_b64 s[42:43], exec, s[40:41]
	s_cbranch_execz .LBB2_4063
; %bb.4050:                             ;   in Loop: Header=BB2_4035 Depth=3
	v_and_b32_e32 v28, 0x7fffffff, v5
	v_cmp_gt_u64_e32 vcc, s[78:79], v[28:29]
	v_and_b32_sdwa v3, v5, s87 dst_sel:DWORD dst_unused:UNUSED_PAD src0_sel:BYTE_3 src1_sel:DWORD
                                        ; implicit-def: $vgpr1
	s_and_saveexec_b64 s[40:41], vcc
	s_xor_b64 s[36:37], exec, s[40:41]
	s_cbranch_execz .LBB2_4060
; %bb.4051:                             ;   in Loop: Header=BB2_4035 Depth=3
	v_mov_b32_e32 v1, 0
	v_cmp_ne_u32_e32 vcc, 0, v5
	s_and_saveexec_b64 s[38:39], vcc
	s_cbranch_execz .LBB2_4059
; %bb.4052:                             ;   in Loop: Header=BB2_4035 Depth=3
	v_bfe_u32 v1, v5, 23, 8
	v_and_b32_e32 v6, 0x7fffff, v5
	v_cmp_gt_u32_e64 s[40:41], s96, v1
	v_sub_u32_e32 v5, 0x79, v1
	v_cmp_eq_u32_e32 vcc, 0, v1
	v_cndmask_b32_e64 v5, 0, v5, s[40:41]
	v_or_b32_e32 v7, 0x800000, v6
	v_cndmask_b32_e32 v5, v5, v36, vcc
	v_cndmask_b32_e32 v28, v7, v6, vcc
	v_add_u32_e32 v6, 20, v5
	v_lshlrev_b64 v[6:7], v6, -1
	v_add_u32_e32 v16, 19, v5
	v_lshlrev_b64 v[18:19], v16, 1
	v_lshrrev_b64 v[46:47], v5, v[28:29]
	v_bfi_b32 v7, v7, 0, 0
	v_bfi_b32 v6, v6, 0, v28
	v_cmp_eq_u64_e64 s[40:41], v[6:7], v[18:19]
	v_mov_b32_e32 v56, v47
	v_mov_b32_e32 v55, v46
	s_and_saveexec_b64 s[48:49], s[40:41]
; %bb.4053:                             ;   in Loop: Header=BB2_4035 Depth=3
	v_bfe_u32 v6, v46, 20, 1
	v_add_co_u32_e64 v6, s[40:41], v46, v6
	v_add_co_u32_e64 v55, s[40:41], -1, v6
; %bb.4054:                             ;   in Loop: Header=BB2_4035 Depth=3
	s_or_b64 exec, exec, s[48:49]
	v_add_u32_e32 v1, 0xffffff81, v1
	v_cndmask_b32_e32 v1, v1, v37, vcc
	v_lshrrev_b32_e32 v6, 23, v46
	v_add3_u32 v6, v5, v1, v6
	v_add_u32_e32 v5, 6, v6
	v_and_b32_e32 v1, 0xfffff, v55
	v_add_u32_e32 v28, v1, v46
	v_cmp_ne_u32_e32 vcc, 0, v5
                                        ; implicit-def: $vgpr46_vgpr47
                                        ; implicit-def: $vgpr1
	s_and_saveexec_b64 s[40:41], vcc
	s_xor_b64 s[40:41], exec, s[40:41]
; %bb.4055:                             ;   in Loop: Header=BB2_4035 Depth=3
	v_cmp_lt_u64_e32 vcc, s[88:89], v[28:29]
	v_add_u32_e32 v1, 7, v6
	v_cndmask_b32_e32 v1, v5, v1, vcc
	v_cndmask_b32_e64 v5, 0, 1, vcc
	v_lshrrev_b64 v[46:47], v5, v[28:29]
; %bb.4056:                             ;   in Loop: Header=BB2_4035 Depth=3
	s_andn2_saveexec_b64 s[40:41], s[40:41]
; %bb.4057:                             ;   in Loop: Header=BB2_4035 Depth=3
	v_mov_b32_e32 v47, v29
	v_bfe_u32 v1, v28, 23, 1
	v_mov_b32_e32 v46, v28
; %bb.4058:                             ;   in Loop: Header=BB2_4035 Depth=3
	s_or_b64 exec, exec, s[40:41]
	v_lshrrev_b64 v[5:6], 20, v[46:47]
	v_cmp_gt_i32_e32 vcc, 16, v1
	v_cndmask_b32_e32 v6, 0, v6, vcc
	v_cndmask_b32_e32 v5, 7, v5, vcc
	v_cmp_eq_u32_e32 vcc, 0, v1
	v_min_i32_e32 v1, 15, v1
	v_cmp_eq_u64_e64 s[40:41], 0, v[5:6]
	v_lshlrev_b32_e32 v1, 3, v1
	v_and_b32_e32 v1, 0xf8, v1
	v_and_or_b32 v1, v5, 7, v1
	s_and_b64 s[40:41], vcc, s[40:41]
	v_cndmask_b32_e64 v1, v1, 0, s[40:41]
	v_or_b32_e32 v1, v1, v3
.LBB2_4059:                             ;   in Loop: Header=BB2_4035 Depth=3
	s_or_b64 exec, exec, s[38:39]
                                        ; implicit-def: $vgpr3
.LBB2_4060:                             ;   in Loop: Header=BB2_4035 Depth=3
	s_andn2_saveexec_b64 s[40:41], s[36:37]
; %bb.4061:                             ;   in Loop: Header=BB2_4035 Depth=3
	v_or_b32_e32 v1, 0x7e, v3
; %bb.4062:                             ;   in Loop: Header=BB2_4035 Depth=3
	s_or_b64 exec, exec, s[40:41]
                                        ; implicit-def: $vgpr5
.LBB2_4063:                             ;   in Loop: Header=BB2_4035 Depth=3
	s_andn2_saveexec_b64 s[40:41], s[42:43]
; %bb.4064:                             ;   in Loop: Header=BB2_4035 Depth=3
	v_or_b32_sdwa v1, v5, s85 dst_sel:DWORD dst_unused:UNUSED_PAD src0_sel:BYTE_3 src1_sel:DWORD
; %bb.4065:                             ;   in Loop: Header=BB2_4035 Depth=3
	s_or_b64 exec, exec, s[40:41]
	v_lshrrev_b16_e32 v28, 8, v8
	v_cmp_ne_u16_e32 vcc, 0, v28
	v_mov_b32_e32 v3, 0
	s_and_saveexec_b64 s[40:41], vcc
	s_cbranch_execz .LBB2_4071
; %bb.4066:                             ;   in Loop: Header=BB2_4035 Depth=3
	v_cmp_ne_u16_e32 vcc, s87, v28
	v_bfrev_b32_e32 v3, 1
	s_and_saveexec_b64 s[42:43], vcc
	s_cbranch_execz .LBB2_4070
; %bb.4067:                             ;   in Loop: Header=BB2_4035 Depth=3
	v_and_b32_e32 v5, 0x7f, v28
	v_cmp_ne_u32_e32 vcc, s85, v5
	v_mov_b32_e32 v3, 0x7f800001
	s_and_saveexec_b64 s[36:37], vcc
	s_cbranch_execz .LBB2_4069
; %bb.4068:                             ;   in Loop: Header=BB2_4035 Depth=3
	v_and_b32_e32 v3, 7, v28
	v_lshrrev_b32_e32 v7, 3, v5
	v_cmp_gt_u32_e32 vcc, 8, v5
	v_ffbh_u32_e32 v5, v3
	v_min_u32_e32 v16, 32, v5
	v_subrev_u32_e32 v5, 28, v16
	v_lshlrev_b64 v[5:6], v5, v[28:29]
	v_sub_u32_e32 v6, 29, v16
	v_and_b32_e32 v5, 7, v5
	v_cndmask_b32_e32 v6, v7, v6, vcc
	v_cndmask_b32_e32 v3, v3, v5, vcc
	v_lshlrev_b32_e32 v5, 16, v8
	v_lshlrev_b32_e32 v3, 20, v3
	v_and_b32_e32 v5, 0x80000000, v5
	v_lshl_add_u32 v6, v6, 23, v17
	v_or3_b32 v3, v5, v6, v3
.LBB2_4069:                             ;   in Loop: Header=BB2_4035 Depth=3
	s_or_b64 exec, exec, s[36:37]
.LBB2_4070:                             ;   in Loop: Header=BB2_4035 Depth=3
	s_or_b64 exec, exec, s[42:43]
.LBB2_4071:                             ;   in Loop: Header=BB2_4035 Depth=3
	s_or_b64 exec, exec, s[40:41]
	v_mul_f32_e32 v5, v2, v3
	v_and_b32_e32 v28, 0x7f800000, v5
	v_cmp_ne_u64_e32 vcc, s[76:77], v[28:29]
                                        ; implicit-def: $vgpr6
	s_and_saveexec_b64 s[40:41], vcc
	s_xor_b64 s[42:43], exec, s[40:41]
	s_cbranch_execz .LBB2_4085
; %bb.4072:                             ;   in Loop: Header=BB2_4035 Depth=3
	v_and_b32_e32 v28, 0x7fffffff, v5
	v_cmp_gt_u64_e32 vcc, s[78:79], v[28:29]
	v_and_b32_sdwa v3, v5, s87 dst_sel:DWORD dst_unused:UNUSED_PAD src0_sel:BYTE_3 src1_sel:DWORD
                                        ; implicit-def: $vgpr6
	s_and_saveexec_b64 s[40:41], vcc
	s_xor_b64 s[36:37], exec, s[40:41]
	s_cbranch_execz .LBB2_4082
; %bb.4073:                             ;   in Loop: Header=BB2_4035 Depth=3
	v_mov_b32_e32 v6, 0
	v_cmp_ne_u32_e32 vcc, 0, v5
	s_and_saveexec_b64 s[38:39], vcc
	s_cbranch_execz .LBB2_4081
; %bb.4074:                             ;   in Loop: Header=BB2_4035 Depth=3
	v_and_b32_e32 v7, 0x7fffff, v5
	v_bfe_u32 v5, v5, 23, 8
	v_cmp_gt_u32_e64 s[40:41], s96, v5
	v_sub_u32_e32 v6, 0x79, v5
	v_cmp_eq_u32_e32 vcc, 0, v5
	v_cndmask_b32_e64 v6, 0, v6, s[40:41]
	v_or_b32_e32 v16, 0x800000, v7
	v_cndmask_b32_e32 v6, v6, v36, vcc
	v_cndmask_b32_e32 v28, v16, v7, vcc
	v_add_u32_e32 v7, 20, v6
	v_lshlrev_b64 v[18:19], v7, -1
	v_add_u32_e32 v7, 19, v6
	v_lshlrev_b64 v[22:23], v7, 1
	v_lshrrev_b64 v[46:47], v6, v[28:29]
	v_bfi_b32 v19, v19, 0, 0
	v_bfi_b32 v18, v18, 0, v28
	v_cmp_eq_u64_e64 s[40:41], v[18:19], v[22:23]
	v_mov_b32_e32 v56, v47
	v_mov_b32_e32 v55, v46
	s_and_saveexec_b64 s[48:49], s[40:41]
; %bb.4075:                             ;   in Loop: Header=BB2_4035 Depth=3
	v_bfe_u32 v7, v46, 20, 1
	v_add_co_u32_e64 v7, s[40:41], v46, v7
	v_add_co_u32_e64 v55, s[40:41], -1, v7
; %bb.4076:                             ;   in Loop: Header=BB2_4035 Depth=3
	s_or_b64 exec, exec, s[48:49]
	v_add_u32_e32 v5, 0xffffff81, v5
	v_cndmask_b32_e32 v5, v5, v37, vcc
	v_lshrrev_b32_e32 v7, 23, v46
	v_add3_u32 v7, v6, v5, v7
	v_add_u32_e32 v6, 6, v7
	v_and_b32_e32 v5, 0xfffff, v55
	v_add_u32_e32 v28, v5, v46
	v_cmp_ne_u32_e32 vcc, 0, v6
                                        ; implicit-def: $vgpr46_vgpr47
                                        ; implicit-def: $vgpr5
	s_and_saveexec_b64 s[40:41], vcc
	s_xor_b64 s[40:41], exec, s[40:41]
; %bb.4077:                             ;   in Loop: Header=BB2_4035 Depth=3
	v_cmp_lt_u64_e32 vcc, s[88:89], v[28:29]
	v_add_u32_e32 v5, 7, v7
	v_cndmask_b32_e32 v5, v6, v5, vcc
	v_cndmask_b32_e64 v6, 0, 1, vcc
	v_lshrrev_b64 v[46:47], v6, v[28:29]
; %bb.4078:                             ;   in Loop: Header=BB2_4035 Depth=3
	s_andn2_saveexec_b64 s[40:41], s[40:41]
; %bb.4079:                             ;   in Loop: Header=BB2_4035 Depth=3
	v_mov_b32_e32 v47, v29
	v_bfe_u32 v5, v28, 23, 1
	v_mov_b32_e32 v46, v28
; %bb.4080:                             ;   in Loop: Header=BB2_4035 Depth=3
	s_or_b64 exec, exec, s[40:41]
	v_lshrrev_b64 v[6:7], 20, v[46:47]
	v_cmp_gt_i32_e32 vcc, 16, v5
	v_cndmask_b32_e32 v7, 0, v7, vcc
	v_cndmask_b32_e32 v6, 7, v6, vcc
	v_cmp_eq_u32_e32 vcc, 0, v5
	v_min_i32_e32 v5, 15, v5
	v_cmp_eq_u64_e64 s[40:41], 0, v[6:7]
	v_lshlrev_b32_e32 v5, 3, v5
	v_and_b32_e32 v5, 0xf8, v5
	v_and_or_b32 v5, v6, 7, v5
	s_and_b64 s[40:41], vcc, s[40:41]
	v_cndmask_b32_e64 v5, v5, 0, s[40:41]
	v_or_b32_e32 v6, v5, v3
.LBB2_4081:                             ;   in Loop: Header=BB2_4035 Depth=3
	s_or_b64 exec, exec, s[38:39]
                                        ; implicit-def: $vgpr3
.LBB2_4082:                             ;   in Loop: Header=BB2_4035 Depth=3
	s_andn2_saveexec_b64 s[40:41], s[36:37]
; %bb.4083:                             ;   in Loop: Header=BB2_4035 Depth=3
	v_or_b32_e32 v6, 0x7e, v3
; %bb.4084:                             ;   in Loop: Header=BB2_4035 Depth=3
	s_or_b64 exec, exec, s[40:41]
                                        ; implicit-def: $vgpr5
.LBB2_4085:                             ;   in Loop: Header=BB2_4035 Depth=3
	s_andn2_saveexec_b64 s[40:41], s[42:43]
; %bb.4086:                             ;   in Loop: Header=BB2_4035 Depth=3
	v_or_b32_sdwa v6, v5, s85 dst_sel:DWORD dst_unused:UNUSED_PAD src0_sel:BYTE_3 src1_sel:DWORD
; %bb.4087:                             ;   in Loop: Header=BB2_4035 Depth=3
	s_or_b64 exec, exec, s[40:41]
	v_lshrrev_b32_e32 v28, 16, v8
	v_cmp_ne_u16_sdwa s[42:43], v28, v29 src0_sel:BYTE_0 src1_sel:DWORD
	v_mov_b32_e32 v3, 0
	s_and_saveexec_b64 s[40:41], s[42:43]
	s_cbranch_execz .LBB2_4093
; %bb.4088:                             ;   in Loop: Header=BB2_4035 Depth=3
	v_cmp_ne_u16_sdwa vcc, v28, s87 src0_sel:BYTE_0 src1_sel:DWORD
	v_bfrev_b32_e32 v3, 1
	s_and_saveexec_b64 s[42:43], vcc
	s_cbranch_execz .LBB2_4092
; %bb.4089:                             ;   in Loop: Header=BB2_4035 Depth=3
	v_bfe_u32 v5, v8, 16, 7
	v_cmp_ne_u32_e32 vcc, s85, v5
	v_mov_b32_e32 v3, 0x7f800001
	s_and_saveexec_b64 s[36:37], vcc
	s_cbranch_execz .LBB2_4091
; %bb.4090:                             ;   in Loop: Header=BB2_4035 Depth=3
	v_and_b32_e32 v3, 7, v28
	v_lshrrev_b32_e32 v7, 3, v5
	v_cmp_gt_u32_e32 vcc, 8, v5
	v_ffbh_u32_e32 v5, v3
	v_min_u32_e32 v5, 32, v5
	v_subrev_u32_e32 v16, 28, v5
	v_lshlrev_b64 v[18:19], v16, v[28:29]
	v_sub_u32_e32 v5, 29, v5
	v_and_b32_e32 v16, 7, v18
	v_cndmask_b32_e32 v5, v7, v5, vcc
	v_cndmask_b32_e32 v3, v3, v16, vcc
	v_lshlrev_b32_e32 v7, 24, v28
	v_lshlrev_b32_e32 v3, 20, v3
	v_and_b32_e32 v7, 0x80000000, v7
	v_lshl_add_u32 v5, v5, 23, v17
	v_or3_b32 v3, v7, v5, v3
.LBB2_4091:                             ;   in Loop: Header=BB2_4035 Depth=3
	s_or_b64 exec, exec, s[36:37]
.LBB2_4092:                             ;   in Loop: Header=BB2_4035 Depth=3
	s_or_b64 exec, exec, s[42:43]
.LBB2_4093:                             ;   in Loop: Header=BB2_4035 Depth=3
	s_or_b64 exec, exec, s[40:41]
	v_mul_f32_e32 v5, v2, v3
	v_and_b32_e32 v28, 0x7f800000, v5
	v_cmp_ne_u64_e32 vcc, s[76:77], v[28:29]
                                        ; implicit-def: $vgpr25
	s_and_saveexec_b64 s[40:41], vcc
	s_xor_b64 s[42:43], exec, s[40:41]
	s_cbranch_execz .LBB2_4107
; %bb.4094:                             ;   in Loop: Header=BB2_4035 Depth=3
	v_and_b32_e32 v28, 0x7fffffff, v5
	v_cmp_gt_u64_e32 vcc, s[78:79], v[28:29]
	v_and_b32_sdwa v3, v5, s87 dst_sel:DWORD dst_unused:UNUSED_PAD src0_sel:BYTE_3 src1_sel:DWORD
                                        ; implicit-def: $vgpr25
	s_and_saveexec_b64 s[40:41], vcc
	s_xor_b64 s[36:37], exec, s[40:41]
	s_cbranch_execz .LBB2_4104
; %bb.4095:                             ;   in Loop: Header=BB2_4035 Depth=3
	v_mov_b32_e32 v25, 0
	v_cmp_ne_u32_e32 vcc, 0, v5
	s_and_saveexec_b64 s[38:39], vcc
	s_cbranch_execz .LBB2_4103
; %bb.4096:                             ;   in Loop: Header=BB2_4035 Depth=3
	v_and_b32_e32 v16, 0x7fffff, v5
	v_bfe_u32 v5, v5, 23, 8
	v_cmp_gt_u32_e64 s[40:41], s96, v5
	v_sub_u32_e32 v7, 0x79, v5
	v_cmp_eq_u32_e32 vcc, 0, v5
	v_cndmask_b32_e64 v7, 0, v7, s[40:41]
	v_or_b32_e32 v18, 0x800000, v16
	v_cndmask_b32_e32 v7, v7, v36, vcc
	v_cndmask_b32_e32 v28, v18, v16, vcc
	v_add_u32_e32 v16, 20, v7
	v_lshlrev_b64 v[18:19], v16, -1
	v_add_u32_e32 v16, 19, v7
	v_lshlrev_b64 v[22:23], v16, 1
	v_lshrrev_b64 v[46:47], v7, v[28:29]
	v_bfi_b32 v19, v19, 0, 0
	v_bfi_b32 v18, v18, 0, v28
	v_cmp_eq_u64_e64 s[40:41], v[18:19], v[22:23]
	v_mov_b32_e32 v56, v47
	v_mov_b32_e32 v55, v46
	s_and_saveexec_b64 s[48:49], s[40:41]
; %bb.4097:                             ;   in Loop: Header=BB2_4035 Depth=3
	v_bfe_u32 v16, v46, 20, 1
	v_add_co_u32_e64 v16, s[40:41], v46, v16
	v_add_co_u32_e64 v55, s[40:41], -1, v16
; %bb.4098:                             ;   in Loop: Header=BB2_4035 Depth=3
	s_or_b64 exec, exec, s[48:49]
	v_add_u32_e32 v5, 0xffffff81, v5
	v_cndmask_b32_e32 v5, v5, v37, vcc
	v_lshrrev_b32_e32 v16, 23, v46
	v_add3_u32 v16, v7, v5, v16
	v_add_u32_e32 v7, 6, v16
	v_and_b32_e32 v5, 0xfffff, v55
	v_add_u32_e32 v28, v5, v46
	v_cmp_ne_u32_e32 vcc, 0, v7
                                        ; implicit-def: $vgpr46_vgpr47
                                        ; implicit-def: $vgpr5
	s_and_saveexec_b64 s[40:41], vcc
	s_xor_b64 s[40:41], exec, s[40:41]
; %bb.4099:                             ;   in Loop: Header=BB2_4035 Depth=3
	v_cmp_lt_u64_e32 vcc, s[88:89], v[28:29]
	v_add_u32_e32 v5, 7, v16
	v_cndmask_b32_e32 v5, v7, v5, vcc
	v_cndmask_b32_e64 v7, 0, 1, vcc
	v_lshrrev_b64 v[46:47], v7, v[28:29]
; %bb.4100:                             ;   in Loop: Header=BB2_4035 Depth=3
	s_andn2_saveexec_b64 s[40:41], s[40:41]
; %bb.4101:                             ;   in Loop: Header=BB2_4035 Depth=3
	v_mov_b32_e32 v47, v29
	v_bfe_u32 v5, v28, 23, 1
	v_mov_b32_e32 v46, v28
; %bb.4102:                             ;   in Loop: Header=BB2_4035 Depth=3
	s_or_b64 exec, exec, s[40:41]
	v_lshrrev_b64 v[18:19], 20, v[46:47]
	v_cmp_gt_i32_e32 vcc, 16, v5
	v_cndmask_b32_e32 v19, 0, v19, vcc
	v_cndmask_b32_e32 v18, 7, v18, vcc
	v_cmp_eq_u32_e32 vcc, 0, v5
	v_min_i32_e32 v5, 15, v5
	v_cmp_eq_u64_e64 s[40:41], 0, v[18:19]
	v_lshlrev_b32_e32 v5, 3, v5
	v_and_b32_e32 v5, 0xf8, v5
	v_and_or_b32 v5, v18, 7, v5
	s_and_b64 s[40:41], vcc, s[40:41]
	v_cndmask_b32_e64 v5, v5, 0, s[40:41]
	v_or_b32_e32 v25, v5, v3
.LBB2_4103:                             ;   in Loop: Header=BB2_4035 Depth=3
	s_or_b64 exec, exec, s[38:39]
                                        ; implicit-def: $vgpr3
.LBB2_4104:                             ;   in Loop: Header=BB2_4035 Depth=3
	s_andn2_saveexec_b64 s[40:41], s[36:37]
; %bb.4105:                             ;   in Loop: Header=BB2_4035 Depth=3
	v_or_b32_e32 v25, 0x7e, v3
; %bb.4106:                             ;   in Loop: Header=BB2_4035 Depth=3
	s_or_b64 exec, exec, s[40:41]
                                        ; implicit-def: $vgpr5
.LBB2_4107:                             ;   in Loop: Header=BB2_4035 Depth=3
	s_andn2_saveexec_b64 s[40:41], s[42:43]
; %bb.4108:                             ;   in Loop: Header=BB2_4035 Depth=3
	v_or_b32_sdwa v25, v5, s85 dst_sel:DWORD dst_unused:UNUSED_PAD src0_sel:BYTE_3 src1_sel:DWORD
; %bb.4109:                             ;   in Loop: Header=BB2_4035 Depth=3
	s_or_b64 exec, exec, s[40:41]
	v_cmp_lt_u32_e32 vcc, s57, v8
	v_mov_b32_e32 v3, 0
	s_and_saveexec_b64 s[40:41], vcc
	s_cbranch_execz .LBB2_4115
; %bb.4110:                             ;   in Loop: Header=BB2_4035 Depth=3
	v_lshrrev_b32_e32 v28, 24, v8
	v_cmp_ne_u32_e32 vcc, s87, v28
	v_bfrev_b32_e32 v3, 1
	s_and_saveexec_b64 s[42:43], vcc
	s_cbranch_execz .LBB2_4114
; %bb.4111:                             ;   in Loop: Header=BB2_4035 Depth=3
	v_bfe_u32 v5, v8, 24, 7
	v_cmp_ne_u32_e32 vcc, s85, v5
	v_mov_b32_e32 v3, 0x7f800001
	s_and_saveexec_b64 s[36:37], vcc
	s_cbranch_execz .LBB2_4113
; %bb.4112:                             ;   in Loop: Header=BB2_4035 Depth=3
	v_and_b32_e32 v3, 7, v28
	v_lshrrev_b32_e32 v7, 3, v5
	v_cmp_gt_u32_e32 vcc, 8, v5
	v_ffbh_u32_e32 v5, v3
	v_min_u32_e32 v5, 32, v5
	v_subrev_u32_e32 v16, 28, v5
	v_lshlrev_b64 v[18:19], v16, v[28:29]
	v_sub_u32_e32 v5, 29, v5
	v_and_b32_e32 v16, 7, v18
	v_cndmask_b32_e32 v5, v7, v5, vcc
	v_cndmask_b32_e32 v3, v3, v16, vcc
	v_lshlrev_b32_e32 v7, 24, v28
	v_lshlrev_b32_e32 v3, 20, v3
	v_and_b32_e32 v7, 0x80000000, v7
	v_lshl_add_u32 v5, v5, 23, v17
	v_or3_b32 v3, v7, v5, v3
.LBB2_4113:                             ;   in Loop: Header=BB2_4035 Depth=3
	s_or_b64 exec, exec, s[36:37]
.LBB2_4114:                             ;   in Loop: Header=BB2_4035 Depth=3
	s_or_b64 exec, exec, s[42:43]
.LBB2_4115:                             ;   in Loop: Header=BB2_4035 Depth=3
	s_or_b64 exec, exec, s[40:41]
	v_mul_f32_e32 v5, v2, v3
	v_and_b32_e32 v28, 0x7f800000, v5
	v_cmp_ne_u64_e32 vcc, s[76:77], v[28:29]
                                        ; implicit-def: $vgpr35
	s_and_saveexec_b64 s[40:41], vcc
	s_xor_b64 s[42:43], exec, s[40:41]
	s_cbranch_execz .LBB2_4129
; %bb.4116:                             ;   in Loop: Header=BB2_4035 Depth=3
	v_and_b32_e32 v28, 0x7fffffff, v5
	v_cmp_gt_u64_e32 vcc, s[78:79], v[28:29]
	v_and_b32_sdwa v3, v5, s87 dst_sel:DWORD dst_unused:UNUSED_PAD src0_sel:BYTE_3 src1_sel:DWORD
                                        ; implicit-def: $vgpr35
	s_and_saveexec_b64 s[40:41], vcc
	s_xor_b64 s[36:37], exec, s[40:41]
	s_cbranch_execz .LBB2_4126
; %bb.4117:                             ;   in Loop: Header=BB2_4035 Depth=3
	v_mov_b32_e32 v35, 0
	v_cmp_ne_u32_e32 vcc, 0, v5
	s_and_saveexec_b64 s[38:39], vcc
	s_cbranch_execz .LBB2_4125
; %bb.4118:                             ;   in Loop: Header=BB2_4035 Depth=3
	v_and_b32_e32 v16, 0x7fffff, v5
	v_bfe_u32 v5, v5, 23, 8
	v_cmp_gt_u32_e64 s[40:41], s96, v5
	v_sub_u32_e32 v7, 0x79, v5
	v_cmp_eq_u32_e32 vcc, 0, v5
	v_cndmask_b32_e64 v7, 0, v7, s[40:41]
	v_or_b32_e32 v18, 0x800000, v16
	v_cndmask_b32_e32 v7, v7, v36, vcc
	v_cndmask_b32_e32 v28, v18, v16, vcc
	v_add_u32_e32 v16, 20, v7
	v_lshlrev_b64 v[18:19], v16, -1
	v_add_u32_e32 v16, 19, v7
	v_lshlrev_b64 v[22:23], v16, 1
	v_lshrrev_b64 v[46:47], v7, v[28:29]
	v_bfi_b32 v19, v19, 0, 0
	v_bfi_b32 v18, v18, 0, v28
	v_cmp_eq_u64_e64 s[40:41], v[18:19], v[22:23]
	v_mov_b32_e32 v56, v47
	v_mov_b32_e32 v55, v46
	s_and_saveexec_b64 s[48:49], s[40:41]
; %bb.4119:                             ;   in Loop: Header=BB2_4035 Depth=3
	v_bfe_u32 v16, v46, 20, 1
	v_add_co_u32_e64 v16, s[40:41], v46, v16
	v_add_co_u32_e64 v55, s[40:41], -1, v16
; %bb.4120:                             ;   in Loop: Header=BB2_4035 Depth=3
	s_or_b64 exec, exec, s[48:49]
	v_add_u32_e32 v5, 0xffffff81, v5
	v_cndmask_b32_e32 v5, v5, v37, vcc
	v_lshrrev_b32_e32 v16, 23, v46
	v_add3_u32 v16, v7, v5, v16
	v_add_u32_e32 v7, 6, v16
	v_and_b32_e32 v5, 0xfffff, v55
	v_add_u32_e32 v28, v5, v46
	v_cmp_ne_u32_e32 vcc, 0, v7
                                        ; implicit-def: $vgpr46_vgpr47
                                        ; implicit-def: $vgpr5
	s_and_saveexec_b64 s[40:41], vcc
	s_xor_b64 s[40:41], exec, s[40:41]
; %bb.4121:                             ;   in Loop: Header=BB2_4035 Depth=3
	v_cmp_lt_u64_e32 vcc, s[88:89], v[28:29]
	v_add_u32_e32 v5, 7, v16
	v_cndmask_b32_e32 v5, v7, v5, vcc
	v_cndmask_b32_e64 v7, 0, 1, vcc
	v_lshrrev_b64 v[46:47], v7, v[28:29]
; %bb.4122:                             ;   in Loop: Header=BB2_4035 Depth=3
	s_andn2_saveexec_b64 s[40:41], s[40:41]
; %bb.4123:                             ;   in Loop: Header=BB2_4035 Depth=3
	v_mov_b32_e32 v47, v29
	v_bfe_u32 v5, v28, 23, 1
	v_mov_b32_e32 v46, v28
; %bb.4124:                             ;   in Loop: Header=BB2_4035 Depth=3
	s_or_b64 exec, exec, s[40:41]
	v_lshrrev_b64 v[18:19], 20, v[46:47]
	v_cmp_gt_i32_e32 vcc, 16, v5
	v_cndmask_b32_e32 v19, 0, v19, vcc
	v_cndmask_b32_e32 v18, 7, v18, vcc
	v_cmp_eq_u32_e32 vcc, 0, v5
	v_min_i32_e32 v5, 15, v5
	v_cmp_eq_u64_e64 s[40:41], 0, v[18:19]
	v_lshlrev_b32_e32 v5, 3, v5
	v_and_b32_e32 v5, 0xf8, v5
	v_and_or_b32 v5, v18, 7, v5
	s_and_b64 s[40:41], vcc, s[40:41]
	v_cndmask_b32_e64 v5, v5, 0, s[40:41]
	v_or_b32_e32 v35, v5, v3
.LBB2_4125:                             ;   in Loop: Header=BB2_4035 Depth=3
	s_or_b64 exec, exec, s[38:39]
                                        ; implicit-def: $vgpr3
.LBB2_4126:                             ;   in Loop: Header=BB2_4035 Depth=3
	s_andn2_saveexec_b64 s[40:41], s[36:37]
; %bb.4127:                             ;   in Loop: Header=BB2_4035 Depth=3
	v_or_b32_e32 v35, 0x7e, v3
; %bb.4128:                             ;   in Loop: Header=BB2_4035 Depth=3
	s_or_b64 exec, exec, s[40:41]
                                        ; implicit-def: $vgpr5
.LBB2_4129:                             ;   in Loop: Header=BB2_4035 Depth=3
	s_andn2_saveexec_b64 s[40:41], s[42:43]
; %bb.4130:                             ;   in Loop: Header=BB2_4035 Depth=3
	v_or_b32_sdwa v35, v5, s85 dst_sel:DWORD dst_unused:UNUSED_PAD src0_sel:BYTE_3 src1_sel:DWORD
; %bb.4131:                             ;   in Loop: Header=BB2_4035 Depth=3
	s_or_b64 exec, exec, s[40:41]
	v_mov_b32_e32 v28, v9
	v_cmp_ne_u16_sdwa s[42:43], v9, v29 src0_sel:BYTE_0 src1_sel:DWORD
	v_mov_b32_e32 v3, 0
	s_and_saveexec_b64 s[40:41], s[42:43]
	s_cbranch_execz .LBB2_4137
; %bb.4132:                             ;   in Loop: Header=BB2_4035 Depth=3
	v_cmp_ne_u16_sdwa vcc, v9, s87 src0_sel:BYTE_0 src1_sel:DWORD
	v_bfrev_b32_e32 v3, 1
	s_and_saveexec_b64 s[42:43], vcc
	s_cbranch_execz .LBB2_4136
; %bb.4133:                             ;   in Loop: Header=BB2_4035 Depth=3
	v_and_b32_e32 v5, 0x7f, v9
	v_cmp_ne_u32_e32 vcc, s85, v5
	v_mov_b32_e32 v3, 0x7f800001
	s_and_saveexec_b64 s[36:37], vcc
	s_cbranch_execz .LBB2_4135
; %bb.4134:                             ;   in Loop: Header=BB2_4035 Depth=3
	v_and_b32_e32 v3, 7, v9
	v_ffbh_u32_e32 v3, v3
	v_min_u32_e32 v3, 32, v3
	v_lshrrev_b32_e32 v7, 3, v5
	v_cmp_gt_u32_e32 vcc, 8, v5
	v_subrev_u32_e32 v5, 28, v3
	v_cndmask_b32_e32 v5, 0, v5, vcc
	v_lshlrev_b64 v[18:19], v5, v[28:29]
	v_sub_u32_e32 v3, 29, v3
	v_cndmask_b32_e32 v3, v7, v3, vcc
	v_lshlrev_b32_e32 v5, 20, v18
	v_lshlrev_b32_e32 v7, 24, v28
	v_and_b32_e32 v5, 0x700000, v5
	v_and_b32_e32 v7, 0x80000000, v7
	v_lshl_add_u32 v3, v3, 23, v17
	v_or3_b32 v3, v7, v3, v5
.LBB2_4135:                             ;   in Loop: Header=BB2_4035 Depth=3
	s_or_b64 exec, exec, s[36:37]
.LBB2_4136:                             ;   in Loop: Header=BB2_4035 Depth=3
	s_or_b64 exec, exec, s[42:43]
.LBB2_4137:                             ;   in Loop: Header=BB2_4035 Depth=3
	s_or_b64 exec, exec, s[40:41]
	v_mul_f32_e32 v5, v2, v3
	v_and_b32_e32 v18, 0x7f800000, v5
	v_mov_b32_e32 v19, v29
	v_cmp_ne_u64_e32 vcc, s[76:77], v[18:19]
                                        ; implicit-def: $vgpr19
	s_and_saveexec_b64 s[40:41], vcc
	s_xor_b64 s[42:43], exec, s[40:41]
	s_cbranch_execz .LBB2_4151
; %bb.4138:                             ;   in Loop: Header=BB2_4035 Depth=3
	v_and_b32_e32 v18, 0x7fffffff, v5
	v_mov_b32_e32 v19, v29
	v_cmp_gt_u64_e32 vcc, s[78:79], v[18:19]
	v_and_b32_sdwa v3, v5, s87 dst_sel:DWORD dst_unused:UNUSED_PAD src0_sel:BYTE_3 src1_sel:DWORD
                                        ; implicit-def: $vgpr19
	s_and_saveexec_b64 s[40:41], vcc
	s_xor_b64 s[36:37], exec, s[40:41]
	s_cbranch_execz .LBB2_4148
; %bb.4139:                             ;   in Loop: Header=BB2_4035 Depth=3
	v_mov_b32_e32 v19, 0
	v_cmp_ne_u32_e32 vcc, 0, v5
	s_and_saveexec_b64 s[38:39], vcc
	s_cbranch_execz .LBB2_4147
; %bb.4140:                             ;   in Loop: Header=BB2_4035 Depth=3
	v_and_b32_e32 v16, 0x7fffff, v5
	v_bfe_u32 v5, v5, 23, 8
	v_cmp_gt_u32_e64 s[40:41], s96, v5
	v_sub_u32_e32 v7, 0x79, v5
	v_cmp_eq_u32_e32 vcc, 0, v5
	v_cndmask_b32_e64 v7, 0, v7, s[40:41]
	v_or_b32_e32 v18, 0x800000, v16
	v_cndmask_b32_e32 v7, v7, v36, vcc
	v_cndmask_b32_e32 v18, v18, v16, vcc
	v_add_u32_e32 v16, 20, v7
	v_mov_b32_e32 v19, v29
	v_lshlrev_b64 v[22:23], v16, -1
	v_add_u32_e32 v16, 19, v7
	v_lshlrev_b64 v[30:31], v16, 1
	v_lshrrev_b64 v[46:47], v7, v[18:19]
	v_bfi_b32 v23, v23, 0, 0
	v_bfi_b32 v22, v22, 0, v18
	v_cmp_eq_u64_e64 s[40:41], v[22:23], v[30:31]
	v_mov_b32_e32 v56, v47
	v_mov_b32_e32 v55, v46
	s_and_saveexec_b64 s[48:49], s[40:41]
; %bb.4141:                             ;   in Loop: Header=BB2_4035 Depth=3
	v_bfe_u32 v16, v46, 20, 1
	v_add_co_u32_e64 v16, s[40:41], v46, v16
	v_add_co_u32_e64 v55, s[40:41], -1, v16
; %bb.4142:                             ;   in Loop: Header=BB2_4035 Depth=3
	s_or_b64 exec, exec, s[48:49]
	v_add_u32_e32 v5, 0xffffff81, v5
	v_cndmask_b32_e32 v5, v5, v37, vcc
	v_lshrrev_b32_e32 v16, 23, v46
	v_add3_u32 v16, v7, v5, v16
	v_add_u32_e32 v7, 6, v16
	v_and_b32_e32 v5, 0xfffff, v55
	v_add_u32_e32 v46, v5, v46
	v_mov_b32_e32 v47, v29
	v_cmp_ne_u32_e32 vcc, 0, v7
                                        ; implicit-def: $vgpr5
	s_and_saveexec_b64 s[40:41], vcc
	s_xor_b64 s[40:41], exec, s[40:41]
; %bb.4143:                             ;   in Loop: Header=BB2_4035 Depth=3
	v_cmp_lt_u64_e32 vcc, s[88:89], v[46:47]
	v_add_u32_e32 v5, 7, v16
	v_cndmask_b32_e32 v5, v7, v5, vcc
	v_cndmask_b32_e64 v7, 0, 1, vcc
	v_lshrrev_b64 v[46:47], v7, v[46:47]
; %bb.4144:                             ;   in Loop: Header=BB2_4035 Depth=3
	s_andn2_saveexec_b64 s[40:41], s[40:41]
; %bb.4145:                             ;   in Loop: Header=BB2_4035 Depth=3
	v_bfe_u32 v5, v46, 23, 1
; %bb.4146:                             ;   in Loop: Header=BB2_4035 Depth=3
	s_or_b64 exec, exec, s[40:41]
	v_lshrrev_b64 v[18:19], 20, v[46:47]
	v_cmp_gt_i32_e32 vcc, 16, v5
	v_cndmask_b32_e32 v19, 0, v19, vcc
	v_cndmask_b32_e32 v18, 7, v18, vcc
	v_cmp_eq_u32_e32 vcc, 0, v5
	v_min_i32_e32 v5, 15, v5
	v_cmp_eq_u64_e64 s[40:41], 0, v[18:19]
	v_lshlrev_b32_e32 v5, 3, v5
	v_and_b32_e32 v5, 0xf8, v5
	v_and_or_b32 v5, v18, 7, v5
	s_and_b64 s[40:41], vcc, s[40:41]
	v_cndmask_b32_e64 v5, v5, 0, s[40:41]
	v_or_b32_e32 v19, v5, v3
.LBB2_4147:                             ;   in Loop: Header=BB2_4035 Depth=3
	s_or_b64 exec, exec, s[38:39]
                                        ; implicit-def: $vgpr3
.LBB2_4148:                             ;   in Loop: Header=BB2_4035 Depth=3
	s_andn2_saveexec_b64 s[40:41], s[36:37]
; %bb.4149:                             ;   in Loop: Header=BB2_4035 Depth=3
	v_or_b32_e32 v19, 0x7e, v3
; %bb.4150:                             ;   in Loop: Header=BB2_4035 Depth=3
	s_or_b64 exec, exec, s[40:41]
                                        ; implicit-def: $vgpr5
.LBB2_4151:                             ;   in Loop: Header=BB2_4035 Depth=3
	s_andn2_saveexec_b64 s[40:41], s[42:43]
; %bb.4152:                             ;   in Loop: Header=BB2_4035 Depth=3
	v_or_b32_sdwa v19, v5, s85 dst_sel:DWORD dst_unused:UNUSED_PAD src0_sel:BYTE_3 src1_sel:DWORD
; %bb.4153:                             ;   in Loop: Header=BB2_4035 Depth=3
	s_or_b64 exec, exec, s[40:41]
	v_lshrrev_b16_e32 v30, 8, v28
	v_cmp_ne_u16_e32 vcc, 0, v30
	v_mov_b32_e32 v3, 0
	s_and_saveexec_b64 s[40:41], vcc
	s_cbranch_execz .LBB2_4159
; %bb.4154:                             ;   in Loop: Header=BB2_4035 Depth=3
	v_cmp_ne_u16_e32 vcc, s87, v30
	v_bfrev_b32_e32 v3, 1
	s_and_saveexec_b64 s[42:43], vcc
	s_cbranch_execz .LBB2_4158
; %bb.4155:                             ;   in Loop: Header=BB2_4035 Depth=3
	v_and_b32_e32 v5, 0x7f, v30
	v_cmp_ne_u32_e32 vcc, s85, v5
	v_mov_b32_e32 v3, 0x7f800001
	s_and_saveexec_b64 s[36:37], vcc
	s_cbranch_execz .LBB2_4157
; %bb.4156:                             ;   in Loop: Header=BB2_4035 Depth=3
	v_and_b32_e32 v3, 7, v30
	v_lshrrev_b32_e32 v7, 3, v5
	v_cmp_gt_u32_e32 vcc, 8, v5
	v_ffbh_u32_e32 v5, v3
	v_min_u32_e32 v5, 32, v5
	v_subrev_u32_e32 v16, 28, v5
	v_lshlrev_b64 v[22:23], v16, v[30:31]
	v_sub_u32_e32 v5, 29, v5
	v_and_b32_e32 v16, 7, v22
	v_cndmask_b32_e32 v5, v7, v5, vcc
	v_cndmask_b32_e32 v3, v3, v16, vcc
	v_lshlrev_b32_e32 v7, 16, v28
	v_lshlrev_b32_e32 v3, 20, v3
	v_and_b32_e32 v7, 0x80000000, v7
	v_lshl_add_u32 v5, v5, 23, v17
	v_or3_b32 v3, v7, v5, v3
.LBB2_4157:                             ;   in Loop: Header=BB2_4035 Depth=3
	s_or_b64 exec, exec, s[36:37]
.LBB2_4158:                             ;   in Loop: Header=BB2_4035 Depth=3
	s_or_b64 exec, exec, s[42:43]
.LBB2_4159:                             ;   in Loop: Header=BB2_4035 Depth=3
	s_or_b64 exec, exec, s[40:41]
	v_mul_f32_e32 v5, v2, v3
	v_and_b32_e32 v28, 0x7f800000, v5
	v_cmp_ne_u64_e32 vcc, s[76:77], v[28:29]
                                        ; implicit-def: $vgpr34
	s_and_saveexec_b64 s[40:41], vcc
	s_xor_b64 s[42:43], exec, s[40:41]
	s_cbranch_execz .LBB2_4173
; %bb.4160:                             ;   in Loop: Header=BB2_4035 Depth=3
	v_and_b32_e32 v28, 0x7fffffff, v5
	v_cmp_gt_u64_e32 vcc, s[78:79], v[28:29]
	v_and_b32_sdwa v3, v5, s87 dst_sel:DWORD dst_unused:UNUSED_PAD src0_sel:BYTE_3 src1_sel:DWORD
                                        ; implicit-def: $vgpr34
	s_and_saveexec_b64 s[40:41], vcc
	s_xor_b64 s[36:37], exec, s[40:41]
	s_cbranch_execz .LBB2_4170
; %bb.4161:                             ;   in Loop: Header=BB2_4035 Depth=3
	v_mov_b32_e32 v34, 0
	v_cmp_ne_u32_e32 vcc, 0, v5
	s_and_saveexec_b64 s[38:39], vcc
	s_cbranch_execz .LBB2_4169
; %bb.4162:                             ;   in Loop: Header=BB2_4035 Depth=3
	v_and_b32_e32 v16, 0x7fffff, v5
	v_bfe_u32 v5, v5, 23, 8
	v_cmp_gt_u32_e64 s[40:41], s96, v5
	v_sub_u32_e32 v7, 0x79, v5
	v_cmp_eq_u32_e32 vcc, 0, v5
	v_cndmask_b32_e64 v7, 0, v7, s[40:41]
	v_or_b32_e32 v18, 0x800000, v16
	v_cndmask_b32_e32 v7, v7, v36, vcc
	v_cndmask_b32_e32 v28, v18, v16, vcc
	v_add_u32_e32 v16, 20, v7
	v_lshlrev_b64 v[22:23], v16, -1
	v_add_u32_e32 v16, 19, v7
	v_lshlrev_b64 v[30:31], v16, 1
	v_lshrrev_b64 v[46:47], v7, v[28:29]
	v_bfi_b32 v23, v23, 0, 0
	v_bfi_b32 v22, v22, 0, v28
	v_cmp_eq_u64_e64 s[40:41], v[22:23], v[30:31]
	v_mov_b32_e32 v56, v47
	v_mov_b32_e32 v55, v46
	s_and_saveexec_b64 s[48:49], s[40:41]
; %bb.4163:                             ;   in Loop: Header=BB2_4035 Depth=3
	v_bfe_u32 v16, v46, 20, 1
	v_add_co_u32_e64 v16, s[40:41], v46, v16
	v_add_co_u32_e64 v55, s[40:41], -1, v16
; %bb.4164:                             ;   in Loop: Header=BB2_4035 Depth=3
	s_or_b64 exec, exec, s[48:49]
	v_add_u32_e32 v5, 0xffffff81, v5
	v_cndmask_b32_e32 v5, v5, v37, vcc
	v_lshrrev_b32_e32 v16, 23, v46
	v_add3_u32 v16, v7, v5, v16
	v_add_u32_e32 v7, 6, v16
	v_and_b32_e32 v5, 0xfffff, v55
	v_add_u32_e32 v28, v5, v46
	v_cmp_ne_u32_e32 vcc, 0, v7
                                        ; implicit-def: $vgpr46_vgpr47
                                        ; implicit-def: $vgpr5
	s_and_saveexec_b64 s[40:41], vcc
	s_xor_b64 s[40:41], exec, s[40:41]
; %bb.4165:                             ;   in Loop: Header=BB2_4035 Depth=3
	v_cmp_lt_u64_e32 vcc, s[88:89], v[28:29]
	v_add_u32_e32 v5, 7, v16
	v_cndmask_b32_e32 v5, v7, v5, vcc
	v_cndmask_b32_e64 v7, 0, 1, vcc
	v_lshrrev_b64 v[46:47], v7, v[28:29]
; %bb.4166:                             ;   in Loop: Header=BB2_4035 Depth=3
	s_andn2_saveexec_b64 s[40:41], s[40:41]
; %bb.4167:                             ;   in Loop: Header=BB2_4035 Depth=3
	v_mov_b32_e32 v47, v29
	v_bfe_u32 v5, v28, 23, 1
	v_mov_b32_e32 v46, v28
; %bb.4168:                             ;   in Loop: Header=BB2_4035 Depth=3
	s_or_b64 exec, exec, s[40:41]
	v_lshrrev_b64 v[22:23], 20, v[46:47]
	v_cmp_gt_i32_e32 vcc, 16, v5
	v_cndmask_b32_e32 v23, 0, v23, vcc
	v_cndmask_b32_e32 v22, 7, v22, vcc
	v_cmp_eq_u32_e32 vcc, 0, v5
	v_min_i32_e32 v5, 15, v5
	v_cmp_eq_u64_e64 s[40:41], 0, v[22:23]
	v_lshlrev_b32_e32 v5, 3, v5
	v_and_b32_e32 v5, 0xf8, v5
	v_and_or_b32 v5, v22, 7, v5
	s_and_b64 s[40:41], vcc, s[40:41]
	v_cndmask_b32_e64 v5, v5, 0, s[40:41]
	v_or_b32_e32 v34, v5, v3
.LBB2_4169:                             ;   in Loop: Header=BB2_4035 Depth=3
	s_or_b64 exec, exec, s[38:39]
                                        ; implicit-def: $vgpr3
.LBB2_4170:                             ;   in Loop: Header=BB2_4035 Depth=3
	s_andn2_saveexec_b64 s[40:41], s[36:37]
; %bb.4171:                             ;   in Loop: Header=BB2_4035 Depth=3
	v_or_b32_e32 v34, 0x7e, v3
; %bb.4172:                             ;   in Loop: Header=BB2_4035 Depth=3
	s_or_b64 exec, exec, s[40:41]
                                        ; implicit-def: $vgpr5
.LBB2_4173:                             ;   in Loop: Header=BB2_4035 Depth=3
	s_andn2_saveexec_b64 s[40:41], s[42:43]
; %bb.4174:                             ;   in Loop: Header=BB2_4035 Depth=3
	v_or_b32_sdwa v34, v5, s85 dst_sel:DWORD dst_unused:UNUSED_PAD src0_sel:BYTE_3 src1_sel:DWORD
; %bb.4175:                             ;   in Loop: Header=BB2_4035 Depth=3
	s_or_b64 exec, exec, s[40:41]
	v_lshrrev_b32_e32 v28, 16, v9
	v_cmp_ne_u16_sdwa s[42:43], v28, v29 src0_sel:BYTE_0 src1_sel:DWORD
	v_mov_b32_e32 v3, 0
	s_and_saveexec_b64 s[40:41], s[42:43]
	s_cbranch_execz .LBB2_4181
; %bb.4176:                             ;   in Loop: Header=BB2_4035 Depth=3
	v_cmp_ne_u16_sdwa vcc, v28, s87 src0_sel:BYTE_0 src1_sel:DWORD
	v_bfrev_b32_e32 v3, 1
	s_and_saveexec_b64 s[42:43], vcc
	s_cbranch_execz .LBB2_4180
; %bb.4177:                             ;   in Loop: Header=BB2_4035 Depth=3
	v_bfe_u32 v5, v9, 16, 7
	v_cmp_ne_u32_e32 vcc, s85, v5
	v_mov_b32_e32 v3, 0x7f800001
	s_and_saveexec_b64 s[36:37], vcc
	s_cbranch_execz .LBB2_4179
; %bb.4178:                             ;   in Loop: Header=BB2_4035 Depth=3
	v_and_b32_e32 v3, 7, v28
	v_lshrrev_b32_e32 v7, 3, v5
	v_cmp_gt_u32_e32 vcc, 8, v5
	v_ffbh_u32_e32 v5, v3
	v_min_u32_e32 v5, 32, v5
	v_subrev_u32_e32 v16, 28, v5
	v_lshlrev_b64 v[22:23], v16, v[28:29]
	v_sub_u32_e32 v5, 29, v5
	v_and_b32_e32 v16, 7, v22
	v_cndmask_b32_e32 v5, v7, v5, vcc
	v_cndmask_b32_e32 v3, v3, v16, vcc
	v_lshlrev_b32_e32 v7, 24, v28
	v_lshlrev_b32_e32 v3, 20, v3
	v_and_b32_e32 v7, 0x80000000, v7
	v_lshl_add_u32 v5, v5, 23, v17
	v_or3_b32 v3, v7, v5, v3
.LBB2_4179:                             ;   in Loop: Header=BB2_4035 Depth=3
	s_or_b64 exec, exec, s[36:37]
.LBB2_4180:                             ;   in Loop: Header=BB2_4035 Depth=3
	s_or_b64 exec, exec, s[42:43]
.LBB2_4181:                             ;   in Loop: Header=BB2_4035 Depth=3
	s_or_b64 exec, exec, s[40:41]
	v_mul_f32_e32 v5, v2, v3
	v_and_b32_e32 v28, 0x7f800000, v5
	v_cmp_ne_u64_e32 vcc, s[76:77], v[28:29]
                                        ; implicit-def: $vgpr23
	s_and_saveexec_b64 s[40:41], vcc
	s_xor_b64 s[42:43], exec, s[40:41]
	s_cbranch_execz .LBB2_4195
; %bb.4182:                             ;   in Loop: Header=BB2_4035 Depth=3
	v_and_b32_e32 v28, 0x7fffffff, v5
	v_cmp_gt_u64_e32 vcc, s[78:79], v[28:29]
	v_and_b32_sdwa v3, v5, s87 dst_sel:DWORD dst_unused:UNUSED_PAD src0_sel:BYTE_3 src1_sel:DWORD
                                        ; implicit-def: $vgpr23
	s_and_saveexec_b64 s[40:41], vcc
	s_xor_b64 s[36:37], exec, s[40:41]
	s_cbranch_execz .LBB2_4192
; %bb.4183:                             ;   in Loop: Header=BB2_4035 Depth=3
	v_mov_b32_e32 v23, 0
	v_cmp_ne_u32_e32 vcc, 0, v5
	s_and_saveexec_b64 s[38:39], vcc
	s_cbranch_execz .LBB2_4191
; %bb.4184:                             ;   in Loop: Header=BB2_4035 Depth=3
	v_and_b32_e32 v16, 0x7fffff, v5
	v_bfe_u32 v5, v5, 23, 8
	v_cmp_gt_u32_e64 s[40:41], s96, v5
	v_sub_u32_e32 v7, 0x79, v5
	v_cmp_eq_u32_e32 vcc, 0, v5
	v_cndmask_b32_e64 v7, 0, v7, s[40:41]
	v_or_b32_e32 v18, 0x800000, v16
	v_cndmask_b32_e32 v7, v7, v36, vcc
	v_cndmask_b32_e32 v28, v18, v16, vcc
	v_add_u32_e32 v16, 20, v7
	v_lshlrev_b64 v[22:23], v16, -1
	v_add_u32_e32 v16, 19, v7
	v_lshlrev_b64 v[30:31], v16, 1
	v_lshrrev_b64 v[46:47], v7, v[28:29]
	v_bfi_b32 v23, v23, 0, 0
	v_bfi_b32 v22, v22, 0, v28
	v_cmp_eq_u64_e64 s[40:41], v[22:23], v[30:31]
	v_mov_b32_e32 v56, v47
	v_mov_b32_e32 v55, v46
	s_and_saveexec_b64 s[48:49], s[40:41]
; %bb.4185:                             ;   in Loop: Header=BB2_4035 Depth=3
	v_bfe_u32 v16, v46, 20, 1
	v_add_co_u32_e64 v16, s[40:41], v46, v16
	v_add_co_u32_e64 v55, s[40:41], -1, v16
; %bb.4186:                             ;   in Loop: Header=BB2_4035 Depth=3
	s_or_b64 exec, exec, s[48:49]
	v_add_u32_e32 v5, 0xffffff81, v5
	v_cndmask_b32_e32 v5, v5, v37, vcc
	v_lshrrev_b32_e32 v16, 23, v46
	v_add3_u32 v16, v7, v5, v16
	v_add_u32_e32 v7, 6, v16
	v_and_b32_e32 v5, 0xfffff, v55
	v_add_u32_e32 v28, v5, v46
	v_cmp_ne_u32_e32 vcc, 0, v7
                                        ; implicit-def: $vgpr46_vgpr47
                                        ; implicit-def: $vgpr5
	s_and_saveexec_b64 s[40:41], vcc
	s_xor_b64 s[40:41], exec, s[40:41]
; %bb.4187:                             ;   in Loop: Header=BB2_4035 Depth=3
	v_cmp_lt_u64_e32 vcc, s[88:89], v[28:29]
	v_add_u32_e32 v5, 7, v16
	v_cndmask_b32_e32 v5, v7, v5, vcc
	v_cndmask_b32_e64 v7, 0, 1, vcc
	v_lshrrev_b64 v[46:47], v7, v[28:29]
; %bb.4188:                             ;   in Loop: Header=BB2_4035 Depth=3
	s_andn2_saveexec_b64 s[40:41], s[40:41]
; %bb.4189:                             ;   in Loop: Header=BB2_4035 Depth=3
	v_mov_b32_e32 v47, v29
	v_bfe_u32 v5, v28, 23, 1
	v_mov_b32_e32 v46, v28
; %bb.4190:                             ;   in Loop: Header=BB2_4035 Depth=3
	s_or_b64 exec, exec, s[40:41]
	v_lshrrev_b64 v[22:23], 20, v[46:47]
	v_cmp_gt_i32_e32 vcc, 16, v5
	v_cndmask_b32_e32 v23, 0, v23, vcc
	v_cndmask_b32_e32 v22, 7, v22, vcc
	v_cmp_eq_u32_e32 vcc, 0, v5
	v_min_i32_e32 v5, 15, v5
	v_cmp_eq_u64_e64 s[40:41], 0, v[22:23]
	v_lshlrev_b32_e32 v5, 3, v5
	v_and_b32_e32 v5, 0xf8, v5
	v_and_or_b32 v5, v22, 7, v5
	s_and_b64 s[40:41], vcc, s[40:41]
	v_cndmask_b32_e64 v5, v5, 0, s[40:41]
	v_or_b32_e32 v23, v5, v3
.LBB2_4191:                             ;   in Loop: Header=BB2_4035 Depth=3
	s_or_b64 exec, exec, s[38:39]
                                        ; implicit-def: $vgpr3
.LBB2_4192:                             ;   in Loop: Header=BB2_4035 Depth=3
	s_andn2_saveexec_b64 s[40:41], s[36:37]
; %bb.4193:                             ;   in Loop: Header=BB2_4035 Depth=3
	v_or_b32_e32 v23, 0x7e, v3
; %bb.4194:                             ;   in Loop: Header=BB2_4035 Depth=3
	s_or_b64 exec, exec, s[40:41]
                                        ; implicit-def: $vgpr5
.LBB2_4195:                             ;   in Loop: Header=BB2_4035 Depth=3
	s_andn2_saveexec_b64 s[40:41], s[42:43]
; %bb.4196:                             ;   in Loop: Header=BB2_4035 Depth=3
	v_or_b32_sdwa v23, v5, s85 dst_sel:DWORD dst_unused:UNUSED_PAD src0_sel:BYTE_3 src1_sel:DWORD
; %bb.4197:                             ;   in Loop: Header=BB2_4035 Depth=3
	s_or_b64 exec, exec, s[40:41]
	v_cmp_lt_u64_e32 vcc, s[56:57], v[8:9]
	v_mov_b32_e32 v3, 0
	s_and_saveexec_b64 s[40:41], vcc
	s_cbranch_execz .LBB2_4203
; %bb.4198:                             ;   in Loop: Header=BB2_4035 Depth=3
	v_lshrrev_b32_e32 v8, 24, v9
	v_cmp_ne_u32_e32 vcc, s87, v8
	v_bfrev_b32_e32 v3, 1
	s_and_saveexec_b64 s[42:43], vcc
	s_cbranch_execz .LBB2_4202
; %bb.4199:                             ;   in Loop: Header=BB2_4035 Depth=3
	v_bfe_u32 v5, v9, 24, 7
	v_cmp_ne_u32_e32 vcc, s85, v5
	v_mov_b32_e32 v3, 0x7f800001
	s_and_saveexec_b64 s[36:37], vcc
	s_cbranch_execz .LBB2_4201
; %bb.4200:                             ;   in Loop: Header=BB2_4035 Depth=3
	v_and_b32_e32 v3, 7, v8
	v_lshrrev_b32_e32 v7, 3, v5
	v_cmp_gt_u32_e32 vcc, 8, v5
	v_ffbh_u32_e32 v5, v3
	v_min_u32_e32 v5, 32, v5
	v_subrev_u32_e32 v9, 28, v5
	v_lshlrev_b64 v[30:31], v9, v[8:9]
	v_sub_u32_e32 v5, 29, v5
	v_and_b32_e32 v9, 7, v30
	v_cndmask_b32_e32 v5, v7, v5, vcc
	v_cndmask_b32_e32 v3, v3, v9, vcc
	v_lshlrev_b32_e32 v7, 24, v8
	v_lshlrev_b32_e32 v3, 20, v3
	v_and_b32_e32 v7, 0x80000000, v7
	v_lshl_add_u32 v5, v5, 23, v17
	v_or3_b32 v3, v7, v5, v3
.LBB2_4201:                             ;   in Loop: Header=BB2_4035 Depth=3
	s_or_b64 exec, exec, s[36:37]
.LBB2_4202:                             ;   in Loop: Header=BB2_4035 Depth=3
	s_or_b64 exec, exec, s[42:43]
.LBB2_4203:                             ;   in Loop: Header=BB2_4035 Depth=3
	s_or_b64 exec, exec, s[40:41]
	v_mul_f32_e32 v5, v2, v3
	v_and_b32_e32 v28, 0x7f800000, v5
	v_cmp_ne_u64_e32 vcc, s[76:77], v[28:29]
                                        ; implicit-def: $vgpr33
	s_and_saveexec_b64 s[40:41], vcc
	s_xor_b64 s[42:43], exec, s[40:41]
	s_cbranch_execz .LBB2_4217
; %bb.4204:                             ;   in Loop: Header=BB2_4035 Depth=3
	v_and_b32_e32 v28, 0x7fffffff, v5
	v_cmp_gt_u64_e32 vcc, s[78:79], v[28:29]
	v_and_b32_sdwa v3, v5, s87 dst_sel:DWORD dst_unused:UNUSED_PAD src0_sel:BYTE_3 src1_sel:DWORD
                                        ; implicit-def: $vgpr33
	s_and_saveexec_b64 s[40:41], vcc
	s_xor_b64 s[36:37], exec, s[40:41]
	s_cbranch_execz .LBB2_4214
; %bb.4205:                             ;   in Loop: Header=BB2_4035 Depth=3
	v_mov_b32_e32 v33, 0
	v_cmp_ne_u32_e32 vcc, 0, v5
	s_and_saveexec_b64 s[38:39], vcc
	s_cbranch_execz .LBB2_4213
; %bb.4206:                             ;   in Loop: Header=BB2_4035 Depth=3
	v_and_b32_e32 v8, 0x7fffff, v5
	v_bfe_u32 v5, v5, 23, 8
	v_cmp_gt_u32_e64 s[40:41], s96, v5
	v_sub_u32_e32 v7, 0x79, v5
	v_cmp_eq_u32_e32 vcc, 0, v5
	v_cndmask_b32_e64 v7, 0, v7, s[40:41]
	v_or_b32_e32 v9, 0x800000, v8
	v_cndmask_b32_e32 v7, v7, v36, vcc
	v_cndmask_b32_e32 v28, v9, v8, vcc
	v_add_u32_e32 v8, 20, v7
	v_lshlrev_b64 v[8:9], v8, -1
	v_add_u32_e32 v16, 19, v7
	v_lshlrev_b64 v[30:31], v16, 1
	v_bfi_b32 v9, v9, 0, 0
	v_bfi_b32 v8, v8, 0, v28
	v_cmp_eq_u64_e64 s[40:41], v[8:9], v[30:31]
	v_lshrrev_b64 v[8:9], v7, v[28:29]
	v_mov_b32_e32 v47, v9
	v_mov_b32_e32 v46, v8
	s_and_saveexec_b64 s[48:49], s[40:41]
; %bb.4207:                             ;   in Loop: Header=BB2_4035 Depth=3
	v_bfe_u32 v9, v8, 20, 1
	v_add_co_u32_e64 v9, s[40:41], v8, v9
	v_add_co_u32_e64 v46, s[40:41], -1, v9
; %bb.4208:                             ;   in Loop: Header=BB2_4035 Depth=3
	s_or_b64 exec, exec, s[48:49]
	v_add_u32_e32 v5, 0xffffff81, v5
	v_cndmask_b32_e32 v5, v5, v37, vcc
	v_lshrrev_b32_e32 v9, 23, v8
	v_add3_u32 v16, v7, v5, v9
	v_add_u32_e32 v7, 6, v16
	v_and_b32_e32 v5, 0xfffff, v46
	v_add_u32_e32 v28, v5, v8
	v_cmp_ne_u32_e32 vcc, 0, v7
                                        ; implicit-def: $vgpr8_vgpr9
                                        ; implicit-def: $vgpr5
	s_and_saveexec_b64 s[40:41], vcc
	s_xor_b64 s[40:41], exec, s[40:41]
; %bb.4209:                             ;   in Loop: Header=BB2_4035 Depth=3
	v_cmp_lt_u64_e32 vcc, s[88:89], v[28:29]
	v_add_u32_e32 v5, 7, v16
	v_cndmask_b32_e32 v5, v7, v5, vcc
	v_cndmask_b32_e64 v7, 0, 1, vcc
	v_lshrrev_b64 v[8:9], v7, v[28:29]
; %bb.4210:                             ;   in Loop: Header=BB2_4035 Depth=3
	s_andn2_saveexec_b64 s[40:41], s[40:41]
; %bb.4211:                             ;   in Loop: Header=BB2_4035 Depth=3
	v_mov_b32_e32 v8, v28
	v_bfe_u32 v5, v28, 23, 1
	v_mov_b32_e32 v9, v29
; %bb.4212:                             ;   in Loop: Header=BB2_4035 Depth=3
	s_or_b64 exec, exec, s[40:41]
	v_lshrrev_b64 v[7:8], 20, v[8:9]
	v_cmp_gt_i32_e32 vcc, 16, v5
	v_cndmask_b32_e32 v8, 0, v8, vcc
	v_cndmask_b32_e32 v7, 7, v7, vcc
	v_cmp_eq_u32_e32 vcc, 0, v5
	v_min_i32_e32 v5, 15, v5
	v_cmp_eq_u64_e64 s[40:41], 0, v[7:8]
	v_lshlrev_b32_e32 v5, 3, v5
	v_and_b32_e32 v5, 0xf8, v5
	v_and_or_b32 v5, v7, 7, v5
	s_and_b64 s[40:41], vcc, s[40:41]
	v_cndmask_b32_e64 v5, v5, 0, s[40:41]
	v_or_b32_e32 v33, v5, v3
.LBB2_4213:                             ;   in Loop: Header=BB2_4035 Depth=3
	s_or_b64 exec, exec, s[38:39]
                                        ; implicit-def: $vgpr3
.LBB2_4214:                             ;   in Loop: Header=BB2_4035 Depth=3
	s_andn2_saveexec_b64 s[40:41], s[36:37]
; %bb.4215:                             ;   in Loop: Header=BB2_4035 Depth=3
	v_or_b32_e32 v33, 0x7e, v3
; %bb.4216:                             ;   in Loop: Header=BB2_4035 Depth=3
	s_or_b64 exec, exec, s[40:41]
                                        ; implicit-def: $vgpr5
.LBB2_4217:                             ;   in Loop: Header=BB2_4035 Depth=3
	s_andn2_saveexec_b64 s[40:41], s[42:43]
; %bb.4218:                             ;   in Loop: Header=BB2_4035 Depth=3
	v_or_b32_sdwa v33, v5, s85 dst_sel:DWORD dst_unused:UNUSED_PAD src0_sel:BYTE_3 src1_sel:DWORD
; %bb.4219:                             ;   in Loop: Header=BB2_4035 Depth=3
	s_or_b64 exec, exec, s[40:41]
	v_cmp_ne_u16_sdwa s[42:43], v10, v29 src0_sel:BYTE_0 src1_sel:DWORD
	v_mov_b32_e32 v3, 0
	s_and_saveexec_b64 s[40:41], s[42:43]
	s_cbranch_execz .LBB2_4225
; %bb.4220:                             ;   in Loop: Header=BB2_4035 Depth=3
	v_cmp_ne_u16_sdwa vcc, v10, s87 src0_sel:BYTE_0 src1_sel:DWORD
	v_bfrev_b32_e32 v3, 1
	s_and_saveexec_b64 s[42:43], vcc
	s_cbranch_execz .LBB2_4224
; %bb.4221:                             ;   in Loop: Header=BB2_4035 Depth=3
	v_and_b32_e32 v5, 0x7f, v10
	v_cmp_ne_u32_e32 vcc, s85, v5
	v_mov_b32_e32 v3, 0x7f800001
	s_and_saveexec_b64 s[36:37], vcc
	s_cbranch_execz .LBB2_4223
; %bb.4222:                             ;   in Loop: Header=BB2_4035 Depth=3
	v_and_b32_e32 v3, 7, v10
	v_ffbh_u32_e32 v3, v3
	v_min_u32_e32 v3, 32, v3
	v_lshrrev_b32_e32 v7, 3, v5
	v_cmp_gt_u32_e32 vcc, 8, v5
	v_subrev_u32_e32 v5, 28, v3
	v_sub_u32_e32 v3, 29, v3
	v_cndmask_b32_e32 v5, 0, v5, vcc
	v_cndmask_b32_e32 v3, v7, v3, vcc
	v_lshlrev_b64 v[7:8], v5, v[10:11]
	v_lshl_add_u32 v3, v3, 23, v17
	v_lshlrev_b32_e32 v5, 20, v7
	v_lshlrev_b32_e32 v7, 24, v10
	v_and_b32_e32 v5, 0x700000, v5
	v_and_b32_e32 v7, 0x80000000, v7
	v_or3_b32 v3, v7, v3, v5
.LBB2_4223:                             ;   in Loop: Header=BB2_4035 Depth=3
	s_or_b64 exec, exec, s[36:37]
.LBB2_4224:                             ;   in Loop: Header=BB2_4035 Depth=3
	s_or_b64 exec, exec, s[42:43]
.LBB2_4225:                             ;   in Loop: Header=BB2_4035 Depth=3
	s_or_b64 exec, exec, s[40:41]
	v_mul_f32_e32 v5, v2, v3
	v_and_b32_e32 v28, 0x7f800000, v5
	v_cmp_ne_u64_e32 vcc, s[76:77], v[28:29]
                                        ; implicit-def: $vgpr7
	s_and_saveexec_b64 s[40:41], vcc
	s_xor_b64 s[42:43], exec, s[40:41]
	s_cbranch_execz .LBB2_4239
; %bb.4226:                             ;   in Loop: Header=BB2_4035 Depth=3
	v_and_b32_e32 v28, 0x7fffffff, v5
	v_cmp_gt_u64_e32 vcc, s[78:79], v[28:29]
	v_and_b32_sdwa v3, v5, s87 dst_sel:DWORD dst_unused:UNUSED_PAD src0_sel:BYTE_3 src1_sel:DWORD
                                        ; implicit-def: $vgpr7
	s_and_saveexec_b64 s[40:41], vcc
	s_xor_b64 s[36:37], exec, s[40:41]
	s_cbranch_execz .LBB2_4236
; %bb.4227:                             ;   in Loop: Header=BB2_4035 Depth=3
	v_mov_b32_e32 v7, 0
	v_cmp_ne_u32_e32 vcc, 0, v5
	s_and_saveexec_b64 s[38:39], vcc
	s_cbranch_execz .LBB2_4235
; %bb.4228:                             ;   in Loop: Header=BB2_4035 Depth=3
	v_and_b32_e32 v8, 0x7fffff, v5
	v_bfe_u32 v5, v5, 23, 8
	v_cmp_gt_u32_e64 s[40:41], s96, v5
	v_sub_u32_e32 v7, 0x79, v5
	v_cmp_eq_u32_e32 vcc, 0, v5
	v_cndmask_b32_e64 v7, 0, v7, s[40:41]
	v_or_b32_e32 v9, 0x800000, v8
	v_cndmask_b32_e32 v7, v7, v36, vcc
	v_cndmask_b32_e32 v28, v9, v8, vcc
	v_add_u32_e32 v8, 20, v7
	v_lshlrev_b64 v[8:9], v8, -1
	v_add_u32_e32 v16, 19, v7
	v_lshlrev_b64 v[30:31], v16, 1
	v_bfi_b32 v9, v9, 0, 0
	v_bfi_b32 v8, v8, 0, v28
	v_cmp_eq_u64_e64 s[40:41], v[8:9], v[30:31]
	v_lshrrev_b64 v[8:9], v7, v[28:29]
	v_mov_b32_e32 v47, v9
	v_mov_b32_e32 v46, v8
	s_and_saveexec_b64 s[48:49], s[40:41]
; %bb.4229:                             ;   in Loop: Header=BB2_4035 Depth=3
	v_bfe_u32 v9, v8, 20, 1
	v_add_co_u32_e64 v9, s[40:41], v8, v9
	v_add_co_u32_e64 v46, s[40:41], -1, v9
; %bb.4230:                             ;   in Loop: Header=BB2_4035 Depth=3
	s_or_b64 exec, exec, s[48:49]
	v_add_u32_e32 v5, 0xffffff81, v5
	v_cndmask_b32_e32 v5, v5, v37, vcc
	v_lshrrev_b32_e32 v9, 23, v8
	v_add3_u32 v16, v7, v5, v9
	v_add_u32_e32 v7, 6, v16
	v_and_b32_e32 v5, 0xfffff, v46
	v_add_u32_e32 v28, v5, v8
	v_cmp_ne_u32_e32 vcc, 0, v7
                                        ; implicit-def: $vgpr8_vgpr9
                                        ; implicit-def: $vgpr5
	s_and_saveexec_b64 s[40:41], vcc
	s_xor_b64 s[40:41], exec, s[40:41]
; %bb.4231:                             ;   in Loop: Header=BB2_4035 Depth=3
	v_cmp_lt_u64_e32 vcc, s[88:89], v[28:29]
	v_add_u32_e32 v5, 7, v16
	v_cndmask_b32_e32 v5, v7, v5, vcc
	v_cndmask_b32_e64 v7, 0, 1, vcc
	v_lshrrev_b64 v[8:9], v7, v[28:29]
; %bb.4232:                             ;   in Loop: Header=BB2_4035 Depth=3
	s_andn2_saveexec_b64 s[40:41], s[40:41]
; %bb.4233:                             ;   in Loop: Header=BB2_4035 Depth=3
	v_mov_b32_e32 v8, v28
	v_bfe_u32 v5, v28, 23, 1
	v_mov_b32_e32 v9, v29
; %bb.4234:                             ;   in Loop: Header=BB2_4035 Depth=3
	s_or_b64 exec, exec, s[40:41]
	v_lshrrev_b64 v[7:8], 20, v[8:9]
	v_cmp_gt_i32_e32 vcc, 16, v5
	v_cndmask_b32_e32 v8, 0, v8, vcc
	v_cndmask_b32_e32 v7, 7, v7, vcc
	v_cmp_eq_u32_e32 vcc, 0, v5
	v_min_i32_e32 v5, 15, v5
	v_cmp_eq_u64_e64 s[40:41], 0, v[7:8]
	v_lshlrev_b32_e32 v5, 3, v5
	v_and_b32_e32 v5, 0xf8, v5
	v_and_or_b32 v5, v7, 7, v5
	s_and_b64 s[40:41], vcc, s[40:41]
	v_cndmask_b32_e64 v5, v5, 0, s[40:41]
	v_or_b32_e32 v7, v5, v3
.LBB2_4235:                             ;   in Loop: Header=BB2_4035 Depth=3
	s_or_b64 exec, exec, s[38:39]
                                        ; implicit-def: $vgpr3
.LBB2_4236:                             ;   in Loop: Header=BB2_4035 Depth=3
	s_andn2_saveexec_b64 s[40:41], s[36:37]
; %bb.4237:                             ;   in Loop: Header=BB2_4035 Depth=3
	v_or_b32_e32 v7, 0x7e, v3
; %bb.4238:                             ;   in Loop: Header=BB2_4035 Depth=3
	s_or_b64 exec, exec, s[40:41]
                                        ; implicit-def: $vgpr5
.LBB2_4239:                             ;   in Loop: Header=BB2_4035 Depth=3
	s_andn2_saveexec_b64 s[40:41], s[42:43]
; %bb.4240:                             ;   in Loop: Header=BB2_4035 Depth=3
	v_or_b32_sdwa v7, v5, s85 dst_sel:DWORD dst_unused:UNUSED_PAD src0_sel:BYTE_3 src1_sel:DWORD
; %bb.4241:                             ;   in Loop: Header=BB2_4035 Depth=3
	s_or_b64 exec, exec, s[40:41]
	v_lshrrev_b16_e32 v8, 8, v10
	v_cmp_ne_u16_e32 vcc, 0, v8
	v_mov_b32_e32 v3, 0
	s_and_saveexec_b64 s[40:41], vcc
	s_cbranch_execz .LBB2_4247
; %bb.4242:                             ;   in Loop: Header=BB2_4035 Depth=3
	v_cmp_ne_u16_e32 vcc, s87, v8
	v_bfrev_b32_e32 v3, 1
	s_and_saveexec_b64 s[42:43], vcc
	s_cbranch_execz .LBB2_4246
; %bb.4243:                             ;   in Loop: Header=BB2_4035 Depth=3
	v_and_b32_e32 v5, 0x7f, v8
	v_cmp_ne_u32_e32 vcc, s85, v5
	v_mov_b32_e32 v3, 0x7f800001
	s_and_saveexec_b64 s[36:37], vcc
	s_cbranch_execz .LBB2_4245
; %bb.4244:                             ;   in Loop: Header=BB2_4035 Depth=3
	v_and_b32_e32 v3, 7, v8
	v_lshrrev_b32_e32 v16, 3, v5
	v_cmp_gt_u32_e32 vcc, 8, v5
	v_ffbh_u32_e32 v5, v3
	v_min_u32_e32 v5, 32, v5
	v_subrev_u32_e32 v9, 28, v5
	v_lshlrev_b64 v[8:9], v9, v[8:9]
	v_sub_u32_e32 v5, 29, v5
	v_and_b32_e32 v8, 7, v8
	v_cndmask_b32_e32 v5, v16, v5, vcc
	v_cndmask_b32_e32 v3, v3, v8, vcc
	v_lshlrev_b32_e32 v8, 16, v10
	v_lshlrev_b32_e32 v3, 20, v3
	v_and_b32_e32 v8, 0x80000000, v8
	v_lshl_add_u32 v5, v5, 23, v17
	v_or3_b32 v3, v8, v5, v3
.LBB2_4245:                             ;   in Loop: Header=BB2_4035 Depth=3
	s_or_b64 exec, exec, s[36:37]
.LBB2_4246:                             ;   in Loop: Header=BB2_4035 Depth=3
	s_or_b64 exec, exec, s[42:43]
.LBB2_4247:                             ;   in Loop: Header=BB2_4035 Depth=3
	s_or_b64 exec, exec, s[40:41]
	v_mul_f32_e32 v5, v2, v3
	v_and_b32_e32 v28, 0x7f800000, v5
	v_cmp_ne_u64_e32 vcc, s[76:77], v[28:29]
                                        ; implicit-def: $vgpr24
	s_and_saveexec_b64 s[40:41], vcc
	s_xor_b64 s[42:43], exec, s[40:41]
	s_cbranch_execz .LBB2_4261
; %bb.4248:                             ;   in Loop: Header=BB2_4035 Depth=3
	v_and_b32_e32 v28, 0x7fffffff, v5
	v_cmp_gt_u64_e32 vcc, s[78:79], v[28:29]
	v_and_b32_sdwa v3, v5, s87 dst_sel:DWORD dst_unused:UNUSED_PAD src0_sel:BYTE_3 src1_sel:DWORD
                                        ; implicit-def: $vgpr24
	s_and_saveexec_b64 s[40:41], vcc
	s_xor_b64 s[36:37], exec, s[40:41]
	s_cbranch_execz .LBB2_4258
; %bb.4249:                             ;   in Loop: Header=BB2_4035 Depth=3
	v_mov_b32_e32 v24, 0
	v_cmp_ne_u32_e32 vcc, 0, v5
	s_and_saveexec_b64 s[38:39], vcc
	s_cbranch_execz .LBB2_4257
; %bb.4250:                             ;   in Loop: Header=BB2_4035 Depth=3
	v_and_b32_e32 v8, 0x7fffff, v5
	v_bfe_u32 v5, v5, 23, 8
	v_cmp_gt_u32_e64 s[40:41], s96, v5
	v_sub_u32_e32 v9, 0x79, v5
	v_cmp_eq_u32_e32 vcc, 0, v5
	v_cndmask_b32_e64 v9, 0, v9, s[40:41]
	v_or_b32_e32 v18, 0x800000, v8
	v_cndmask_b32_e32 v16, v9, v36, vcc
	v_cndmask_b32_e32 v28, v18, v8, vcc
	v_add_u32_e32 v8, 20, v16
	v_lshlrev_b64 v[8:9], v8, -1
	v_add_u32_e32 v18, 19, v16
	v_lshlrev_b64 v[30:31], v18, 1
	v_bfi_b32 v9, v9, 0, 0
	v_bfi_b32 v8, v8, 0, v28
	v_cmp_eq_u64_e64 s[40:41], v[8:9], v[30:31]
	v_lshrrev_b64 v[8:9], v16, v[28:29]
	v_mov_b32_e32 v47, v9
	v_mov_b32_e32 v46, v8
	s_and_saveexec_b64 s[48:49], s[40:41]
; %bb.4251:                             ;   in Loop: Header=BB2_4035 Depth=3
	v_bfe_u32 v9, v8, 20, 1
	v_add_co_u32_e64 v9, s[40:41], v8, v9
	v_add_co_u32_e64 v46, s[40:41], -1, v9
; %bb.4252:                             ;   in Loop: Header=BB2_4035 Depth=3
	s_or_b64 exec, exec, s[48:49]
	v_add_u32_e32 v5, 0xffffff81, v5
	v_cndmask_b32_e32 v5, v5, v37, vcc
	v_lshrrev_b32_e32 v9, 23, v8
	v_add3_u32 v18, v16, v5, v9
	v_add_u32_e32 v16, 6, v18
	v_and_b32_e32 v5, 0xfffff, v46
	v_add_u32_e32 v28, v5, v8
	v_cmp_ne_u32_e32 vcc, 0, v16
                                        ; implicit-def: $vgpr8_vgpr9
                                        ; implicit-def: $vgpr5
	s_and_saveexec_b64 s[40:41], vcc
	s_xor_b64 s[40:41], exec, s[40:41]
; %bb.4253:                             ;   in Loop: Header=BB2_4035 Depth=3
	v_cmp_lt_u64_e32 vcc, s[88:89], v[28:29]
	v_add_u32_e32 v5, 7, v18
	v_cndmask_b32_e64 v8, 0, 1, vcc
	v_cndmask_b32_e32 v5, v16, v5, vcc
	v_lshrrev_b64 v[8:9], v8, v[28:29]
; %bb.4254:                             ;   in Loop: Header=BB2_4035 Depth=3
	s_andn2_saveexec_b64 s[40:41], s[40:41]
; %bb.4255:                             ;   in Loop: Header=BB2_4035 Depth=3
	v_mov_b32_e32 v8, v28
	v_bfe_u32 v5, v28, 23, 1
	v_mov_b32_e32 v9, v29
; %bb.4256:                             ;   in Loop: Header=BB2_4035 Depth=3
	s_or_b64 exec, exec, s[40:41]
	v_lshrrev_b64 v[8:9], 20, v[8:9]
	v_cmp_gt_i32_e32 vcc, 16, v5
	v_cndmask_b32_e32 v9, 0, v9, vcc
	v_cndmask_b32_e32 v8, 7, v8, vcc
	v_cmp_eq_u32_e32 vcc, 0, v5
	v_min_i32_e32 v5, 15, v5
	v_cmp_eq_u64_e64 s[40:41], 0, v[8:9]
	v_lshlrev_b32_e32 v5, 3, v5
	v_and_b32_e32 v5, 0xf8, v5
	v_and_or_b32 v5, v8, 7, v5
	s_and_b64 s[40:41], vcc, s[40:41]
	v_cndmask_b32_e64 v5, v5, 0, s[40:41]
	v_or_b32_e32 v24, v5, v3
.LBB2_4257:                             ;   in Loop: Header=BB2_4035 Depth=3
	s_or_b64 exec, exec, s[38:39]
                                        ; implicit-def: $vgpr3
.LBB2_4258:                             ;   in Loop: Header=BB2_4035 Depth=3
	s_andn2_saveexec_b64 s[40:41], s[36:37]
; %bb.4259:                             ;   in Loop: Header=BB2_4035 Depth=3
	v_or_b32_e32 v24, 0x7e, v3
; %bb.4260:                             ;   in Loop: Header=BB2_4035 Depth=3
	s_or_b64 exec, exec, s[40:41]
                                        ; implicit-def: $vgpr5
.LBB2_4261:                             ;   in Loop: Header=BB2_4035 Depth=3
	s_andn2_saveexec_b64 s[40:41], s[42:43]
; %bb.4262:                             ;   in Loop: Header=BB2_4035 Depth=3
	v_or_b32_sdwa v24, v5, s85 dst_sel:DWORD dst_unused:UNUSED_PAD src0_sel:BYTE_3 src1_sel:DWORD
; %bb.4263:                             ;   in Loop: Header=BB2_4035 Depth=3
	s_or_b64 exec, exec, s[40:41]
	v_lshrrev_b32_e32 v8, 16, v10
	v_cmp_ne_u16_sdwa s[42:43], v8, v29 src0_sel:BYTE_0 src1_sel:DWORD
	v_mov_b32_e32 v3, 0
	s_and_saveexec_b64 s[40:41], s[42:43]
	s_cbranch_execz .LBB2_4269
; %bb.4264:                             ;   in Loop: Header=BB2_4035 Depth=3
	v_cmp_ne_u16_sdwa vcc, v8, s87 src0_sel:BYTE_0 src1_sel:DWORD
	v_bfrev_b32_e32 v3, 1
	s_and_saveexec_b64 s[42:43], vcc
	s_cbranch_execz .LBB2_4268
; %bb.4265:                             ;   in Loop: Header=BB2_4035 Depth=3
	v_bfe_u32 v5, v10, 16, 7
	v_cmp_ne_u32_e32 vcc, s85, v5
	v_mov_b32_e32 v3, 0x7f800001
	s_and_saveexec_b64 s[36:37], vcc
	s_cbranch_execz .LBB2_4267
; %bb.4266:                             ;   in Loop: Header=BB2_4035 Depth=3
	v_and_b32_e32 v3, 7, v8
	v_lshrrev_b32_e32 v9, 3, v5
	v_cmp_gt_u32_e32 vcc, 8, v5
	v_ffbh_u32_e32 v5, v3
	v_min_u32_e32 v5, 32, v5
	v_subrev_u32_e32 v16, 28, v5
	v_lshlrev_b64 v[30:31], v16, v[8:9]
	v_sub_u32_e32 v5, 29, v5
	v_and_b32_e32 v16, 7, v30
	v_cndmask_b32_e32 v5, v9, v5, vcc
	v_cndmask_b32_e32 v3, v3, v16, vcc
	v_lshlrev_b32_e32 v8, 24, v8
	v_lshlrev_b32_e32 v3, 20, v3
	v_and_b32_e32 v8, 0x80000000, v8
	v_lshl_add_u32 v5, v5, 23, v17
	v_or3_b32 v3, v8, v5, v3
.LBB2_4267:                             ;   in Loop: Header=BB2_4035 Depth=3
	s_or_b64 exec, exec, s[36:37]
.LBB2_4268:                             ;   in Loop: Header=BB2_4035 Depth=3
	s_or_b64 exec, exec, s[42:43]
.LBB2_4269:                             ;   in Loop: Header=BB2_4035 Depth=3
	s_or_b64 exec, exec, s[40:41]
	v_mul_f32_e32 v5, v2, v3
	v_and_b32_e32 v28, 0x7f800000, v5
	v_cmp_ne_u64_e32 vcc, s[76:77], v[28:29]
                                        ; implicit-def: $vgpr31
	s_and_saveexec_b64 s[40:41], vcc
	s_xor_b64 s[42:43], exec, s[40:41]
	s_cbranch_execz .LBB2_4283
; %bb.4270:                             ;   in Loop: Header=BB2_4035 Depth=3
	v_and_b32_e32 v28, 0x7fffffff, v5
	v_cmp_gt_u64_e32 vcc, s[78:79], v[28:29]
	v_and_b32_sdwa v3, v5, s87 dst_sel:DWORD dst_unused:UNUSED_PAD src0_sel:BYTE_3 src1_sel:DWORD
                                        ; implicit-def: $vgpr31
	s_and_saveexec_b64 s[40:41], vcc
	s_xor_b64 s[36:37], exec, s[40:41]
	s_cbranch_execz .LBB2_4280
; %bb.4271:                             ;   in Loop: Header=BB2_4035 Depth=3
	v_mov_b32_e32 v31, 0
	v_cmp_ne_u32_e32 vcc, 0, v5
	s_and_saveexec_b64 s[38:39], vcc
	s_cbranch_execz .LBB2_4279
; %bb.4272:                             ;   in Loop: Header=BB2_4035 Depth=3
	v_and_b32_e32 v8, 0x7fffff, v5
	v_bfe_u32 v5, v5, 23, 8
	v_cmp_gt_u32_e64 s[40:41], s96, v5
	v_sub_u32_e32 v9, 0x79, v5
	v_cmp_eq_u32_e32 vcc, 0, v5
	v_cndmask_b32_e64 v9, 0, v9, s[40:41]
	v_or_b32_e32 v18, 0x800000, v8
	v_cndmask_b32_e32 v16, v9, v36, vcc
	v_cndmask_b32_e32 v28, v18, v8, vcc
	v_add_u32_e32 v8, 20, v16
	v_lshlrev_b64 v[8:9], v8, -1
	v_add_u32_e32 v18, 19, v16
	v_lshlrev_b64 v[30:31], v18, 1
	v_bfi_b32 v9, v9, 0, 0
	v_bfi_b32 v8, v8, 0, v28
	v_cmp_eq_u64_e64 s[40:41], v[8:9], v[30:31]
	v_lshrrev_b64 v[8:9], v16, v[28:29]
	v_mov_b32_e32 v47, v9
	v_mov_b32_e32 v46, v8
	s_and_saveexec_b64 s[48:49], s[40:41]
; %bb.4273:                             ;   in Loop: Header=BB2_4035 Depth=3
	v_bfe_u32 v9, v8, 20, 1
	v_add_co_u32_e64 v9, s[40:41], v8, v9
	v_add_co_u32_e64 v46, s[40:41], -1, v9
; %bb.4274:                             ;   in Loop: Header=BB2_4035 Depth=3
	s_or_b64 exec, exec, s[48:49]
	v_add_u32_e32 v5, 0xffffff81, v5
	v_cndmask_b32_e32 v5, v5, v37, vcc
	v_lshrrev_b32_e32 v9, 23, v8
	v_add3_u32 v18, v16, v5, v9
	v_add_u32_e32 v16, 6, v18
	v_and_b32_e32 v5, 0xfffff, v46
	v_add_u32_e32 v28, v5, v8
	v_cmp_ne_u32_e32 vcc, 0, v16
                                        ; implicit-def: $vgpr8_vgpr9
                                        ; implicit-def: $vgpr5
	s_and_saveexec_b64 s[40:41], vcc
	s_xor_b64 s[40:41], exec, s[40:41]
; %bb.4275:                             ;   in Loop: Header=BB2_4035 Depth=3
	v_cmp_lt_u64_e32 vcc, s[88:89], v[28:29]
	v_add_u32_e32 v5, 7, v18
	v_cndmask_b32_e64 v8, 0, 1, vcc
	v_cndmask_b32_e32 v5, v16, v5, vcc
	v_lshrrev_b64 v[8:9], v8, v[28:29]
; %bb.4276:                             ;   in Loop: Header=BB2_4035 Depth=3
	s_andn2_saveexec_b64 s[40:41], s[40:41]
; %bb.4277:                             ;   in Loop: Header=BB2_4035 Depth=3
	v_mov_b32_e32 v8, v28
	v_bfe_u32 v5, v28, 23, 1
	v_mov_b32_e32 v9, v29
; %bb.4278:                             ;   in Loop: Header=BB2_4035 Depth=3
	s_or_b64 exec, exec, s[40:41]
	v_lshrrev_b64 v[8:9], 20, v[8:9]
	v_cmp_gt_i32_e32 vcc, 16, v5
	v_cndmask_b32_e32 v9, 0, v9, vcc
	v_cndmask_b32_e32 v8, 7, v8, vcc
	v_cmp_eq_u32_e32 vcc, 0, v5
	v_min_i32_e32 v5, 15, v5
	v_cmp_eq_u64_e64 s[40:41], 0, v[8:9]
	v_lshlrev_b32_e32 v5, 3, v5
	v_and_b32_e32 v5, 0xf8, v5
	v_and_or_b32 v5, v8, 7, v5
	s_and_b64 s[40:41], vcc, s[40:41]
	v_cndmask_b32_e64 v5, v5, 0, s[40:41]
	v_or_b32_e32 v31, v5, v3
.LBB2_4279:                             ;   in Loop: Header=BB2_4035 Depth=3
	s_or_b64 exec, exec, s[38:39]
                                        ; implicit-def: $vgpr3
.LBB2_4280:                             ;   in Loop: Header=BB2_4035 Depth=3
	s_andn2_saveexec_b64 s[40:41], s[36:37]
; %bb.4281:                             ;   in Loop: Header=BB2_4035 Depth=3
	v_or_b32_e32 v31, 0x7e, v3
; %bb.4282:                             ;   in Loop: Header=BB2_4035 Depth=3
	s_or_b64 exec, exec, s[40:41]
                                        ; implicit-def: $vgpr5
.LBB2_4283:                             ;   in Loop: Header=BB2_4035 Depth=3
	s_andn2_saveexec_b64 s[40:41], s[42:43]
; %bb.4284:                             ;   in Loop: Header=BB2_4035 Depth=3
	v_or_b32_sdwa v31, v5, s85 dst_sel:DWORD dst_unused:UNUSED_PAD src0_sel:BYTE_3 src1_sel:DWORD
; %bb.4285:                             ;   in Loop: Header=BB2_4035 Depth=3
	s_or_b64 exec, exec, s[40:41]
	v_cmp_lt_u32_e32 vcc, s57, v10
	v_mov_b32_e32 v3, 0
	s_and_saveexec_b64 s[40:41], vcc
	s_cbranch_execz .LBB2_4291
; %bb.4286:                             ;   in Loop: Header=BB2_4035 Depth=3
	v_lshrrev_b32_e32 v8, 24, v10
	v_cmp_ne_u32_e32 vcc, s87, v8
	v_bfrev_b32_e32 v3, 1
	s_and_saveexec_b64 s[42:43], vcc
	s_cbranch_execz .LBB2_4290
; %bb.4287:                             ;   in Loop: Header=BB2_4035 Depth=3
	v_bfe_u32 v5, v10, 24, 7
	v_cmp_ne_u32_e32 vcc, s85, v5
	v_mov_b32_e32 v3, 0x7f800001
	s_and_saveexec_b64 s[36:37], vcc
	s_cbranch_execz .LBB2_4289
; %bb.4288:                             ;   in Loop: Header=BB2_4035 Depth=3
	v_and_b32_e32 v3, 7, v8
	v_lshrrev_b32_e32 v9, 3, v5
	v_cmp_gt_u32_e32 vcc, 8, v5
	v_ffbh_u32_e32 v5, v3
	v_min_u32_e32 v5, 32, v5
	v_subrev_u32_e32 v16, 28, v5
	v_lshlrev_b64 v[53:54], v16, v[8:9]
	v_sub_u32_e32 v5, 29, v5
	v_and_b32_e32 v16, 7, v53
	v_cndmask_b32_e32 v5, v9, v5, vcc
	v_cndmask_b32_e32 v3, v3, v16, vcc
	v_lshlrev_b32_e32 v8, 24, v8
	v_lshlrev_b32_e32 v3, 20, v3
	v_and_b32_e32 v8, 0x80000000, v8
	v_lshl_add_u32 v5, v5, 23, v17
	v_or3_b32 v3, v8, v5, v3
.LBB2_4289:                             ;   in Loop: Header=BB2_4035 Depth=3
	s_or_b64 exec, exec, s[36:37]
.LBB2_4290:                             ;   in Loop: Header=BB2_4035 Depth=3
	s_or_b64 exec, exec, s[42:43]
.LBB2_4291:                             ;   in Loop: Header=BB2_4035 Depth=3
	s_or_b64 exec, exec, s[40:41]
	v_mul_f32_e32 v5, v2, v3
	v_and_b32_e32 v28, 0x7f800000, v5
	v_cmp_ne_u64_e32 vcc, s[76:77], v[28:29]
                                        ; implicit-def: $vgpr22
	s_and_saveexec_b64 s[40:41], vcc
	s_xor_b64 s[42:43], exec, s[40:41]
	s_cbranch_execz .LBB2_4305
; %bb.4292:                             ;   in Loop: Header=BB2_4035 Depth=3
	v_and_b32_e32 v28, 0x7fffffff, v5
	v_cmp_gt_u64_e32 vcc, s[78:79], v[28:29]
	v_and_b32_sdwa v3, v5, s87 dst_sel:DWORD dst_unused:UNUSED_PAD src0_sel:BYTE_3 src1_sel:DWORD
                                        ; implicit-def: $vgpr22
	s_and_saveexec_b64 s[40:41], vcc
	s_xor_b64 s[36:37], exec, s[40:41]
	s_cbranch_execz .LBB2_4302
; %bb.4293:                             ;   in Loop: Header=BB2_4035 Depth=3
	v_mov_b32_e32 v22, 0
	v_cmp_ne_u32_e32 vcc, 0, v5
	s_and_saveexec_b64 s[38:39], vcc
	s_cbranch_execz .LBB2_4301
; %bb.4294:                             ;   in Loop: Header=BB2_4035 Depth=3
	v_and_b32_e32 v8, 0x7fffff, v5
	v_bfe_u32 v5, v5, 23, 8
	v_cmp_gt_u32_e64 s[40:41], s96, v5
	v_sub_u32_e32 v9, 0x79, v5
	v_cmp_eq_u32_e32 vcc, 0, v5
	v_cndmask_b32_e64 v9, 0, v9, s[40:41]
	v_or_b32_e32 v18, 0x800000, v8
	v_cndmask_b32_e32 v16, v9, v36, vcc
	v_cndmask_b32_e32 v28, v18, v8, vcc
	v_add_u32_e32 v8, 20, v16
	v_lshlrev_b64 v[8:9], v8, -1
	v_add_u32_e32 v18, 19, v16
	v_lshlrev_b64 v[53:54], v18, 1
	v_bfi_b32 v9, v9, 0, 0
	v_bfi_b32 v8, v8, 0, v28
	v_cmp_eq_u64_e64 s[40:41], v[8:9], v[53:54]
	v_lshrrev_b64 v[8:9], v16, v[28:29]
	v_mov_b32_e32 v47, v9
	v_mov_b32_e32 v46, v8
	s_and_saveexec_b64 s[48:49], s[40:41]
; %bb.4295:                             ;   in Loop: Header=BB2_4035 Depth=3
	v_bfe_u32 v9, v8, 20, 1
	v_add_co_u32_e64 v9, s[40:41], v8, v9
	v_add_co_u32_e64 v46, s[40:41], -1, v9
; %bb.4296:                             ;   in Loop: Header=BB2_4035 Depth=3
	s_or_b64 exec, exec, s[48:49]
	v_add_u32_e32 v5, 0xffffff81, v5
	v_cndmask_b32_e32 v5, v5, v37, vcc
	v_lshrrev_b32_e32 v9, 23, v8
	v_add3_u32 v18, v16, v5, v9
	v_add_u32_e32 v16, 6, v18
	v_and_b32_e32 v5, 0xfffff, v46
	v_add_u32_e32 v28, v5, v8
	v_cmp_ne_u32_e32 vcc, 0, v16
                                        ; implicit-def: $vgpr8_vgpr9
                                        ; implicit-def: $vgpr5
	s_and_saveexec_b64 s[40:41], vcc
	s_xor_b64 s[40:41], exec, s[40:41]
; %bb.4297:                             ;   in Loop: Header=BB2_4035 Depth=3
	v_cmp_lt_u64_e32 vcc, s[88:89], v[28:29]
	v_add_u32_e32 v5, 7, v18
	v_cndmask_b32_e64 v8, 0, 1, vcc
	v_cndmask_b32_e32 v5, v16, v5, vcc
	v_lshrrev_b64 v[8:9], v8, v[28:29]
; %bb.4298:                             ;   in Loop: Header=BB2_4035 Depth=3
	s_andn2_saveexec_b64 s[40:41], s[40:41]
; %bb.4299:                             ;   in Loop: Header=BB2_4035 Depth=3
	v_mov_b32_e32 v8, v28
	v_bfe_u32 v5, v28, 23, 1
	v_mov_b32_e32 v9, v29
; %bb.4300:                             ;   in Loop: Header=BB2_4035 Depth=3
	s_or_b64 exec, exec, s[40:41]
	v_lshrrev_b64 v[8:9], 20, v[8:9]
	v_cmp_gt_i32_e32 vcc, 16, v5
	v_cndmask_b32_e32 v9, 0, v9, vcc
	v_cndmask_b32_e32 v8, 7, v8, vcc
	v_cmp_eq_u32_e32 vcc, 0, v5
	v_min_i32_e32 v5, 15, v5
	v_cmp_eq_u64_e64 s[40:41], 0, v[8:9]
	v_lshlrev_b32_e32 v5, 3, v5
	v_and_b32_e32 v5, 0xf8, v5
	v_and_or_b32 v5, v8, 7, v5
	s_and_b64 s[40:41], vcc, s[40:41]
	v_cndmask_b32_e64 v5, v5, 0, s[40:41]
	v_or_b32_e32 v22, v5, v3
.LBB2_4301:                             ;   in Loop: Header=BB2_4035 Depth=3
	s_or_b64 exec, exec, s[38:39]
                                        ; implicit-def: $vgpr3
.LBB2_4302:                             ;   in Loop: Header=BB2_4035 Depth=3
	s_andn2_saveexec_b64 s[40:41], s[36:37]
; %bb.4303:                             ;   in Loop: Header=BB2_4035 Depth=3
	v_or_b32_e32 v22, 0x7e, v3
; %bb.4304:                             ;   in Loop: Header=BB2_4035 Depth=3
	s_or_b64 exec, exec, s[40:41]
                                        ; implicit-def: $vgpr5
.LBB2_4305:                             ;   in Loop: Header=BB2_4035 Depth=3
	s_andn2_saveexec_b64 s[40:41], s[42:43]
; %bb.4306:                             ;   in Loop: Header=BB2_4035 Depth=3
	v_or_b32_sdwa v22, v5, s85 dst_sel:DWORD dst_unused:UNUSED_PAD src0_sel:BYTE_3 src1_sel:DWORD
; %bb.4307:                             ;   in Loop: Header=BB2_4035 Depth=3
	s_or_b64 exec, exec, s[40:41]
	v_mov_b32_e32 v28, v11
	v_cmp_ne_u16_sdwa s[42:43], v11, v29 src0_sel:BYTE_0 src1_sel:DWORD
	v_mov_b32_e32 v3, 0
	s_and_saveexec_b64 s[40:41], s[42:43]
	s_cbranch_execz .LBB2_4313
; %bb.4308:                             ;   in Loop: Header=BB2_4035 Depth=3
	v_cmp_ne_u16_sdwa vcc, v11, s87 src0_sel:BYTE_0 src1_sel:DWORD
	v_bfrev_b32_e32 v3, 1
	s_and_saveexec_b64 s[42:43], vcc
	s_cbranch_execz .LBB2_4312
; %bb.4309:                             ;   in Loop: Header=BB2_4035 Depth=3
	v_and_b32_e32 v5, 0x7f, v11
	v_cmp_ne_u32_e32 vcc, s85, v5
	v_mov_b32_e32 v3, 0x7f800001
	s_and_saveexec_b64 s[36:37], vcc
	s_cbranch_execz .LBB2_4311
; %bb.4310:                             ;   in Loop: Header=BB2_4035 Depth=3
	v_and_b32_e32 v3, 7, v11
	v_ffbh_u32_e32 v3, v3
	v_min_u32_e32 v3, 32, v3
	v_lshrrev_b32_e32 v8, 3, v5
	v_cmp_gt_u32_e32 vcc, 8, v5
	v_subrev_u32_e32 v5, 28, v3
	v_sub_u32_e32 v3, 29, v3
	v_cndmask_b32_e32 v5, 0, v5, vcc
	v_cndmask_b32_e32 v3, v8, v3, vcc
	v_lshlrev_b64 v[8:9], v5, v[28:29]
	v_lshl_add_u32 v3, v3, 23, v17
	v_lshlrev_b32_e32 v5, 20, v8
	v_lshlrev_b32_e32 v8, 24, v28
	v_and_b32_e32 v5, 0x700000, v5
	v_and_b32_e32 v8, 0x80000000, v8
	v_or3_b32 v3, v8, v3, v5
.LBB2_4311:                             ;   in Loop: Header=BB2_4035 Depth=3
	s_or_b64 exec, exec, s[36:37]
.LBB2_4312:                             ;   in Loop: Header=BB2_4035 Depth=3
	s_or_b64 exec, exec, s[42:43]
.LBB2_4313:                             ;   in Loop: Header=BB2_4035 Depth=3
	s_or_b64 exec, exec, s[40:41]
	v_mul_f32_e32 v5, v2, v3
	v_and_b32_e32 v8, 0x7f800000, v5
	v_mov_b32_e32 v9, v29
	v_cmp_ne_u64_e32 vcc, s[76:77], v[8:9]
                                        ; implicit-def: $vgpr18
	s_and_saveexec_b64 s[40:41], vcc
	s_xor_b64 s[42:43], exec, s[40:41]
	s_cbranch_execz .LBB2_4327
; %bb.4314:                             ;   in Loop: Header=BB2_4035 Depth=3
	v_and_b32_e32 v8, 0x7fffffff, v5
	v_mov_b32_e32 v9, v29
	v_cmp_gt_u64_e32 vcc, s[78:79], v[8:9]
	v_and_b32_sdwa v3, v5, s87 dst_sel:DWORD dst_unused:UNUSED_PAD src0_sel:BYTE_3 src1_sel:DWORD
                                        ; implicit-def: $vgpr18
	s_and_saveexec_b64 s[40:41], vcc
	s_xor_b64 s[36:37], exec, s[40:41]
	s_cbranch_execz .LBB2_4324
; %bb.4315:                             ;   in Loop: Header=BB2_4035 Depth=3
	v_mov_b32_e32 v18, 0
	v_cmp_ne_u32_e32 vcc, 0, v5
	s_and_saveexec_b64 s[38:39], vcc
	s_cbranch_execz .LBB2_4323
; %bb.4316:                             ;   in Loop: Header=BB2_4035 Depth=3
	v_and_b32_e32 v8, 0x7fffff, v5
	v_bfe_u32 v5, v5, 23, 8
	v_cmp_gt_u32_e64 s[40:41], s96, v5
	v_sub_u32_e32 v9, 0x79, v5
	v_cmp_eq_u32_e32 vcc, 0, v5
	v_cndmask_b32_e64 v9, 0, v9, s[40:41]
	v_or_b32_e32 v18, 0x800000, v8
	v_cndmask_b32_e32 v16, v9, v36, vcc
	v_cndmask_b32_e32 v8, v18, v8, vcc
	v_add_u32_e32 v18, 20, v16
	v_lshlrev_b64 v[53:54], v18, -1
	v_mov_b32_e32 v9, v29
	v_add_u32_e32 v18, 19, v16
	v_bfi_b32 v53, v53, 0, v8
	v_lshlrev_b64 v[46:47], v18, 1
	v_lshrrev_b64 v[8:9], v16, v[8:9]
	v_bfi_b32 v54, v54, 0, 0
	v_cmp_eq_u64_e64 s[40:41], v[53:54], v[46:47]
	v_mov_b32_e32 v47, v9
	v_mov_b32_e32 v46, v8
	s_and_saveexec_b64 s[48:49], s[40:41]
; %bb.4317:                             ;   in Loop: Header=BB2_4035 Depth=3
	v_bfe_u32 v9, v8, 20, 1
	v_add_co_u32_e64 v9, s[40:41], v8, v9
	v_add_co_u32_e64 v46, s[40:41], -1, v9
; %bb.4318:                             ;   in Loop: Header=BB2_4035 Depth=3
	s_or_b64 exec, exec, s[48:49]
	v_add_u32_e32 v5, 0xffffff81, v5
	v_cndmask_b32_e32 v5, v5, v37, vcc
	v_lshrrev_b32_e32 v9, 23, v8
	v_add3_u32 v18, v16, v5, v9
	v_add_u32_e32 v16, 6, v18
	v_and_b32_e32 v5, 0xfffff, v46
	v_add_u32_e32 v8, v5, v8
	v_mov_b32_e32 v9, v29
	v_cmp_ne_u32_e32 vcc, 0, v16
                                        ; implicit-def: $vgpr5
	s_and_saveexec_b64 s[40:41], vcc
	s_xor_b64 s[40:41], exec, s[40:41]
; %bb.4319:                             ;   in Loop: Header=BB2_4035 Depth=3
	v_cmp_lt_u64_e32 vcc, s[88:89], v[8:9]
	v_add_u32_e32 v5, 7, v18
	v_cndmask_b32_e32 v5, v16, v5, vcc
	v_cndmask_b32_e64 v16, 0, 1, vcc
	v_lshrrev_b64 v[8:9], v16, v[8:9]
; %bb.4320:                             ;   in Loop: Header=BB2_4035 Depth=3
	s_andn2_saveexec_b64 s[40:41], s[40:41]
; %bb.4321:                             ;   in Loop: Header=BB2_4035 Depth=3
	v_bfe_u32 v5, v8, 23, 1
; %bb.4322:                             ;   in Loop: Header=BB2_4035 Depth=3
	s_or_b64 exec, exec, s[40:41]
	v_lshrrev_b64 v[8:9], 20, v[8:9]
	v_cmp_gt_i32_e32 vcc, 16, v5
	v_cndmask_b32_e32 v9, 0, v9, vcc
	v_cndmask_b32_e32 v8, 7, v8, vcc
	v_cmp_eq_u32_e32 vcc, 0, v5
	v_min_i32_e32 v5, 15, v5
	v_cmp_eq_u64_e64 s[40:41], 0, v[8:9]
	v_lshlrev_b32_e32 v5, 3, v5
	v_and_b32_e32 v5, 0xf8, v5
	v_and_or_b32 v5, v8, 7, v5
	s_and_b64 s[40:41], vcc, s[40:41]
	v_cndmask_b32_e64 v5, v5, 0, s[40:41]
	v_or_b32_e32 v18, v5, v3
.LBB2_4323:                             ;   in Loop: Header=BB2_4035 Depth=3
	s_or_b64 exec, exec, s[38:39]
                                        ; implicit-def: $vgpr3
.LBB2_4324:                             ;   in Loop: Header=BB2_4035 Depth=3
	s_andn2_saveexec_b64 s[40:41], s[36:37]
; %bb.4325:                             ;   in Loop: Header=BB2_4035 Depth=3
	v_or_b32_e32 v18, 0x7e, v3
; %bb.4326:                             ;   in Loop: Header=BB2_4035 Depth=3
	s_or_b64 exec, exec, s[40:41]
                                        ; implicit-def: $vgpr5
.LBB2_4327:                             ;   in Loop: Header=BB2_4035 Depth=3
	s_andn2_saveexec_b64 s[40:41], s[42:43]
; %bb.4328:                             ;   in Loop: Header=BB2_4035 Depth=3
	v_or_b32_sdwa v18, v5, s85 dst_sel:DWORD dst_unused:UNUSED_PAD src0_sel:BYTE_3 src1_sel:DWORD
; %bb.4329:                             ;   in Loop: Header=BB2_4035 Depth=3
	s_or_b64 exec, exec, s[40:41]
	v_lshrrev_b16_e32 v8, 8, v28
	v_cmp_ne_u16_e32 vcc, 0, v8
	v_mov_b32_e32 v3, 0
	s_and_saveexec_b64 s[40:41], vcc
	s_cbranch_execz .LBB2_4335
; %bb.4330:                             ;   in Loop: Header=BB2_4035 Depth=3
	v_cmp_ne_u16_e32 vcc, s87, v8
	v_bfrev_b32_e32 v3, 1
	s_and_saveexec_b64 s[42:43], vcc
	s_cbranch_execz .LBB2_4334
; %bb.4331:                             ;   in Loop: Header=BB2_4035 Depth=3
	v_and_b32_e32 v5, 0x7f, v8
	v_cmp_ne_u32_e32 vcc, s85, v5
	v_mov_b32_e32 v3, 0x7f800001
	s_and_saveexec_b64 s[36:37], vcc
	s_cbranch_execz .LBB2_4333
; %bb.4332:                             ;   in Loop: Header=BB2_4035 Depth=3
	v_and_b32_e32 v3, 7, v8
	v_lshrrev_b32_e32 v16, 3, v5
	v_cmp_gt_u32_e32 vcc, 8, v5
	v_ffbh_u32_e32 v5, v3
	v_min_u32_e32 v5, 32, v5
	v_subrev_u32_e32 v9, 28, v5
	v_lshlrev_b64 v[8:9], v9, v[8:9]
	v_sub_u32_e32 v5, 29, v5
	v_and_b32_e32 v8, 7, v8
	v_cndmask_b32_e32 v5, v16, v5, vcc
	v_cndmask_b32_e32 v3, v3, v8, vcc
	v_lshlrev_b32_e32 v8, 16, v28
	v_lshlrev_b32_e32 v3, 20, v3
	v_and_b32_e32 v8, 0x80000000, v8
	v_lshl_add_u32 v5, v5, 23, v17
	v_or3_b32 v3, v8, v5, v3
.LBB2_4333:                             ;   in Loop: Header=BB2_4035 Depth=3
	s_or_b64 exec, exec, s[36:37]
.LBB2_4334:                             ;   in Loop: Header=BB2_4035 Depth=3
	s_or_b64 exec, exec, s[42:43]
.LBB2_4335:                             ;   in Loop: Header=BB2_4035 Depth=3
	s_or_b64 exec, exec, s[40:41]
	v_mul_f32_e32 v5, v2, v3
	v_and_b32_e32 v28, 0x7f800000, v5
	v_cmp_ne_u64_e32 vcc, s[76:77], v[28:29]
                                        ; implicit-def: $vgpr16
	s_and_saveexec_b64 s[40:41], vcc
	s_xor_b64 s[42:43], exec, s[40:41]
	s_cbranch_execz .LBB2_4349
; %bb.4336:                             ;   in Loop: Header=BB2_4035 Depth=3
	v_and_b32_e32 v28, 0x7fffffff, v5
	v_cmp_gt_u64_e32 vcc, s[78:79], v[28:29]
	v_and_b32_sdwa v3, v5, s87 dst_sel:DWORD dst_unused:UNUSED_PAD src0_sel:BYTE_3 src1_sel:DWORD
                                        ; implicit-def: $vgpr16
	s_and_saveexec_b64 s[40:41], vcc
	s_xor_b64 s[36:37], exec, s[40:41]
	s_cbranch_execz .LBB2_4346
; %bb.4337:                             ;   in Loop: Header=BB2_4035 Depth=3
	v_mov_b32_e32 v16, 0
	v_cmp_ne_u32_e32 vcc, 0, v5
	s_and_saveexec_b64 s[38:39], vcc
	s_cbranch_execz .LBB2_4345
; %bb.4338:                             ;   in Loop: Header=BB2_4035 Depth=3
	v_and_b32_e32 v8, 0x7fffff, v5
	v_bfe_u32 v5, v5, 23, 8
	v_cmp_gt_u32_e64 s[40:41], s96, v5
	v_sub_u32_e32 v9, 0x79, v5
	v_cmp_eq_u32_e32 vcc, 0, v5
	v_cndmask_b32_e64 v9, 0, v9, s[40:41]
	v_or_b32_e32 v28, 0x800000, v8
	v_cndmask_b32_e32 v16, v9, v36, vcc
	v_cndmask_b32_e32 v28, v28, v8, vcc
	v_add_u32_e32 v8, 20, v16
	v_lshlrev_b64 v[8:9], v8, -1
	v_add_u32_e32 v30, 19, v16
	v_lshlrev_b64 v[53:54], v30, 1
	v_bfi_b32 v9, v9, 0, 0
	v_bfi_b32 v8, v8, 0, v28
	v_cmp_eq_u64_e64 s[40:41], v[8:9], v[53:54]
	v_lshrrev_b64 v[8:9], v16, v[28:29]
	v_mov_b32_e32 v47, v9
	v_mov_b32_e32 v46, v8
	s_and_saveexec_b64 s[48:49], s[40:41]
; %bb.4339:                             ;   in Loop: Header=BB2_4035 Depth=3
	v_bfe_u32 v9, v8, 20, 1
	v_add_co_u32_e64 v9, s[40:41], v8, v9
	v_add_co_u32_e64 v46, s[40:41], -1, v9
; %bb.4340:                             ;   in Loop: Header=BB2_4035 Depth=3
	s_or_b64 exec, exec, s[48:49]
	v_add_u32_e32 v5, 0xffffff81, v5
	v_cndmask_b32_e32 v5, v5, v37, vcc
	v_lshrrev_b32_e32 v9, 23, v8
	v_add3_u32 v30, v16, v5, v9
	v_add_u32_e32 v16, 6, v30
	v_and_b32_e32 v5, 0xfffff, v46
	v_add_u32_e32 v28, v5, v8
	v_cmp_ne_u32_e32 vcc, 0, v16
                                        ; implicit-def: $vgpr8_vgpr9
                                        ; implicit-def: $vgpr5
	s_and_saveexec_b64 s[40:41], vcc
	s_xor_b64 s[40:41], exec, s[40:41]
; %bb.4341:                             ;   in Loop: Header=BB2_4035 Depth=3
	v_cmp_lt_u64_e32 vcc, s[88:89], v[28:29]
	v_add_u32_e32 v5, 7, v30
	v_cndmask_b32_e64 v8, 0, 1, vcc
	v_cndmask_b32_e32 v5, v16, v5, vcc
	v_lshrrev_b64 v[8:9], v8, v[28:29]
; %bb.4342:                             ;   in Loop: Header=BB2_4035 Depth=3
	s_andn2_saveexec_b64 s[40:41], s[40:41]
; %bb.4343:                             ;   in Loop: Header=BB2_4035 Depth=3
	v_mov_b32_e32 v8, v28
	v_bfe_u32 v5, v28, 23, 1
	v_mov_b32_e32 v9, v29
; %bb.4344:                             ;   in Loop: Header=BB2_4035 Depth=3
	s_or_b64 exec, exec, s[40:41]
	v_lshrrev_b64 v[8:9], 20, v[8:9]
	v_cmp_gt_i32_e32 vcc, 16, v5
	v_cndmask_b32_e32 v9, 0, v9, vcc
	v_cndmask_b32_e32 v8, 7, v8, vcc
	v_cmp_eq_u32_e32 vcc, 0, v5
	v_min_i32_e32 v5, 15, v5
	v_cmp_eq_u64_e64 s[40:41], 0, v[8:9]
	v_lshlrev_b32_e32 v5, 3, v5
	v_and_b32_e32 v5, 0xf8, v5
	v_and_or_b32 v5, v8, 7, v5
	s_and_b64 s[40:41], vcc, s[40:41]
	v_cndmask_b32_e64 v5, v5, 0, s[40:41]
	v_or_b32_e32 v16, v5, v3
.LBB2_4345:                             ;   in Loop: Header=BB2_4035 Depth=3
	s_or_b64 exec, exec, s[38:39]
                                        ; implicit-def: $vgpr3
.LBB2_4346:                             ;   in Loop: Header=BB2_4035 Depth=3
	s_andn2_saveexec_b64 s[40:41], s[36:37]
; %bb.4347:                             ;   in Loop: Header=BB2_4035 Depth=3
	v_or_b32_e32 v16, 0x7e, v3
; %bb.4348:                             ;   in Loop: Header=BB2_4035 Depth=3
	s_or_b64 exec, exec, s[40:41]
                                        ; implicit-def: $vgpr5
.LBB2_4349:                             ;   in Loop: Header=BB2_4035 Depth=3
	s_andn2_saveexec_b64 s[40:41], s[42:43]
; %bb.4350:                             ;   in Loop: Header=BB2_4035 Depth=3
	v_or_b32_sdwa v16, v5, s85 dst_sel:DWORD dst_unused:UNUSED_PAD src0_sel:BYTE_3 src1_sel:DWORD
; %bb.4351:                             ;   in Loop: Header=BB2_4035 Depth=3
	s_or_b64 exec, exec, s[40:41]
	v_lshrrev_b32_e32 v8, 16, v11
	v_cmp_ne_u16_sdwa s[42:43], v8, v29 src0_sel:BYTE_0 src1_sel:DWORD
	v_mov_b32_e32 v3, 0
	s_and_saveexec_b64 s[40:41], s[42:43]
	s_cbranch_execz .LBB2_4357
; %bb.4352:                             ;   in Loop: Header=BB2_4035 Depth=3
	v_cmp_ne_u16_sdwa vcc, v8, s87 src0_sel:BYTE_0 src1_sel:DWORD
	v_bfrev_b32_e32 v3, 1
	s_and_saveexec_b64 s[42:43], vcc
	s_cbranch_execz .LBB2_4356
; %bb.4353:                             ;   in Loop: Header=BB2_4035 Depth=3
	v_bfe_u32 v5, v11, 16, 7
	v_cmp_ne_u32_e32 vcc, s85, v5
	v_mov_b32_e32 v3, 0x7f800001
	s_and_saveexec_b64 s[36:37], vcc
	s_cbranch_execz .LBB2_4355
; %bb.4354:                             ;   in Loop: Header=BB2_4035 Depth=3
	v_and_b32_e32 v3, 7, v8
	v_lshrrev_b32_e32 v9, 3, v5
	v_cmp_gt_u32_e32 vcc, 8, v5
	v_ffbh_u32_e32 v5, v3
	v_min_u32_e32 v5, 32, v5
	v_subrev_u32_e32 v28, 28, v5
	v_lshlrev_b64 v[53:54], v28, v[8:9]
	v_sub_u32_e32 v5, 29, v5
	v_and_b32_e32 v28, 7, v53
	v_cndmask_b32_e32 v5, v9, v5, vcc
	v_cndmask_b32_e32 v3, v3, v28, vcc
	v_lshlrev_b32_e32 v8, 24, v8
	v_lshlrev_b32_e32 v3, 20, v3
	v_and_b32_e32 v8, 0x80000000, v8
	v_lshl_add_u32 v5, v5, 23, v17
	v_or3_b32 v3, v8, v5, v3
.LBB2_4355:                             ;   in Loop: Header=BB2_4035 Depth=3
	s_or_b64 exec, exec, s[36:37]
.LBB2_4356:                             ;   in Loop: Header=BB2_4035 Depth=3
	s_or_b64 exec, exec, s[42:43]
.LBB2_4357:                             ;   in Loop: Header=BB2_4035 Depth=3
	s_or_b64 exec, exec, s[40:41]
	v_mul_f32_e32 v8, v2, v3
	v_and_b32_e32 v28, 0x7f800000, v8
	v_cmp_ne_u64_e32 vcc, s[76:77], v[28:29]
                                        ; implicit-def: $vgpr5
	s_and_saveexec_b64 s[40:41], vcc
	s_xor_b64 s[42:43], exec, s[40:41]
	s_cbranch_execz .LBB2_4371
; %bb.4358:                             ;   in Loop: Header=BB2_4035 Depth=3
	v_and_b32_e32 v28, 0x7fffffff, v8
	v_cmp_gt_u64_e32 vcc, s[78:79], v[28:29]
	v_and_b32_sdwa v3, v8, s87 dst_sel:DWORD dst_unused:UNUSED_PAD src0_sel:BYTE_3 src1_sel:DWORD
                                        ; implicit-def: $vgpr5
	s_and_saveexec_b64 s[40:41], vcc
	s_xor_b64 s[36:37], exec, s[40:41]
	s_cbranch_execz .LBB2_4368
; %bb.4359:                             ;   in Loop: Header=BB2_4035 Depth=3
	v_mov_b32_e32 v5, 0
	v_cmp_ne_u32_e32 vcc, 0, v8
	s_and_saveexec_b64 s[38:39], vcc
	s_cbranch_execz .LBB2_4367
; %bb.4360:                             ;   in Loop: Header=BB2_4035 Depth=3
	v_bfe_u32 v5, v8, 23, 8
	v_and_b32_e32 v9, 0x7fffff, v8
	v_cmp_gt_u32_e64 s[40:41], s96, v5
	v_sub_u32_e32 v8, 0x79, v5
	v_cmp_eq_u32_e32 vcc, 0, v5
	v_cndmask_b32_e64 v8, 0, v8, s[40:41]
	v_cndmask_b32_e32 v30, v8, v36, vcc
	v_or_b32_e32 v28, 0x800000, v9
	v_add_u32_e32 v8, 20, v30
	v_cndmask_b32_e32 v28, v28, v9, vcc
	v_lshlrev_b64 v[8:9], v8, -1
	v_add_u32_e32 v53, 19, v30
	v_lshlrev_b64 v[53:54], v53, 1
	v_bfi_b32 v9, v9, 0, 0
	v_bfi_b32 v8, v8, 0, v28
	v_cmp_eq_u64_e64 s[40:41], v[8:9], v[53:54]
	v_lshrrev_b64 v[8:9], v30, v[28:29]
	v_mov_b32_e32 v47, v9
	v_mov_b32_e32 v46, v8
	s_and_saveexec_b64 s[48:49], s[40:41]
; %bb.4361:                             ;   in Loop: Header=BB2_4035 Depth=3
	v_bfe_u32 v9, v8, 20, 1
	v_add_co_u32_e64 v9, s[40:41], v8, v9
	v_add_co_u32_e64 v46, s[40:41], -1, v9
; %bb.4362:                             ;   in Loop: Header=BB2_4035 Depth=3
	s_or_b64 exec, exec, s[48:49]
	v_add_u32_e32 v5, 0xffffff81, v5
	v_cndmask_b32_e32 v5, v5, v37, vcc
	v_lshrrev_b32_e32 v9, 23, v8
	v_add3_u32 v55, v30, v5, v9
	v_add_u32_e32 v30, 6, v55
	v_and_b32_e32 v5, 0xfffff, v46
	v_add_u32_e32 v28, v5, v8
	v_cmp_ne_u32_e32 vcc, 0, v30
                                        ; implicit-def: $vgpr8_vgpr9
                                        ; implicit-def: $vgpr5
	s_and_saveexec_b64 s[40:41], vcc
	s_xor_b64 s[40:41], exec, s[40:41]
; %bb.4363:                             ;   in Loop: Header=BB2_4035 Depth=3
	v_cmp_lt_u64_e32 vcc, s[88:89], v[28:29]
	v_add_u32_e32 v5, 7, v55
	v_cndmask_b32_e64 v8, 0, 1, vcc
	v_cndmask_b32_e32 v5, v30, v5, vcc
	v_lshrrev_b64 v[8:9], v8, v[28:29]
; %bb.4364:                             ;   in Loop: Header=BB2_4035 Depth=3
	s_andn2_saveexec_b64 s[40:41], s[40:41]
; %bb.4365:                             ;   in Loop: Header=BB2_4035 Depth=3
	v_mov_b32_e32 v8, v28
	v_bfe_u32 v5, v28, 23, 1
	v_mov_b32_e32 v9, v29
; %bb.4366:                             ;   in Loop: Header=BB2_4035 Depth=3
	s_or_b64 exec, exec, s[40:41]
	v_lshrrev_b64 v[8:9], 20, v[8:9]
	v_cmp_gt_i32_e32 vcc, 16, v5
	v_cndmask_b32_e32 v9, 0, v9, vcc
	v_cndmask_b32_e32 v8, 7, v8, vcc
	v_cmp_eq_u32_e32 vcc, 0, v5
	v_min_i32_e32 v5, 15, v5
	v_cmp_eq_u64_e64 s[40:41], 0, v[8:9]
	v_lshlrev_b32_e32 v5, 3, v5
	v_and_b32_e32 v5, 0xf8, v5
	v_and_or_b32 v5, v8, 7, v5
	s_and_b64 s[40:41], vcc, s[40:41]
	v_cndmask_b32_e64 v5, v5, 0, s[40:41]
	v_or_b32_e32 v5, v5, v3
.LBB2_4367:                             ;   in Loop: Header=BB2_4035 Depth=3
	s_or_b64 exec, exec, s[38:39]
                                        ; implicit-def: $vgpr3
.LBB2_4368:                             ;   in Loop: Header=BB2_4035 Depth=3
	s_andn2_saveexec_b64 s[40:41], s[36:37]
; %bb.4369:                             ;   in Loop: Header=BB2_4035 Depth=3
	v_or_b32_e32 v5, 0x7e, v3
; %bb.4370:                             ;   in Loop: Header=BB2_4035 Depth=3
	s_or_b64 exec, exec, s[40:41]
                                        ; implicit-def: $vgpr8
.LBB2_4371:                             ;   in Loop: Header=BB2_4035 Depth=3
	s_andn2_saveexec_b64 s[40:41], s[42:43]
; %bb.4372:                             ;   in Loop: Header=BB2_4035 Depth=3
	v_or_b32_sdwa v5, v8, s85 dst_sel:DWORD dst_unused:UNUSED_PAD src0_sel:BYTE_3 src1_sel:DWORD
; %bb.4373:                             ;   in Loop: Header=BB2_4035 Depth=3
	s_or_b64 exec, exec, s[40:41]
	v_cmp_lt_u64_e32 vcc, s[56:57], v[10:11]
	v_mov_b32_e32 v3, 0
	s_and_saveexec_b64 s[40:41], vcc
	s_cbranch_execz .LBB2_4379
; %bb.4374:                             ;   in Loop: Header=BB2_4035 Depth=3
	v_lshrrev_b32_e32 v8, 24, v11
	v_cmp_ne_u32_e32 vcc, s87, v8
	v_bfrev_b32_e32 v3, 1
	s_and_saveexec_b64 s[42:43], vcc
	s_cbranch_execz .LBB2_4378
; %bb.4375:                             ;   in Loop: Header=BB2_4035 Depth=3
	v_bfe_u32 v9, v11, 24, 7
	v_cmp_ne_u32_e32 vcc, s85, v9
	v_mov_b32_e32 v3, 0x7f800001
	s_and_saveexec_b64 s[36:37], vcc
	s_cbranch_execz .LBB2_4377
; %bb.4376:                             ;   in Loop: Header=BB2_4035 Depth=3
	v_and_b32_e32 v3, 7, v8
	v_lshrrev_b32_e32 v11, 3, v9
	v_cmp_gt_u32_e32 vcc, 8, v9
	v_ffbh_u32_e32 v9, v3
	v_min_u32_e32 v28, 32, v9
	v_subrev_u32_e32 v9, 28, v28
	v_lshlrev_b64 v[9:10], v9, v[8:9]
	v_sub_u32_e32 v10, 29, v28
	v_and_b32_e32 v9, 7, v9
	v_cndmask_b32_e32 v10, v11, v10, vcc
	v_cndmask_b32_e32 v3, v3, v9, vcc
	v_lshlrev_b32_e32 v8, 24, v8
	v_lshlrev_b32_e32 v3, 20, v3
	v_and_b32_e32 v8, 0x80000000, v8
	v_lshl_add_u32 v9, v10, 23, v17
	v_or3_b32 v3, v8, v9, v3
.LBB2_4377:                             ;   in Loop: Header=BB2_4035 Depth=3
	s_or_b64 exec, exec, s[36:37]
.LBB2_4378:                             ;   in Loop: Header=BB2_4035 Depth=3
	s_or_b64 exec, exec, s[42:43]
.LBB2_4379:                             ;   in Loop: Header=BB2_4035 Depth=3
	s_or_b64 exec, exec, s[40:41]
	v_mul_f32_e32 v8, v2, v3
	v_and_b32_e32 v28, 0x7f800000, v8
	v_cmp_ne_u64_e32 vcc, s[76:77], v[28:29]
                                        ; implicit-def: $vgpr3
	s_and_saveexec_b64 s[40:41], vcc
	s_xor_b64 s[42:43], exec, s[40:41]
	s_cbranch_execz .LBB2_4393
; %bb.4380:                             ;   in Loop: Header=BB2_4035 Depth=3
	v_and_b32_e32 v28, 0x7fffffff, v8
	v_cmp_gt_u64_e32 vcc, s[78:79], v[28:29]
	v_and_b32_sdwa v2, v8, s87 dst_sel:DWORD dst_unused:UNUSED_PAD src0_sel:BYTE_3 src1_sel:DWORD
                                        ; implicit-def: $vgpr3
	s_and_saveexec_b64 s[40:41], vcc
	s_xor_b64 s[36:37], exec, s[40:41]
	s_cbranch_execz .LBB2_4390
; %bb.4381:                             ;   in Loop: Header=BB2_4035 Depth=3
	v_mov_b32_e32 v3, 0
	v_cmp_ne_u32_e32 vcc, 0, v8
	s_and_saveexec_b64 s[38:39], vcc
	s_cbranch_execz .LBB2_4389
; %bb.4382:                             ;   in Loop: Header=BB2_4035 Depth=3
	v_bfe_u32 v3, v8, 23, 8
	v_and_b32_e32 v9, 0x7fffff, v8
	v_cmp_gt_u32_e64 s[40:41], s96, v3
	v_sub_u32_e32 v8, 0x79, v3
	v_cmp_eq_u32_e32 vcc, 0, v3
	v_cndmask_b32_e64 v8, 0, v8, s[40:41]
	v_cndmask_b32_e32 v11, v8, v36, vcc
	v_or_b32_e32 v10, 0x800000, v9
	v_add_u32_e32 v8, 20, v11
	v_cndmask_b32_e32 v28, v10, v9, vcc
	v_lshlrev_b64 v[8:9], v8, -1
	v_add_u32_e32 v10, 19, v11
	v_lshlrev_b64 v[53:54], v10, 1
	v_bfi_b32 v9, v9, 0, 0
	v_bfi_b32 v8, v8, 0, v28
	v_cmp_eq_u64_e64 s[40:41], v[8:9], v[53:54]
	v_lshrrev_b64 v[8:9], v11, v[28:29]
	v_mov_b32_e32 v10, v9
	v_mov_b32_e32 v9, v8
	s_and_saveexec_b64 s[48:49], s[40:41]
; %bb.4383:                             ;   in Loop: Header=BB2_4035 Depth=3
	v_bfe_u32 v9, v8, 20, 1
	v_add_co_u32_e64 v9, s[40:41], v8, v9
	v_add_co_u32_e64 v9, s[40:41], -1, v9
; %bb.4384:                             ;   in Loop: Header=BB2_4035 Depth=3
	s_or_b64 exec, exec, s[48:49]
	v_add_u32_e32 v3, 0xffffff81, v3
	v_cndmask_b32_e32 v3, v3, v37, vcc
	v_lshrrev_b32_e32 v10, 23, v8
	v_add3_u32 v11, v11, v3, v10
	v_add_u32_e32 v10, 6, v11
	v_and_b32_e32 v3, 0xfffff, v9
	v_add_u32_e32 v28, v3, v8
	v_cmp_ne_u32_e32 vcc, 0, v10
                                        ; implicit-def: $vgpr8_vgpr9
                                        ; implicit-def: $vgpr3
	s_and_saveexec_b64 s[40:41], vcc
	s_xor_b64 s[40:41], exec, s[40:41]
; %bb.4385:                             ;   in Loop: Header=BB2_4035 Depth=3
	v_cmp_lt_u64_e32 vcc, s[88:89], v[28:29]
	v_add_u32_e32 v3, 7, v11
	v_cndmask_b32_e64 v8, 0, 1, vcc
	v_cndmask_b32_e32 v3, v10, v3, vcc
	v_lshrrev_b64 v[8:9], v8, v[28:29]
; %bb.4386:                             ;   in Loop: Header=BB2_4035 Depth=3
	s_andn2_saveexec_b64 s[40:41], s[40:41]
; %bb.4387:                             ;   in Loop: Header=BB2_4035 Depth=3
	v_mov_b32_e32 v8, v28
	v_bfe_u32 v3, v28, 23, 1
	v_mov_b32_e32 v9, v29
; %bb.4388:                             ;   in Loop: Header=BB2_4035 Depth=3
	s_or_b64 exec, exec, s[40:41]
	v_lshrrev_b64 v[8:9], 20, v[8:9]
	v_cmp_gt_i32_e32 vcc, 16, v3
	v_cndmask_b32_e32 v9, 0, v9, vcc
	v_cndmask_b32_e32 v8, 7, v8, vcc
	v_cmp_eq_u32_e32 vcc, 0, v3
	v_min_i32_e32 v3, 15, v3
	v_cmp_eq_u64_e64 s[40:41], 0, v[8:9]
	v_lshlrev_b32_e32 v3, 3, v3
	v_and_b32_e32 v3, 0xf8, v3
	v_and_or_b32 v3, v8, 7, v3
	s_and_b64 s[40:41], vcc, s[40:41]
	v_cndmask_b32_e64 v3, v3, 0, s[40:41]
	v_or_b32_e32 v3, v3, v2
.LBB2_4389:                             ;   in Loop: Header=BB2_4035 Depth=3
	s_or_b64 exec, exec, s[38:39]
                                        ; implicit-def: $vgpr2
.LBB2_4390:                             ;   in Loop: Header=BB2_4035 Depth=3
	s_andn2_saveexec_b64 s[40:41], s[36:37]
; %bb.4391:                             ;   in Loop: Header=BB2_4035 Depth=3
	v_or_b32_e32 v3, 0x7e, v2
; %bb.4392:                             ;   in Loop: Header=BB2_4035 Depth=3
	s_or_b64 exec, exec, s[40:41]
                                        ; implicit-def: $vgpr8
.LBB2_4393:                             ;   in Loop: Header=BB2_4035 Depth=3
	s_andn2_saveexec_b64 s[40:41], s[42:43]
; %bb.4394:                             ;   in Loop: Header=BB2_4035 Depth=3
	v_or_b32_sdwa v3, v8, s85 dst_sel:DWORD dst_unused:UNUSED_PAD src0_sel:BYTE_3 src1_sel:DWORD
; %bb.4395:                             ;   in Loop: Header=BB2_4035 Depth=3
	s_or_b64 exec, exec, s[40:41]
	v_lshl_or_b32 v2, v6, 8, v1
	v_lshlrev_b32_e32 v6, 16, v25
	v_lshlrev_b32_e32 v8, 24, v35
	v_or3_b32 v28, v6, v8, v2
	global_load_dwordx4 v[8:11], v[44:45], off glc slc
	v_cmp_ne_u32_e32 vcc, 0, v1
	v_mov_b32_e32 v6, 0
	s_and_saveexec_b64 s[40:41], vcc
	s_cbranch_execz .LBB2_4401
; %bb.4396:                             ;   in Loop: Header=BB2_4035 Depth=3
	v_cmp_ne_u32_e32 vcc, s87, v1
	v_bfrev_b32_e32 v6, 1
	s_and_saveexec_b64 s[42:43], vcc
	s_cbranch_execz .LBB2_4400
; %bb.4397:                             ;   in Loop: Header=BB2_4035 Depth=3
	v_and_b32_e32 v25, 0x7f, v1
	v_cmp_ne_u32_e32 vcc, s85, v25
	v_mov_b32_e32 v6, 0x7f800001
	s_and_saveexec_b64 s[36:37], vcc
	s_cbranch_execz .LBB2_4399
; %bb.4398:                             ;   in Loop: Header=BB2_4035 Depth=3
	v_and_b32_e32 v1, 7, v1
	v_ffbh_u32_e32 v1, v1
	v_min_u32_e32 v1, 32, v1
	v_lshrrev_b32_e32 v6, 3, v25
	v_cmp_gt_u32_e32 vcc, 8, v25
	v_subrev_u32_e32 v25, 28, v1
	v_sub_u32_e32 v1, 29, v1
	v_cndmask_b32_e32 v1, v6, v1, vcc
	v_cndmask_b32_e32 v6, 0, v25, vcc
	v_lshlrev_b64 v[53:54], v6, v[28:29]
	v_lshlrev_b32_e32 v25, 24, v28
	v_lshlrev_b32_e32 v6, 20, v53
	v_and_b32_e32 v6, 0x700000, v6
	v_and_b32_e32 v25, 0x80000000, v25
	v_lshl_add_u32 v1, v1, 23, v17
	v_or3_b32 v6, v25, v1, v6
.LBB2_4399:                             ;   in Loop: Header=BB2_4035 Depth=3
	s_or_b64 exec, exec, s[36:37]
.LBB2_4400:                             ;   in Loop: Header=BB2_4035 Depth=3
	s_or_b64 exec, exec, s[42:43]
.LBB2_4401:                             ;   in Loop: Header=BB2_4035 Depth=3
	s_or_b64 exec, exec, s[40:41]
	s_waitcnt vmcnt(0)
	v_cmp_gt_i16_sdwa s[42:43], v8, s85 src0_sel:BYTE_0 src1_sel:DWORD
	s_mov_b64 s[40:41], 0
	s_and_saveexec_b64 vcc, s[42:43]
	s_xor_b64 s[42:43], exec, vcc
	s_cbranch_execz .LBB2_4826
; %bb.4402:                             ;   in Loop: Header=BB2_4035 Depth=3
	v_cmp_eq_u16_sdwa s[36:37], v8, s87 src0_sel:BYTE_0 src1_sel:DWORD
	s_mov_b64 s[40:41], -1
	s_and_saveexec_b64 vcc, s[36:37]
; %bb.4403:                             ;   in Loop: Header=BB2_4035 Depth=3
	s_xor_b64 s[40:41], exec, -1
; %bb.4404:                             ;   in Loop: Header=BB2_4035 Depth=3
	s_or_b64 exec, exec, vcc
	s_and_b64 s[40:41], s[40:41], exec
	s_or_saveexec_b64 s[42:43], s[42:43]
	v_bfrev_b32_e32 v1, 1
	s_xor_b64 exec, exec, s[42:43]
	s_cbranch_execnz .LBB2_4827
.LBB2_4405:                             ;   in Loop: Header=BB2_4035 Depth=3
	s_or_b64 exec, exec, s[42:43]
	s_and_saveexec_b64 s[42:43], s[40:41]
	s_cbranch_execz .LBB2_4407
.LBB2_4406:                             ;   in Loop: Header=BB2_4035 Depth=3
	v_and_b32_e32 v1, 7, v8
	v_ffbh_u32_e32 v1, v1
	v_and_b32_e32 v25, 0x7f, v8
	v_min_u32_e32 v1, 32, v1
	v_bfe_u32 v30, v8, 3, 4
	v_subrev_u32_e32 v35, 28, v1
	v_sub_u32_e32 v1, 29, v1
	v_cmp_gt_u32_e32 vcc, 8, v25
	v_cndmask_b32_e32 v1, v30, v1, vcc
	v_cndmask_b32_e32 v30, 0, v35, vcc
	v_lshlrev_b64 v[53:54], v30, v[8:9]
	v_lshlrev_b32_e32 v35, 24, v8
	v_lshlrev_b32_e32 v30, 20, v53
	v_and_b32_e32 v30, 0x700000, v30
	v_and_b32_e32 v35, 0x80000000, v35
	v_lshl_add_u32 v1, v1, 23, v17
	v_or3_b32 v1, v35, v1, v30
	v_cmp_ne_u32_e32 vcc, s85, v25
	v_cndmask_b32_e32 v1, v4, v1, vcc
.LBB2_4407:                             ;   in Loop: Header=BB2_4035 Depth=3
	s_or_b64 exec, exec, s[42:43]
	v_add_f32_e32 v25, v6, v1
	v_and_b32_e32 v53, 0x7f800000, v25
	v_mov_b32_e32 v54, v29
	v_cmp_ne_u64_e32 vcc, s[76:77], v[53:54]
                                        ; implicit-def: $vgpr1
	s_and_saveexec_b64 s[40:41], vcc
	s_xor_b64 s[42:43], exec, s[40:41]
	s_cbranch_execz .LBB2_4421
; %bb.4408:                             ;   in Loop: Header=BB2_4035 Depth=3
	v_and_b32_e32 v53, 0x7fffffff, v25
	v_mov_b32_e32 v54, v29
	v_cmp_gt_u64_e32 vcc, s[78:79], v[53:54]
	v_and_b32_sdwa v6, v25, s87 dst_sel:DWORD dst_unused:UNUSED_PAD src0_sel:BYTE_3 src1_sel:DWORD
                                        ; implicit-def: $vgpr1
	s_and_saveexec_b64 s[40:41], vcc
	s_xor_b64 s[36:37], exec, s[40:41]
	s_cbranch_execz .LBB2_4418
; %bb.4409:                             ;   in Loop: Header=BB2_4035 Depth=3
	v_mov_b32_e32 v1, 0
	v_cmp_ne_u32_e32 vcc, 0, v25
	s_and_saveexec_b64 s[38:39], vcc
	s_cbranch_execz .LBB2_4417
; %bb.4410:                             ;   in Loop: Header=BB2_4035 Depth=3
	v_bfe_u32 v1, v25, 23, 8
	v_and_b32_e32 v30, 0x7fffff, v25
	v_cmp_gt_u32_e64 s[40:41], s96, v1
	v_sub_u32_e32 v25, 0x79, v1
	v_cmp_eq_u32_e32 vcc, 0, v1
	v_cndmask_b32_e64 v25, 0, v25, s[40:41]
	v_or_b32_e32 v35, 0x800000, v30
	v_cndmask_b32_e32 v25, v25, v36, vcc
	v_cndmask_b32_e32 v53, v35, v30, vcc
	v_add_u32_e32 v30, 20, v25
	v_lshlrev_b64 v[46:47], v30, -1
	v_add_u32_e32 v30, 19, v25
	v_lshlrev_b64 v[55:56], v30, 1
	v_mov_b32_e32 v54, v29
	v_bfi_b32 v47, v47, 0, 0
	v_bfi_b32 v46, v46, 0, v53
	v_cmp_eq_u64_e64 s[40:41], v[46:47], v[55:56]
	v_lshrrev_b64 v[46:47], v25, v[53:54]
	v_mov_b32_e32 v56, v47
	v_mov_b32_e32 v55, v46
	s_and_saveexec_b64 s[48:49], s[40:41]
; %bb.4411:                             ;   in Loop: Header=BB2_4035 Depth=3
	v_bfe_u32 v30, v46, 20, 1
	v_add_co_u32_e64 v30, s[40:41], v46, v30
	v_add_co_u32_e64 v55, s[40:41], -1, v30
; %bb.4412:                             ;   in Loop: Header=BB2_4035 Depth=3
	s_or_b64 exec, exec, s[48:49]
	v_add_u32_e32 v1, 0xffffff81, v1
	v_cndmask_b32_e32 v1, v1, v37, vcc
	v_lshrrev_b32_e32 v30, 23, v46
	v_add3_u32 v30, v25, v1, v30
	v_add_u32_e32 v25, 6, v30
	v_and_b32_e32 v1, 0xfffff, v55
	v_add_u32_e32 v46, v1, v46
	v_mov_b32_e32 v47, v29
	v_cmp_ne_u32_e32 vcc, 0, v25
                                        ; implicit-def: $vgpr1
	s_and_saveexec_b64 s[40:41], vcc
	s_xor_b64 s[40:41], exec, s[40:41]
; %bb.4413:                             ;   in Loop: Header=BB2_4035 Depth=3
	v_cmp_lt_u64_e32 vcc, s[88:89], v[46:47]
	v_add_u32_e32 v1, 7, v30
	v_cndmask_b32_e32 v1, v25, v1, vcc
	v_cndmask_b32_e64 v25, 0, 1, vcc
	v_lshrrev_b64 v[46:47], v25, v[46:47]
; %bb.4414:                             ;   in Loop: Header=BB2_4035 Depth=3
	s_andn2_saveexec_b64 s[40:41], s[40:41]
; %bb.4415:                             ;   in Loop: Header=BB2_4035 Depth=3
	v_bfe_u32 v1, v46, 23, 1
; %bb.4416:                             ;   in Loop: Header=BB2_4035 Depth=3
	s_or_b64 exec, exec, s[40:41]
	v_lshrrev_b64 v[53:54], 20, v[46:47]
	v_cmp_gt_i32_e32 vcc, 16, v1
	v_cndmask_b32_e32 v54, 0, v54, vcc
	v_cndmask_b32_e32 v53, 7, v53, vcc
	v_cmp_eq_u32_e32 vcc, 0, v1
	v_min_i32_e32 v1, 15, v1
	v_cmp_eq_u64_e64 s[40:41], 0, v[53:54]
	v_lshlrev_b32_e32 v1, 3, v1
	v_and_b32_e32 v1, 0xf8, v1
	v_and_or_b32 v1, v53, 7, v1
	s_and_b64 s[40:41], vcc, s[40:41]
	v_cndmask_b32_e64 v1, v1, 0, s[40:41]
	v_or_b32_e32 v1, v1, v6
.LBB2_4417:                             ;   in Loop: Header=BB2_4035 Depth=3
	s_or_b64 exec, exec, s[38:39]
                                        ; implicit-def: $vgpr6
.LBB2_4418:                             ;   in Loop: Header=BB2_4035 Depth=3
	s_andn2_saveexec_b64 s[40:41], s[36:37]
; %bb.4419:                             ;   in Loop: Header=BB2_4035 Depth=3
	v_or_b32_e32 v1, 0x7e, v6
; %bb.4420:                             ;   in Loop: Header=BB2_4035 Depth=3
	s_or_b64 exec, exec, s[40:41]
                                        ; implicit-def: $vgpr25
.LBB2_4421:                             ;   in Loop: Header=BB2_4035 Depth=3
	s_andn2_saveexec_b64 s[40:41], s[42:43]
; %bb.4422:                             ;   in Loop: Header=BB2_4035 Depth=3
	v_or_b32_sdwa v1, v25, s85 dst_sel:DWORD dst_unused:UNUSED_PAD src0_sel:BYTE_3 src1_sel:DWORD
; %bb.4423:                             ;   in Loop: Header=BB2_4035 Depth=3
	s_or_b64 exec, exec, s[40:41]
	v_lshrrev_b16_e32 v30, 8, v2
	v_cmp_ne_u16_e32 vcc, 0, v30
	v_mov_b32_e32 v6, 0
	s_and_saveexec_b64 s[40:41], vcc
	s_cbranch_execz .LBB2_4429
; %bb.4424:                             ;   in Loop: Header=BB2_4035 Depth=3
	v_cmp_ne_u16_e32 vcc, s87, v30
	v_bfrev_b32_e32 v6, 1
	s_and_saveexec_b64 s[42:43], vcc
	s_cbranch_execz .LBB2_4428
; %bb.4425:                             ;   in Loop: Header=BB2_4035 Depth=3
	v_and_b32_e32 v25, 0x7f, v30
	v_cmp_ne_u32_e32 vcc, s85, v25
	v_mov_b32_e32 v6, 0x7f800001
	s_and_saveexec_b64 s[36:37], vcc
	s_cbranch_execz .LBB2_4427
; %bb.4426:                             ;   in Loop: Header=BB2_4035 Depth=3
	v_and_b32_e32 v6, 7, v30
	v_lshrrev_b32_e32 v35, 3, v25
	v_cmp_gt_u32_e32 vcc, 8, v25
	v_ffbh_u32_e32 v25, v6
	v_min_u32_e32 v25, 32, v25
	v_subrev_u32_e32 v53, 28, v25
	v_lshlrev_b64 v[53:54], v53, v[30:31]
	v_sub_u32_e32 v25, 29, v25
	v_and_b32_e32 v30, 7, v53
	v_cndmask_b32_e32 v25, v35, v25, vcc
	v_cndmask_b32_e32 v6, v6, v30, vcc
	v_lshlrev_b32_e32 v2, 16, v2
	v_lshlrev_b32_e32 v6, 20, v6
	v_and_b32_e32 v2, 0x80000000, v2
	v_lshl_add_u32 v25, v25, 23, v17
	v_or3_b32 v6, v2, v25, v6
.LBB2_4427:                             ;   in Loop: Header=BB2_4035 Depth=3
	s_or_b64 exec, exec, s[36:37]
.LBB2_4428:                             ;   in Loop: Header=BB2_4035 Depth=3
	s_or_b64 exec, exec, s[42:43]
.LBB2_4429:                             ;   in Loop: Header=BB2_4035 Depth=3
	s_or_b64 exec, exec, s[40:41]
	v_lshrrev_b16_e32 v46, 8, v8
	v_cmp_lt_i16_e32 vcc, s85, v46
	s_mov_b64 s[40:41], 0
	s_and_saveexec_b64 s[42:43], vcc
	s_xor_b64 s[42:43], exec, s[42:43]
	s_cbranch_execz .LBB2_4828
; %bb.4430:                             ;   in Loop: Header=BB2_4035 Depth=3
	v_cmp_eq_u16_e32 vcc, s87, v46
	s_mov_b64 s[40:41], -1
	s_and_saveexec_b64 s[36:37], vcc
; %bb.4431:                             ;   in Loop: Header=BB2_4035 Depth=3
	s_xor_b64 s[40:41], exec, -1
; %bb.4432:                             ;   in Loop: Header=BB2_4035 Depth=3
	s_or_b64 exec, exec, s[36:37]
	s_and_b64 s[40:41], s[40:41], exec
	s_or_saveexec_b64 s[42:43], s[42:43]
	v_bfrev_b32_e32 v2, 1
	s_xor_b64 exec, exec, s[42:43]
	s_cbranch_execnz .LBB2_4829
.LBB2_4433:                             ;   in Loop: Header=BB2_4035 Depth=3
	s_or_b64 exec, exec, s[42:43]
	s_and_saveexec_b64 s[42:43], s[40:41]
	s_cbranch_execz .LBB2_4435
.LBB2_4434:                             ;   in Loop: Header=BB2_4035 Depth=3
	v_and_b32_e32 v2, 7, v46
	v_ffbh_u32_e32 v35, v2
	v_min_u32_e32 v35, 32, v35
	v_mov_b32_e32 v47, v29
	v_subrev_u32_e32 v53, 28, v35
	v_lshlrev_b64 v[53:54], v53, v[46:47]
	v_and_b32_e32 v25, 0x7f, v46
	v_bfe_u32 v30, v46, 3, 4
	v_sub_u32_e32 v35, 29, v35
	v_and_b32_e32 v53, 7, v53
	v_cmp_gt_u32_e32 vcc, 8, v25
	v_cndmask_b32_e32 v30, v30, v35, vcc
	v_cndmask_b32_e32 v2, v2, v53, vcc
	v_lshlrev_b32_e32 v35, 24, v46
	v_lshlrev_b32_e32 v2, 20, v2
	v_and_b32_e32 v35, 0x80000000, v35
	v_lshl_add_u32 v30, v30, 23, v17
	v_or3_b32 v2, v35, v30, v2
	v_cmp_ne_u32_e32 vcc, s85, v25
	v_cndmask_b32_e32 v2, v4, v2, vcc
.LBB2_4435:                             ;   in Loop: Header=BB2_4035 Depth=3
	s_or_b64 exec, exec, s[42:43]
	v_add_f32_e32 v25, v6, v2
	v_and_b32_e32 v53, 0x7f800000, v25
	v_mov_b32_e32 v54, v29
	v_cmp_ne_u64_e32 vcc, s[76:77], v[53:54]
                                        ; implicit-def: $vgpr6
	s_and_saveexec_b64 s[40:41], vcc
	s_xor_b64 s[42:43], exec, s[40:41]
	s_cbranch_execz .LBB2_4449
; %bb.4436:                             ;   in Loop: Header=BB2_4035 Depth=3
	v_and_b32_e32 v53, 0x7fffffff, v25
	v_mov_b32_e32 v54, v29
	v_cmp_gt_u64_e32 vcc, s[78:79], v[53:54]
	v_and_b32_sdwa v2, v25, s87 dst_sel:DWORD dst_unused:UNUSED_PAD src0_sel:BYTE_3 src1_sel:DWORD
                                        ; implicit-def: $vgpr6
	s_and_saveexec_b64 s[40:41], vcc
	s_xor_b64 s[36:37], exec, s[40:41]
	s_cbranch_execz .LBB2_4446
; %bb.4437:                             ;   in Loop: Header=BB2_4035 Depth=3
	v_mov_b32_e32 v6, 0
	v_cmp_ne_u32_e32 vcc, 0, v25
	s_and_saveexec_b64 s[38:39], vcc
	s_cbranch_execz .LBB2_4445
; %bb.4438:                             ;   in Loop: Header=BB2_4035 Depth=3
	v_bfe_u32 v6, v25, 23, 8
	v_and_b32_e32 v30, 0x7fffff, v25
	v_cmp_gt_u32_e64 s[40:41], s96, v6
	v_sub_u32_e32 v25, 0x79, v6
	v_cmp_eq_u32_e32 vcc, 0, v6
	v_cndmask_b32_e64 v25, 0, v25, s[40:41]
	v_or_b32_e32 v35, 0x800000, v30
	v_cndmask_b32_e32 v25, v25, v36, vcc
	v_cndmask_b32_e32 v53, v35, v30, vcc
	v_add_u32_e32 v30, 20, v25
	v_lshlrev_b64 v[46:47], v30, -1
	v_add_u32_e32 v30, 19, v25
	v_lshlrev_b64 v[55:56], v30, 1
	v_mov_b32_e32 v54, v29
	v_bfi_b32 v47, v47, 0, 0
	v_bfi_b32 v46, v46, 0, v53
	v_cmp_eq_u64_e64 s[40:41], v[46:47], v[55:56]
	v_lshrrev_b64 v[46:47], v25, v[53:54]
	v_mov_b32_e32 v56, v47
	v_mov_b32_e32 v55, v46
	s_and_saveexec_b64 s[48:49], s[40:41]
; %bb.4439:                             ;   in Loop: Header=BB2_4035 Depth=3
	v_bfe_u32 v30, v46, 20, 1
	v_add_co_u32_e64 v30, s[40:41], v46, v30
	v_add_co_u32_e64 v55, s[40:41], -1, v30
; %bb.4440:                             ;   in Loop: Header=BB2_4035 Depth=3
	s_or_b64 exec, exec, s[48:49]
	v_add_u32_e32 v6, 0xffffff81, v6
	v_cndmask_b32_e32 v6, v6, v37, vcc
	v_lshrrev_b32_e32 v30, 23, v46
	v_add3_u32 v30, v25, v6, v30
	v_add_u32_e32 v25, 6, v30
	v_and_b32_e32 v6, 0xfffff, v55
	v_add_u32_e32 v46, v6, v46
	v_mov_b32_e32 v47, v29
	v_cmp_ne_u32_e32 vcc, 0, v25
                                        ; implicit-def: $vgpr6
	s_and_saveexec_b64 s[40:41], vcc
	s_xor_b64 s[40:41], exec, s[40:41]
; %bb.4441:                             ;   in Loop: Header=BB2_4035 Depth=3
	v_cmp_lt_u64_e32 vcc, s[88:89], v[46:47]
	v_add_u32_e32 v6, 7, v30
	v_cndmask_b32_e32 v6, v25, v6, vcc
	v_cndmask_b32_e64 v25, 0, 1, vcc
	v_lshrrev_b64 v[46:47], v25, v[46:47]
; %bb.4442:                             ;   in Loop: Header=BB2_4035 Depth=3
	s_andn2_saveexec_b64 s[40:41], s[40:41]
; %bb.4443:                             ;   in Loop: Header=BB2_4035 Depth=3
	v_bfe_u32 v6, v46, 23, 1
; %bb.4444:                             ;   in Loop: Header=BB2_4035 Depth=3
	s_or_b64 exec, exec, s[40:41]
	v_lshrrev_b64 v[53:54], 20, v[46:47]
	v_cmp_gt_i32_e32 vcc, 16, v6
	v_cndmask_b32_e32 v54, 0, v54, vcc
	v_cndmask_b32_e32 v53, 7, v53, vcc
	v_cmp_eq_u32_e32 vcc, 0, v6
	v_min_i32_e32 v6, 15, v6
	v_cmp_eq_u64_e64 s[40:41], 0, v[53:54]
	v_lshlrev_b32_e32 v6, 3, v6
	v_and_b32_e32 v6, 0xf8, v6
	v_and_or_b32 v6, v53, 7, v6
	s_and_b64 s[40:41], vcc, s[40:41]
	v_cndmask_b32_e64 v6, v6, 0, s[40:41]
	v_or_b32_e32 v6, v6, v2
.LBB2_4445:                             ;   in Loop: Header=BB2_4035 Depth=3
	s_or_b64 exec, exec, s[38:39]
                                        ; implicit-def: $vgpr2
.LBB2_4446:                             ;   in Loop: Header=BB2_4035 Depth=3
	s_andn2_saveexec_b64 s[40:41], s[36:37]
; %bb.4447:                             ;   in Loop: Header=BB2_4035 Depth=3
	v_or_b32_e32 v6, 0x7e, v2
; %bb.4448:                             ;   in Loop: Header=BB2_4035 Depth=3
	s_or_b64 exec, exec, s[40:41]
                                        ; implicit-def: $vgpr25
.LBB2_4449:                             ;   in Loop: Header=BB2_4035 Depth=3
	s_andn2_saveexec_b64 s[40:41], s[42:43]
; %bb.4450:                             ;   in Loop: Header=BB2_4035 Depth=3
	v_or_b32_sdwa v6, v25, s85 dst_sel:DWORD dst_unused:UNUSED_PAD src0_sel:BYTE_3 src1_sel:DWORD
; %bb.4451:                             ;   in Loop: Header=BB2_4035 Depth=3
	s_or_b64 exec, exec, s[40:41]
	v_and_b32_sdwa v25, v28, s86 dst_sel:DWORD dst_unused:UNUSED_PAD src0_sel:WORD_1 src1_sel:DWORD
	v_lshrrev_b32_e32 v30, 16, v28
	v_cmp_ne_u16_e32 vcc, 0, v25
	v_mov_b32_e32 v2, 0
	s_and_saveexec_b64 s[40:41], vcc
	s_cbranch_execz .LBB2_4457
; %bb.4452:                             ;   in Loop: Header=BB2_4035 Depth=3
	v_cmp_ne_u16_e32 vcc, s87, v25
	v_bfrev_b32_e32 v2, 1
	s_and_saveexec_b64 s[42:43], vcc
	s_cbranch_execz .LBB2_4456
; %bb.4453:                             ;   in Loop: Header=BB2_4035 Depth=3
	v_bfe_u32 v25, v28, 16, 7
	v_cmp_ne_u32_e32 vcc, s85, v25
	v_mov_b32_e32 v2, 0x7f800001
	s_and_saveexec_b64 s[36:37], vcc
	s_cbranch_execz .LBB2_4455
; %bb.4454:                             ;   in Loop: Header=BB2_4035 Depth=3
	v_and_b32_e32 v2, 7, v30
	v_lshrrev_b32_e32 v35, 3, v25
	v_cmp_gt_u32_e32 vcc, 8, v25
	v_ffbh_u32_e32 v25, v2
	v_min_u32_e32 v25, 32, v25
	v_subrev_u32_e32 v53, 28, v25
	v_lshlrev_b64 v[53:54], v53, v[30:31]
	v_sub_u32_e32 v25, 29, v25
	v_and_b32_e32 v30, 7, v53
	v_cndmask_b32_e32 v2, v2, v30, vcc
	v_mov_b32_e32 v30, 24
	v_cndmask_b32_e32 v25, v35, v25, vcc
	v_lshlrev_b32_sdwa v30, v30, v28 dst_sel:DWORD dst_unused:UNUSED_PAD src0_sel:DWORD src1_sel:WORD_1
	v_lshlrev_b32_e32 v2, 20, v2
	v_and_b32_e32 v30, 0x80000000, v30
	v_lshl_add_u32 v25, v25, 23, v17
	v_or3_b32 v2, v30, v25, v2
.LBB2_4455:                             ;   in Loop: Header=BB2_4035 Depth=3
	s_or_b64 exec, exec, s[36:37]
.LBB2_4456:                             ;   in Loop: Header=BB2_4035 Depth=3
	s_or_b64 exec, exec, s[42:43]
.LBB2_4457:                             ;   in Loop: Header=BB2_4035 Depth=3
	s_or_b64 exec, exec, s[40:41]
	v_lshrrev_b32_e32 v30, 16, v8
	v_cmp_gt_i16_sdwa s[42:43], v30, s85 src0_sel:BYTE_0 src1_sel:DWORD
	s_mov_b64 s[40:41], 0
	s_and_saveexec_b64 vcc, s[42:43]
	s_xor_b64 s[42:43], exec, vcc
	s_cbranch_execz .LBB2_4830
; %bb.4458:                             ;   in Loop: Header=BB2_4035 Depth=3
	v_cmp_eq_u16_sdwa s[36:37], v30, s87 src0_sel:BYTE_0 src1_sel:DWORD
	s_mov_b64 s[40:41], -1
	s_and_saveexec_b64 vcc, s[36:37]
; %bb.4459:                             ;   in Loop: Header=BB2_4035 Depth=3
	s_xor_b64 s[40:41], exec, -1
; %bb.4460:                             ;   in Loop: Header=BB2_4035 Depth=3
	s_or_b64 exec, exec, vcc
	s_and_b64 s[40:41], s[40:41], exec
	s_or_saveexec_b64 s[42:43], s[42:43]
	v_bfrev_b32_e32 v25, 1
	s_xor_b64 exec, exec, s[42:43]
	s_cbranch_execnz .LBB2_4831
.LBB2_4461:                             ;   in Loop: Header=BB2_4035 Depth=3
	s_or_b64 exec, exec, s[42:43]
	s_and_saveexec_b64 s[42:43], s[40:41]
	s_cbranch_execz .LBB2_4463
.LBB2_4462:                             ;   in Loop: Header=BB2_4035 Depth=3
	v_and_b32_e32 v25, 7, v30
	v_ffbh_u32_e32 v53, v25
	v_min_u32_e32 v46, 32, v53
	v_subrev_u32_e32 v53, 28, v46
	v_lshlrev_b64 v[53:54], v53, v[30:31]
	v_and_b32_e32 v35, 0x7f, v30
	v_bfe_u32 v55, v30, 3, 4
	v_sub_u32_e32 v54, 29, v46
	v_and_b32_e32 v53, 7, v53
	v_cmp_gt_u32_e32 vcc, 8, v35
	v_cndmask_b32_e32 v54, v55, v54, vcc
	v_cndmask_b32_e32 v25, v25, v53, vcc
	v_lshlrev_b32_e32 v30, 24, v30
	v_lshlrev_b32_e32 v25, 20, v25
	v_and_b32_e32 v30, 0x80000000, v30
	v_lshl_add_u32 v53, v54, 23, v17
	v_or3_b32 v25, v30, v53, v25
	v_cmp_ne_u32_e32 vcc, s85, v35
	v_cndmask_b32_e32 v25, v4, v25, vcc
.LBB2_4463:                             ;   in Loop: Header=BB2_4035 Depth=3
	s_or_b64 exec, exec, s[42:43]
	v_add_f32_e32 v30, v2, v25
	v_and_b32_e32 v53, 0x7f800000, v30
	v_mov_b32_e32 v54, v29
	v_cmp_ne_u64_e32 vcc, s[76:77], v[53:54]
                                        ; implicit-def: $vgpr2
	s_and_saveexec_b64 s[40:41], vcc
	s_xor_b64 s[42:43], exec, s[40:41]
	s_cbranch_execz .LBB2_4477
; %bb.4464:                             ;   in Loop: Header=BB2_4035 Depth=3
	v_and_b32_e32 v53, 0x7fffffff, v30
	v_mov_b32_e32 v54, v29
	v_cmp_gt_u64_e32 vcc, s[78:79], v[53:54]
	v_and_b32_sdwa v25, v30, s87 dst_sel:DWORD dst_unused:UNUSED_PAD src0_sel:BYTE_3 src1_sel:DWORD
                                        ; implicit-def: $vgpr2
	s_and_saveexec_b64 s[40:41], vcc
	s_xor_b64 s[36:37], exec, s[40:41]
	s_cbranch_execz .LBB2_4474
; %bb.4465:                             ;   in Loop: Header=BB2_4035 Depth=3
	v_mov_b32_e32 v2, 0
	v_cmp_ne_u32_e32 vcc, 0, v30
	s_and_saveexec_b64 s[38:39], vcc
	s_cbranch_execz .LBB2_4473
; %bb.4466:                             ;   in Loop: Header=BB2_4035 Depth=3
	v_bfe_u32 v2, v30, 23, 8
	v_and_b32_e32 v35, 0x7fffff, v30
	v_cmp_gt_u32_e64 s[40:41], s96, v2
	v_sub_u32_e32 v30, 0x79, v2
	v_cmp_eq_u32_e32 vcc, 0, v2
	v_cndmask_b32_e64 v30, 0, v30, s[40:41]
	v_or_b32_e32 v53, 0x800000, v35
	v_cndmask_b32_e32 v30, v30, v36, vcc
	v_cndmask_b32_e32 v53, v53, v35, vcc
	v_add_u32_e32 v35, 20, v30
	v_lshlrev_b64 v[46:47], v35, -1
	v_add_u32_e32 v35, 19, v30
	v_lshlrev_b64 v[55:56], v35, 1
	v_mov_b32_e32 v54, v29
	v_bfi_b32 v47, v47, 0, 0
	v_bfi_b32 v46, v46, 0, v53
	v_cmp_eq_u64_e64 s[40:41], v[46:47], v[55:56]
	v_lshrrev_b64 v[46:47], v30, v[53:54]
	v_mov_b32_e32 v56, v47
	v_mov_b32_e32 v55, v46
	s_and_saveexec_b64 s[48:49], s[40:41]
; %bb.4467:                             ;   in Loop: Header=BB2_4035 Depth=3
	v_bfe_u32 v35, v46, 20, 1
	v_add_co_u32_e64 v35, s[40:41], v46, v35
	v_add_co_u32_e64 v55, s[40:41], -1, v35
; %bb.4468:                             ;   in Loop: Header=BB2_4035 Depth=3
	s_or_b64 exec, exec, s[48:49]
	v_add_u32_e32 v2, 0xffffff81, v2
	v_cndmask_b32_e32 v2, v2, v37, vcc
	v_lshrrev_b32_e32 v35, 23, v46
	v_add3_u32 v35, v30, v2, v35
	v_add_u32_e32 v30, 6, v35
	v_and_b32_e32 v2, 0xfffff, v55
	v_add_u32_e32 v46, v2, v46
	v_mov_b32_e32 v47, v29
	v_cmp_ne_u32_e32 vcc, 0, v30
                                        ; implicit-def: $vgpr2
	s_and_saveexec_b64 s[40:41], vcc
	s_xor_b64 s[40:41], exec, s[40:41]
; %bb.4469:                             ;   in Loop: Header=BB2_4035 Depth=3
	v_cmp_lt_u64_e32 vcc, s[88:89], v[46:47]
	v_add_u32_e32 v2, 7, v35
	v_cndmask_b32_e32 v2, v30, v2, vcc
	v_cndmask_b32_e64 v30, 0, 1, vcc
	v_lshrrev_b64 v[46:47], v30, v[46:47]
; %bb.4470:                             ;   in Loop: Header=BB2_4035 Depth=3
	s_andn2_saveexec_b64 s[40:41], s[40:41]
; %bb.4471:                             ;   in Loop: Header=BB2_4035 Depth=3
	v_bfe_u32 v2, v46, 23, 1
; %bb.4472:                             ;   in Loop: Header=BB2_4035 Depth=3
	s_or_b64 exec, exec, s[40:41]
	v_lshrrev_b64 v[53:54], 20, v[46:47]
	v_cmp_gt_i32_e32 vcc, 16, v2
	v_cndmask_b32_e32 v54, 0, v54, vcc
	v_cndmask_b32_e32 v53, 7, v53, vcc
	v_cmp_eq_u32_e32 vcc, 0, v2
	v_min_i32_e32 v2, 15, v2
	v_cmp_eq_u64_e64 s[40:41], 0, v[53:54]
	v_lshlrev_b32_e32 v2, 3, v2
	v_and_b32_e32 v2, 0xf8, v2
	v_and_or_b32 v2, v53, 7, v2
	s_and_b64 s[40:41], vcc, s[40:41]
	v_cndmask_b32_e64 v2, v2, 0, s[40:41]
	v_or_b32_e32 v2, v2, v25
.LBB2_4473:                             ;   in Loop: Header=BB2_4035 Depth=3
	s_or_b64 exec, exec, s[38:39]
                                        ; implicit-def: $vgpr25
.LBB2_4474:                             ;   in Loop: Header=BB2_4035 Depth=3
	s_andn2_saveexec_b64 s[40:41], s[36:37]
; %bb.4475:                             ;   in Loop: Header=BB2_4035 Depth=3
	v_or_b32_e32 v2, 0x7e, v25
; %bb.4476:                             ;   in Loop: Header=BB2_4035 Depth=3
	s_or_b64 exec, exec, s[40:41]
                                        ; implicit-def: $vgpr30
.LBB2_4477:                             ;   in Loop: Header=BB2_4035 Depth=3
	s_andn2_saveexec_b64 s[40:41], s[42:43]
; %bb.4478:                             ;   in Loop: Header=BB2_4035 Depth=3
	v_or_b32_sdwa v2, v30, s85 dst_sel:DWORD dst_unused:UNUSED_PAD src0_sel:BYTE_3 src1_sel:DWORD
; %bb.4479:                             ;   in Loop: Header=BB2_4035 Depth=3
	s_or_b64 exec, exec, s[40:41]
	v_cmp_lt_u32_e32 vcc, s57, v28
	v_mov_b32_e32 v25, 0
	s_and_saveexec_b64 s[40:41], vcc
	s_cbranch_execz .LBB2_4485
; %bb.4480:                             ;   in Loop: Header=BB2_4035 Depth=3
	v_lshrrev_b32_e32 v30, 24, v28
	v_cmp_ne_u32_e32 vcc, s87, v30
	v_bfrev_b32_e32 v25, 1
	s_and_saveexec_b64 s[42:43], vcc
	s_cbranch_execz .LBB2_4484
; %bb.4481:                             ;   in Loop: Header=BB2_4035 Depth=3
	v_bfe_u32 v28, v28, 24, 7
	v_cmp_ne_u32_e32 vcc, s85, v28
	v_mov_b32_e32 v25, 0x7f800001
	s_and_saveexec_b64 s[36:37], vcc
	s_cbranch_execz .LBB2_4483
; %bb.4482:                             ;   in Loop: Header=BB2_4035 Depth=3
	v_and_b32_e32 v25, 7, v30
	v_lshrrev_b32_e32 v35, 3, v28
	v_cmp_gt_u32_e32 vcc, 8, v28
	v_ffbh_u32_e32 v28, v25
	v_min_u32_e32 v28, 32, v28
	v_subrev_u32_e32 v53, 28, v28
	v_lshlrev_b64 v[53:54], v53, v[30:31]
	v_sub_u32_e32 v28, 29, v28
	v_and_b32_e32 v53, 7, v53
	v_cndmask_b32_e32 v28, v35, v28, vcc
	v_cndmask_b32_e32 v25, v25, v53, vcc
	v_lshlrev_b32_e32 v30, 24, v30
	v_lshlrev_b32_e32 v25, 20, v25
	v_and_b32_e32 v30, 0x80000000, v30
	v_lshl_add_u32 v28, v28, 23, v17
	v_or3_b32 v25, v30, v28, v25
.LBB2_4483:                             ;   in Loop: Header=BB2_4035 Depth=3
	s_or_b64 exec, exec, s[36:37]
.LBB2_4484:                             ;   in Loop: Header=BB2_4035 Depth=3
	s_or_b64 exec, exec, s[42:43]
.LBB2_4485:                             ;   in Loop: Header=BB2_4035 Depth=3
	s_or_b64 exec, exec, s[40:41]
	v_bfe_u32 v30, v8, 24, 3
	v_ffbh_u32_e32 v53, v30
	v_min_u32_e32 v46, 32, v53
	v_lshrrev_b32_e32 v28, 24, v8
	v_subrev_u32_e32 v53, 28, v46
	v_lshlrev_b64 v[53:54], v53, v[28:29]
	v_bfe_u32 v35, v8, 24, 7
	v_bfe_u32 v55, v28, 3, 4
	v_sub_u32_e32 v54, 29, v46
	v_and_b32_e32 v53, 7, v53
	v_cmp_gt_u32_e32 vcc, 8, v35
	v_cndmask_b32_e32 v54, v55, v54, vcc
	v_cndmask_b32_e32 v30, v30, v53, vcc
	v_lshlrev_b32_e32 v30, 20, v30
	v_and_b32_e32 v53, 0x80000000, v8
	v_lshl_add_u32 v54, v54, 23, v17
	v_or3_b32 v30, v53, v54, v30
	v_cmp_ne_u32_e32 vcc, s85, v35
	v_cndmask_b32_e32 v30, v4, v30, vcc
	v_cmp_ne_u32_e32 vcc, s87, v28
	v_bfrev_b32_e32 v28, 1
	v_cndmask_b32_e32 v28, v28, v30, vcc
	v_cmp_lt_u32_e32 vcc, s57, v8
	v_cndmask_b32_e32 v28, 0, v28, vcc
	v_add_f32_e32 v35, v28, v25
	v_and_b32_e32 v28, 0x7f800000, v35
	v_cmp_ne_u64_e32 vcc, s[76:77], v[28:29]
                                        ; implicit-def: $vgpr25
	s_and_saveexec_b64 s[40:41], vcc
	s_xor_b64 s[42:43], exec, s[40:41]
	s_cbranch_execz .LBB2_4499
; %bb.4486:                             ;   in Loop: Header=BB2_4035 Depth=3
	v_and_b32_e32 v28, 0x7fffffff, v35
	v_cmp_gt_u64_e32 vcc, s[78:79], v[28:29]
	v_and_b32_sdwa v30, v35, s87 dst_sel:DWORD dst_unused:UNUSED_PAD src0_sel:BYTE_3 src1_sel:DWORD
                                        ; implicit-def: $vgpr25
	s_and_saveexec_b64 s[40:41], vcc
	s_xor_b64 s[36:37], exec, s[40:41]
	s_cbranch_execz .LBB2_4496
; %bb.4487:                             ;   in Loop: Header=BB2_4035 Depth=3
	v_mov_b32_e32 v25, 0
	v_cmp_ne_u32_e32 vcc, 0, v35
	s_and_saveexec_b64 s[38:39], vcc
	s_cbranch_execz .LBB2_4495
; %bb.4488:                             ;   in Loop: Header=BB2_4035 Depth=3
	v_bfe_u32 v25, v35, 23, 8
	v_and_b32_e32 v28, 0x7fffff, v35
	v_cmp_gt_u32_e64 s[40:41], s96, v25
	v_sub_u32_e32 v35, 0x79, v25
	v_cmp_eq_u32_e32 vcc, 0, v25
	v_cndmask_b32_e64 v35, 0, v35, s[40:41]
	v_or_b32_e32 v53, 0x800000, v28
	v_cndmask_b32_e32 v35, v35, v36, vcc
	v_cndmask_b32_e32 v28, v53, v28, vcc
	v_add_u32_e32 v53, 20, v35
	v_lshlrev_b64 v[53:54], v53, -1
	v_add_u32_e32 v55, 19, v35
	v_lshlrev_b64 v[46:47], v55, 1
	v_bfi_b32 v54, v54, 0, 0
	v_bfi_b32 v53, v53, 0, v28
	v_cmp_eq_u64_e64 s[40:41], v[53:54], v[46:47]
	v_lshrrev_b64 v[46:47], v35, v[28:29]
	v_mov_b32_e32 v56, v47
	v_mov_b32_e32 v55, v46
	s_and_saveexec_b64 s[48:49], s[40:41]
; %bb.4489:                             ;   in Loop: Header=BB2_4035 Depth=3
	v_bfe_u32 v28, v46, 20, 1
	v_add_co_u32_e64 v28, s[40:41], v46, v28
	v_add_co_u32_e64 v55, s[40:41], -1, v28
; %bb.4490:                             ;   in Loop: Header=BB2_4035 Depth=3
	s_or_b64 exec, exec, s[48:49]
	v_add_u32_e32 v25, 0xffffff81, v25
	v_cndmask_b32_e32 v25, v25, v37, vcc
	v_lshrrev_b32_e32 v28, 23, v46
	v_add3_u32 v56, v35, v25, v28
	v_add_u32_e32 v35, 6, v56
	v_and_b32_e32 v25, 0xfffff, v55
	v_add_u32_e32 v28, v25, v46
	v_cmp_ne_u32_e32 vcc, 0, v35
                                        ; implicit-def: $vgpr46_vgpr47
                                        ; implicit-def: $vgpr25
	s_and_saveexec_b64 s[40:41], vcc
	s_xor_b64 s[40:41], exec, s[40:41]
; %bb.4491:                             ;   in Loop: Header=BB2_4035 Depth=3
	v_cmp_lt_u64_e32 vcc, s[88:89], v[28:29]
	v_add_u32_e32 v25, 7, v56
	v_cndmask_b32_e32 v25, v35, v25, vcc
	v_cndmask_b32_e64 v35, 0, 1, vcc
	v_lshrrev_b64 v[46:47], v35, v[28:29]
; %bb.4492:                             ;   in Loop: Header=BB2_4035 Depth=3
	s_andn2_saveexec_b64 s[40:41], s[40:41]
; %bb.4493:                             ;   in Loop: Header=BB2_4035 Depth=3
	v_mov_b32_e32 v47, v29
	v_bfe_u32 v25, v28, 23, 1
	v_mov_b32_e32 v46, v28
; %bb.4494:                             ;   in Loop: Header=BB2_4035 Depth=3
	s_or_b64 exec, exec, s[40:41]
	v_lshrrev_b64 v[53:54], 20, v[46:47]
	v_cmp_gt_i32_e32 vcc, 16, v25
	v_cndmask_b32_e32 v54, 0, v54, vcc
	v_cndmask_b32_e32 v53, 7, v53, vcc
	v_cmp_eq_u32_e32 vcc, 0, v25
	v_min_i32_e32 v25, 15, v25
	v_cmp_eq_u64_e64 s[40:41], 0, v[53:54]
	v_lshlrev_b32_e32 v25, 3, v25
	v_and_b32_e32 v25, 0xf8, v25
	v_and_or_b32 v25, v53, 7, v25
	s_and_b64 s[40:41], vcc, s[40:41]
	v_cndmask_b32_e64 v25, v25, 0, s[40:41]
	v_or_b32_e32 v25, v25, v30
.LBB2_4495:                             ;   in Loop: Header=BB2_4035 Depth=3
	s_or_b64 exec, exec, s[38:39]
                                        ; implicit-def: $vgpr30
.LBB2_4496:                             ;   in Loop: Header=BB2_4035 Depth=3
	s_andn2_saveexec_b64 s[40:41], s[36:37]
; %bb.4497:                             ;   in Loop: Header=BB2_4035 Depth=3
	v_or_b32_e32 v25, 0x7e, v30
; %bb.4498:                             ;   in Loop: Header=BB2_4035 Depth=3
	s_or_b64 exec, exec, s[40:41]
                                        ; implicit-def: $vgpr35
.LBB2_4499:                             ;   in Loop: Header=BB2_4035 Depth=3
	s_andn2_saveexec_b64 s[40:41], s[42:43]
; %bb.4500:                             ;   in Loop: Header=BB2_4035 Depth=3
	v_or_b32_sdwa v25, v35, s85 dst_sel:DWORD dst_unused:UNUSED_PAD src0_sel:BYTE_3 src1_sel:DWORD
; %bb.4501:                             ;   in Loop: Header=BB2_4035 Depth=3
	s_or_b64 exec, exec, s[40:41]
	v_lshl_or_b32 v34, v34, 8, v19
	v_lshlrev_b32_e32 v23, 16, v23
	v_lshlrev_b32_e32 v28, 24, v33
	v_or3_b32 v28, v23, v28, v34
	v_cmp_ne_u32_e32 vcc, 0, v19
	v_mov_b32_e32 v23, 0
	s_and_saveexec_b64 s[40:41], vcc
	s_cbranch_execz .LBB2_4507
; %bb.4502:                             ;   in Loop: Header=BB2_4035 Depth=3
	v_cmp_ne_u32_e32 vcc, s87, v19
	v_bfrev_b32_e32 v23, 1
	s_and_saveexec_b64 s[42:43], vcc
	s_cbranch_execz .LBB2_4506
; %bb.4503:                             ;   in Loop: Header=BB2_4035 Depth=3
	v_and_b32_e32 v30, 0x7f, v19
	v_cmp_ne_u32_e32 vcc, s85, v30
	v_mov_b32_e32 v23, 0x7f800001
	s_and_saveexec_b64 s[36:37], vcc
	s_cbranch_execz .LBB2_4505
; %bb.4504:                             ;   in Loop: Header=BB2_4035 Depth=3
	v_and_b32_e32 v19, 7, v19
	v_ffbh_u32_e32 v19, v19
	v_min_u32_e32 v19, 32, v19
	v_lshrrev_b32_e32 v23, 3, v30
	v_cmp_gt_u32_e32 vcc, 8, v30
	v_subrev_u32_e32 v30, 28, v19
	v_sub_u32_e32 v19, 29, v19
	v_cndmask_b32_e32 v19, v23, v19, vcc
	v_cndmask_b32_e32 v23, 0, v30, vcc
	v_lshlrev_b64 v[53:54], v23, v[28:29]
	v_lshlrev_b32_e32 v30, 24, v28
	v_lshlrev_b32_e32 v23, 20, v53
	v_and_b32_e32 v23, 0x700000, v23
	v_and_b32_e32 v30, 0x80000000, v30
	v_lshl_add_u32 v19, v19, 23, v17
	v_or3_b32 v23, v30, v19, v23
.LBB2_4505:                             ;   in Loop: Header=BB2_4035 Depth=3
	s_or_b64 exec, exec, s[36:37]
.LBB2_4506:                             ;   in Loop: Header=BB2_4035 Depth=3
	s_or_b64 exec, exec, s[42:43]
.LBB2_4507:                             ;   in Loop: Header=BB2_4035 Depth=3
	s_or_b64 exec, exec, s[40:41]
	v_cmp_gt_i16_sdwa s[42:43], v9, s85 src0_sel:BYTE_0 src1_sel:DWORD
	s_mov_b64 s[40:41], 0
	s_and_saveexec_b64 vcc, s[42:43]
	s_xor_b64 s[42:43], exec, vcc
	s_cbranch_execz .LBB2_4511
; %bb.4508:                             ;   in Loop: Header=BB2_4035 Depth=3
	v_cmp_eq_u16_sdwa s[36:37], v9, s87 src0_sel:BYTE_0 src1_sel:DWORD
	s_mov_b64 s[40:41], -1
	s_and_saveexec_b64 vcc, s[36:37]
; %bb.4509:                             ;   in Loop: Header=BB2_4035 Depth=3
	s_xor_b64 s[40:41], exec, -1
; %bb.4510:                             ;   in Loop: Header=BB2_4035 Depth=3
	s_or_b64 exec, exec, vcc
	s_and_b64 s[40:41], s[40:41], exec
.LBB2_4511:                             ;   in Loop: Header=BB2_4035 Depth=3
	s_or_saveexec_b64 s[42:43], s[42:43]
	v_bfrev_b32_e32 v19, 1
	s_xor_b64 exec, exec, s[42:43]
; %bb.4512:                             ;   in Loop: Header=BB2_4035 Depth=3
	v_cmp_ne_u16_sdwa vcc, v9, v29 src0_sel:BYTE_0 src1_sel:DWORD
	s_andn2_b64 s[40:41], s[40:41], exec
	s_and_b64 vcc, vcc, exec
	v_mov_b32_e32 v19, 0
	s_or_b64 s[40:41], s[40:41], vcc
; %bb.4513:                             ;   in Loop: Header=BB2_4035 Depth=3
	s_or_b64 exec, exec, s[42:43]
	v_mov_b32_e32 v46, v9
	v_mov_b32_e32 v47, v29
	s_and_saveexec_b64 s[42:43], s[40:41]
	s_cbranch_execz .LBB2_4515
; %bb.4514:                             ;   in Loop: Header=BB2_4035 Depth=3
	v_and_b32_e32 v19, 7, v9
	v_ffbh_u32_e32 v19, v19
	v_and_b32_e32 v30, 0x7f, v9
	v_min_u32_e32 v19, 32, v19
	v_bfe_u32 v33, v9, 3, 4
	v_subrev_u32_e32 v35, 28, v19
	v_sub_u32_e32 v19, 29, v19
	v_cmp_gt_u32_e32 vcc, 8, v30
	v_cndmask_b32_e32 v19, v33, v19, vcc
	v_cndmask_b32_e32 v33, 0, v35, vcc
	v_lshlrev_b64 v[53:54], v33, v[46:47]
	v_lshlrev_b32_e32 v35, 24, v46
	v_lshlrev_b32_e32 v33, 20, v53
	v_and_b32_e32 v33, 0x700000, v33
	v_and_b32_e32 v35, 0x80000000, v35
	v_lshl_add_u32 v19, v19, 23, v17
	v_or3_b32 v19, v35, v19, v33
	v_cmp_ne_u32_e32 vcc, s85, v30
	v_cndmask_b32_e32 v19, v4, v19, vcc
.LBB2_4515:                             ;   in Loop: Header=BB2_4035 Depth=3
	s_or_b64 exec, exec, s[42:43]
	v_add_f32_e32 v30, v23, v19
	v_and_b32_e32 v53, 0x7f800000, v30
	v_mov_b32_e32 v54, v29
	v_cmp_ne_u64_e32 vcc, s[76:77], v[53:54]
                                        ; implicit-def: $vgpr19
	s_and_saveexec_b64 s[40:41], vcc
	s_xor_b64 s[42:43], exec, s[40:41]
	s_cbranch_execz .LBB2_4529
; %bb.4516:                             ;   in Loop: Header=BB2_4035 Depth=3
	v_and_b32_e32 v53, 0x7fffffff, v30
	v_mov_b32_e32 v54, v29
	v_cmp_gt_u64_e32 vcc, s[78:79], v[53:54]
	v_and_b32_sdwa v23, v30, s87 dst_sel:DWORD dst_unused:UNUSED_PAD src0_sel:BYTE_3 src1_sel:DWORD
                                        ; implicit-def: $vgpr19
	s_and_saveexec_b64 s[40:41], vcc
	s_xor_b64 s[36:37], exec, s[40:41]
	s_cbranch_execz .LBB2_4526
; %bb.4517:                             ;   in Loop: Header=BB2_4035 Depth=3
	v_mov_b32_e32 v19, 0
	v_cmp_ne_u32_e32 vcc, 0, v30
	s_and_saveexec_b64 s[38:39], vcc
	s_cbranch_execz .LBB2_4525
; %bb.4518:                             ;   in Loop: Header=BB2_4035 Depth=3
	v_bfe_u32 v19, v30, 23, 8
	v_and_b32_e32 v33, 0x7fffff, v30
	v_cmp_gt_u32_e64 s[40:41], s96, v19
	v_sub_u32_e32 v30, 0x79, v19
	v_cmp_eq_u32_e32 vcc, 0, v19
	v_cndmask_b32_e64 v30, 0, v30, s[40:41]
	v_or_b32_e32 v35, 0x800000, v33
	v_cndmask_b32_e32 v30, v30, v36, vcc
	v_cndmask_b32_e32 v53, v35, v33, vcc
	v_add_u32_e32 v33, 20, v30
	v_lshlrev_b64 v[55:56], v33, -1
	v_add_u32_e32 v33, 19, v30
	v_lshlrev_b64 v[57:58], v33, 1
	v_mov_b32_e32 v54, v29
	v_bfi_b32 v56, v56, 0, 0
	v_bfi_b32 v55, v55, 0, v53
	v_cmp_eq_u64_e64 s[40:41], v[55:56], v[57:58]
	v_lshrrev_b64 v[55:56], v30, v[53:54]
	v_mov_b32_e32 v57, v56
	v_mov_b32_e32 v56, v55
	s_and_saveexec_b64 s[48:49], s[40:41]
; %bb.4519:                             ;   in Loop: Header=BB2_4035 Depth=3
	v_bfe_u32 v33, v55, 20, 1
	v_add_co_u32_e64 v33, s[40:41], v55, v33
	v_add_co_u32_e64 v56, s[40:41], -1, v33
; %bb.4520:                             ;   in Loop: Header=BB2_4035 Depth=3
	s_or_b64 exec, exec, s[48:49]
	v_add_u32_e32 v19, 0xffffff81, v19
	v_cndmask_b32_e32 v19, v19, v37, vcc
	v_lshrrev_b32_e32 v33, 23, v55
	v_add3_u32 v33, v30, v19, v33
	v_add_u32_e32 v30, 6, v33
	v_and_b32_e32 v19, 0xfffff, v56
	v_add_u32_e32 v55, v19, v55
	v_mov_b32_e32 v56, v29
	v_cmp_ne_u32_e32 vcc, 0, v30
                                        ; implicit-def: $vgpr19
	s_and_saveexec_b64 s[40:41], vcc
	s_xor_b64 s[40:41], exec, s[40:41]
; %bb.4521:                             ;   in Loop: Header=BB2_4035 Depth=3
	v_cmp_lt_u64_e32 vcc, s[88:89], v[55:56]
	v_add_u32_e32 v19, 7, v33
	v_cndmask_b32_e32 v19, v30, v19, vcc
	v_cndmask_b32_e64 v30, 0, 1, vcc
	v_lshrrev_b64 v[55:56], v30, v[55:56]
; %bb.4522:                             ;   in Loop: Header=BB2_4035 Depth=3
	s_or_saveexec_b64 s[40:41], s[40:41]
	buffer_load_dword v58, off, s[0:3], s33 offset:172 ; 4-byte Folded Reload
	s_xor_b64 exec, exec, s[40:41]
; %bb.4523:                             ;   in Loop: Header=BB2_4035 Depth=3
	v_bfe_u32 v19, v55, 23, 1
; %bb.4524:                             ;   in Loop: Header=BB2_4035 Depth=3
	s_or_b64 exec, exec, s[40:41]
	v_lshrrev_b64 v[53:54], 20, v[55:56]
	v_cmp_gt_i32_e32 vcc, 16, v19
	v_cndmask_b32_e32 v54, 0, v54, vcc
	v_cndmask_b32_e32 v53, 7, v53, vcc
	v_cmp_eq_u32_e32 vcc, 0, v19
	v_min_i32_e32 v19, 15, v19
	v_cmp_eq_u64_e64 s[40:41], 0, v[53:54]
	v_lshlrev_b32_e32 v19, 3, v19
	v_and_b32_e32 v19, 0xf8, v19
	v_and_or_b32 v19, v53, 7, v19
	s_and_b64 s[40:41], vcc, s[40:41]
	v_cndmask_b32_e64 v19, v19, 0, s[40:41]
	v_or_b32_e32 v19, v19, v23
.LBB2_4525:                             ;   in Loop: Header=BB2_4035 Depth=3
	s_or_b64 exec, exec, s[38:39]
                                        ; implicit-def: $vgpr23
.LBB2_4526:                             ;   in Loop: Header=BB2_4035 Depth=3
	s_andn2_saveexec_b64 s[40:41], s[36:37]
; %bb.4527:                             ;   in Loop: Header=BB2_4035 Depth=3
	v_or_b32_e32 v19, 0x7e, v23
; %bb.4528:                             ;   in Loop: Header=BB2_4035 Depth=3
	s_or_b64 exec, exec, s[40:41]
                                        ; implicit-def: $vgpr30
.LBB2_4529:                             ;   in Loop: Header=BB2_4035 Depth=3
	s_andn2_saveexec_b64 s[40:41], s[42:43]
; %bb.4530:                             ;   in Loop: Header=BB2_4035 Depth=3
	v_or_b32_sdwa v19, v30, s85 dst_sel:DWORD dst_unused:UNUSED_PAD src0_sel:BYTE_3 src1_sel:DWORD
; %bb.4531:                             ;   in Loop: Header=BB2_4035 Depth=3
	s_or_b64 exec, exec, s[40:41]
	v_lshrrev_b16_e32 v30, 8, v34
	v_cmp_ne_u16_e32 vcc, 0, v30
	v_mov_b32_e32 v23, 0
	s_and_saveexec_b64 s[40:41], vcc
	s_cbranch_execz .LBB2_4537
; %bb.4532:                             ;   in Loop: Header=BB2_4035 Depth=3
	v_cmp_ne_u16_e32 vcc, s87, v30
	v_bfrev_b32_e32 v23, 1
	s_and_saveexec_b64 s[42:43], vcc
	s_cbranch_execz .LBB2_4536
; %bb.4533:                             ;   in Loop: Header=BB2_4035 Depth=3
	v_and_b32_e32 v33, 0x7f, v30
	v_cmp_ne_u32_e32 vcc, s85, v33
	v_mov_b32_e32 v23, 0x7f800001
	s_and_saveexec_b64 s[36:37], vcc
	s_cbranch_execz .LBB2_4535
; %bb.4534:                             ;   in Loop: Header=BB2_4035 Depth=3
	v_and_b32_e32 v23, 7, v30
	v_lshrrev_b32_e32 v35, 3, v33
	v_cmp_gt_u32_e32 vcc, 8, v33
	v_ffbh_u32_e32 v33, v23
	v_min_u32_e32 v33, 32, v33
	v_subrev_u32_e32 v53, 28, v33
	v_lshlrev_b64 v[53:54], v53, v[30:31]
	v_sub_u32_e32 v30, 29, v33
	v_and_b32_e32 v33, 7, v53
	v_cndmask_b32_e32 v30, v35, v30, vcc
	v_cndmask_b32_e32 v23, v23, v33, vcc
	v_lshlrev_b32_e32 v33, 16, v34
	v_lshlrev_b32_e32 v23, 20, v23
	v_and_b32_e32 v33, 0x80000000, v33
	v_lshl_add_u32 v30, v30, 23, v17
	v_or3_b32 v23, v33, v30, v23
.LBB2_4535:                             ;   in Loop: Header=BB2_4035 Depth=3
	s_or_b64 exec, exec, s[36:37]
.LBB2_4536:                             ;   in Loop: Header=BB2_4035 Depth=3
	s_or_b64 exec, exec, s[42:43]
.LBB2_4537:                             ;   in Loop: Header=BB2_4035 Depth=3
	s_or_b64 exec, exec, s[40:41]
	v_lshrrev_b16_e32 v46, 8, v46
	v_cmp_lt_i16_e32 vcc, s85, v46
	s_mov_b64 s[40:41], 0
	s_and_saveexec_b64 s[42:43], vcc
	s_xor_b64 s[42:43], exec, s[42:43]
	s_cbranch_execz .LBB2_4832
; %bb.4538:                             ;   in Loop: Header=BB2_4035 Depth=3
	v_cmp_eq_u16_e32 vcc, s87, v46
	s_mov_b64 s[40:41], -1
	s_and_saveexec_b64 s[36:37], vcc
; %bb.4539:                             ;   in Loop: Header=BB2_4035 Depth=3
	s_xor_b64 s[40:41], exec, -1
; %bb.4540:                             ;   in Loop: Header=BB2_4035 Depth=3
	s_or_b64 exec, exec, s[36:37]
	s_and_b64 s[40:41], s[40:41], exec
	s_or_saveexec_b64 s[42:43], s[42:43]
	v_bfrev_b32_e32 v30, 1
	s_xor_b64 exec, exec, s[42:43]
	s_cbranch_execnz .LBB2_4833
.LBB2_4541:                             ;   in Loop: Header=BB2_4035 Depth=3
	s_or_b64 exec, exec, s[42:43]
	s_and_saveexec_b64 s[42:43], s[40:41]
	s_cbranch_execz .LBB2_4543
.LBB2_4542:                             ;   in Loop: Header=BB2_4035 Depth=3
	v_and_b32_e32 v30, 7, v46
	v_ffbh_u32_e32 v33, v30
	v_min_u32_e32 v54, 32, v33
	v_mov_b32_e32 v47, v29
	v_subrev_u32_e32 v33, 28, v54
	v_lshlrev_b64 v[33:34], v33, v[46:47]
	v_and_b32_e32 v35, 0x7f, v46
	v_bfe_u32 v53, v46, 3, 4
	v_sub_u32_e32 v34, 29, v54
	v_and_b32_e32 v33, 7, v33
	v_cmp_gt_u32_e32 vcc, 8, v35
	v_cndmask_b32_e32 v34, v53, v34, vcc
	v_cndmask_b32_e32 v30, v30, v33, vcc
	v_lshlrev_b32_e32 v33, 24, v46
	v_lshlrev_b32_e32 v30, 20, v30
	v_and_b32_e32 v33, 0x80000000, v33
	v_lshl_add_u32 v34, v34, 23, v17
	v_or3_b32 v30, v33, v34, v30
	v_cmp_ne_u32_e32 vcc, s85, v35
	v_cndmask_b32_e32 v30, v4, v30, vcc
.LBB2_4543:                             ;   in Loop: Header=BB2_4035 Depth=3
	s_or_b64 exec, exec, s[42:43]
	v_add_f32_e32 v33, v23, v30
	v_and_b32_e32 v34, 0x7f800000, v33
	v_mov_b32_e32 v35, v29
	v_cmp_ne_u64_e32 vcc, s[76:77], v[34:35]
                                        ; implicit-def: $vgpr23
	s_and_saveexec_b64 s[40:41], vcc
	s_xor_b64 s[42:43], exec, s[40:41]
	s_cbranch_execz .LBB2_4557
; %bb.4544:                             ;   in Loop: Header=BB2_4035 Depth=3
	v_and_b32_e32 v34, 0x7fffffff, v33
	v_mov_b32_e32 v35, v29
	v_cmp_gt_u64_e32 vcc, s[78:79], v[34:35]
	v_and_b32_sdwa v30, v33, s87 dst_sel:DWORD dst_unused:UNUSED_PAD src0_sel:BYTE_3 src1_sel:DWORD
                                        ; implicit-def: $vgpr23
	s_and_saveexec_b64 s[40:41], vcc
	s_xor_b64 s[36:37], exec, s[40:41]
	s_cbranch_execz .LBB2_4554
; %bb.4545:                             ;   in Loop: Header=BB2_4035 Depth=3
	v_mov_b32_e32 v23, 0
	v_cmp_ne_u32_e32 vcc, 0, v33
	s_and_saveexec_b64 s[38:39], vcc
	s_cbranch_execz .LBB2_4553
; %bb.4546:                             ;   in Loop: Header=BB2_4035 Depth=3
	v_bfe_u32 v23, v33, 23, 8
	v_and_b32_e32 v34, 0x7fffff, v33
	v_cmp_gt_u32_e64 s[40:41], s96, v23
	v_sub_u32_e32 v33, 0x79, v23
	v_cmp_eq_u32_e32 vcc, 0, v23
	v_cndmask_b32_e64 v33, 0, v33, s[40:41]
	v_cndmask_b32_e32 v33, v33, v36, vcc
	v_add_u32_e32 v53, 20, v33
	v_or_b32_e32 v35, 0x800000, v34
	v_lshlrev_b64 v[53:54], v53, -1
	v_add_u32_e32 v55, 19, v33
	v_cndmask_b32_e32 v34, v35, v34, vcc
	v_lshlrev_b64 v[46:47], v55, 1
	v_mov_b32_e32 v35, v29
	v_bfi_b32 v54, v54, 0, 0
	v_bfi_b32 v53, v53, 0, v34
	v_cmp_eq_u64_e64 s[40:41], v[53:54], v[46:47]
	v_lshrrev_b64 v[46:47], v33, v[34:35]
	v_mov_b32_e32 v56, v47
	v_mov_b32_e32 v55, v46
	s_and_saveexec_b64 s[48:49], s[40:41]
; %bb.4547:                             ;   in Loop: Header=BB2_4035 Depth=3
	v_bfe_u32 v34, v46, 20, 1
	v_add_co_u32_e64 v34, s[40:41], v46, v34
	v_add_co_u32_e64 v55, s[40:41], -1, v34
; %bb.4548:                             ;   in Loop: Header=BB2_4035 Depth=3
	s_or_b64 exec, exec, s[48:49]
	v_add_u32_e32 v23, 0xffffff81, v23
	v_cndmask_b32_e32 v23, v23, v37, vcc
	v_lshrrev_b32_e32 v34, 23, v46
	v_add3_u32 v34, v33, v23, v34
	v_add_u32_e32 v33, 6, v34
	v_and_b32_e32 v23, 0xfffff, v55
	v_add_u32_e32 v46, v23, v46
	v_mov_b32_e32 v47, v29
	v_cmp_ne_u32_e32 vcc, 0, v33
                                        ; implicit-def: $vgpr23
	s_and_saveexec_b64 s[40:41], vcc
	s_xor_b64 s[40:41], exec, s[40:41]
; %bb.4549:                             ;   in Loop: Header=BB2_4035 Depth=3
	v_cmp_lt_u64_e32 vcc, s[88:89], v[46:47]
	v_add_u32_e32 v23, 7, v34
	v_cndmask_b32_e32 v23, v33, v23, vcc
	v_cndmask_b32_e64 v33, 0, 1, vcc
	v_lshrrev_b64 v[46:47], v33, v[46:47]
; %bb.4550:                             ;   in Loop: Header=BB2_4035 Depth=3
	s_andn2_saveexec_b64 s[40:41], s[40:41]
; %bb.4551:                             ;   in Loop: Header=BB2_4035 Depth=3
	v_bfe_u32 v23, v46, 23, 1
; %bb.4552:                             ;   in Loop: Header=BB2_4035 Depth=3
	s_or_b64 exec, exec, s[40:41]
	v_lshrrev_b64 v[33:34], 20, v[46:47]
	v_cmp_gt_i32_e32 vcc, 16, v23
	v_cndmask_b32_e32 v34, 0, v34, vcc
	v_cndmask_b32_e32 v33, 7, v33, vcc
	v_cmp_eq_u32_e32 vcc, 0, v23
	v_min_i32_e32 v23, 15, v23
	v_cmp_eq_u64_e64 s[40:41], 0, v[33:34]
	v_lshlrev_b32_e32 v23, 3, v23
	v_and_b32_e32 v23, 0xf8, v23
	v_and_or_b32 v23, v33, 7, v23
	s_and_b64 s[40:41], vcc, s[40:41]
	v_cndmask_b32_e64 v23, v23, 0, s[40:41]
	v_or_b32_e32 v23, v23, v30
.LBB2_4553:                             ;   in Loop: Header=BB2_4035 Depth=3
	s_or_b64 exec, exec, s[38:39]
                                        ; implicit-def: $vgpr30
.LBB2_4554:                             ;   in Loop: Header=BB2_4035 Depth=3
	s_andn2_saveexec_b64 s[40:41], s[36:37]
; %bb.4555:                             ;   in Loop: Header=BB2_4035 Depth=3
	v_or_b32_e32 v23, 0x7e, v30
; %bb.4556:                             ;   in Loop: Header=BB2_4035 Depth=3
	s_or_b64 exec, exec, s[40:41]
                                        ; implicit-def: $vgpr33
.LBB2_4557:                             ;   in Loop: Header=BB2_4035 Depth=3
	s_andn2_saveexec_b64 s[40:41], s[42:43]
; %bb.4558:                             ;   in Loop: Header=BB2_4035 Depth=3
	v_or_b32_sdwa v23, v33, s85 dst_sel:DWORD dst_unused:UNUSED_PAD src0_sel:BYTE_3 src1_sel:DWORD
; %bb.4559:                             ;   in Loop: Header=BB2_4035 Depth=3
	s_or_b64 exec, exec, s[40:41]
	v_lshrrev_b32_e32 v30, 16, v28
	v_cmp_ne_u16_sdwa s[42:43], v30, v29 src0_sel:BYTE_0 src1_sel:DWORD
	v_mov_b32_e32 v33, 0
	s_and_saveexec_b64 s[40:41], s[42:43]
	s_cbranch_execz .LBB2_4565
; %bb.4560:                             ;   in Loop: Header=BB2_4035 Depth=3
	v_cmp_ne_u16_sdwa vcc, v30, s87 src0_sel:BYTE_0 src1_sel:DWORD
	v_bfrev_b32_e32 v33, 1
	s_and_saveexec_b64 s[42:43], vcc
	s_cbranch_execz .LBB2_4564
; %bb.4561:                             ;   in Loop: Header=BB2_4035 Depth=3
	v_bfe_u32 v34, v28, 16, 7
	v_cmp_ne_u32_e32 vcc, s85, v34
	v_mov_b32_e32 v33, 0x7f800001
	s_and_saveexec_b64 s[36:37], vcc
	s_cbranch_execz .LBB2_4563
; %bb.4562:                             ;   in Loop: Header=BB2_4035 Depth=3
	v_and_b32_e32 v35, 7, v30
	v_ffbh_u32_e32 v33, v35
	v_min_u32_e32 v54, 32, v33
	v_subrev_u32_e32 v33, 28, v54
	v_lshrrev_b32_e32 v53, 3, v34
	v_cmp_gt_u32_e32 vcc, 8, v34
	v_lshlrev_b64 v[33:34], v33, v[30:31]
	v_sub_u32_e32 v34, 29, v54
	v_and_b32_e32 v33, 7, v33
	v_cndmask_b32_e32 v34, v53, v34, vcc
	v_cndmask_b32_e32 v33, v35, v33, vcc
	v_lshlrev_b32_e32 v30, 24, v30
	v_lshlrev_b32_e32 v33, 20, v33
	v_and_b32_e32 v30, 0x80000000, v30
	v_lshl_add_u32 v34, v34, 23, v17
	v_or3_b32 v33, v30, v34, v33
.LBB2_4563:                             ;   in Loop: Header=BB2_4035 Depth=3
	s_or_b64 exec, exec, s[36:37]
.LBB2_4564:                             ;   in Loop: Header=BB2_4035 Depth=3
	s_or_b64 exec, exec, s[42:43]
.LBB2_4565:                             ;   in Loop: Header=BB2_4035 Depth=3
	s_or_b64 exec, exec, s[40:41]
	v_lshrrev_b32_e32 v30, 16, v9
	v_cmp_gt_i16_sdwa s[42:43], v30, s85 src0_sel:BYTE_0 src1_sel:DWORD
	s_mov_b64 s[40:41], 0
	s_and_saveexec_b64 vcc, s[42:43]
	s_xor_b64 s[42:43], exec, vcc
	s_cbranch_execz .LBB2_4834
; %bb.4566:                             ;   in Loop: Header=BB2_4035 Depth=3
	v_cmp_eq_u16_sdwa s[36:37], v30, s87 src0_sel:BYTE_0 src1_sel:DWORD
	s_mov_b64 s[40:41], -1
	s_and_saveexec_b64 vcc, s[36:37]
; %bb.4567:                             ;   in Loop: Header=BB2_4035 Depth=3
	s_xor_b64 s[40:41], exec, -1
; %bb.4568:                             ;   in Loop: Header=BB2_4035 Depth=3
	s_or_b64 exec, exec, vcc
	s_and_b64 s[40:41], s[40:41], exec
	s_or_saveexec_b64 s[42:43], s[42:43]
	v_bfrev_b32_e32 v34, 1
	s_xor_b64 exec, exec, s[42:43]
	s_cbranch_execnz .LBB2_4835
.LBB2_4569:                             ;   in Loop: Header=BB2_4035 Depth=3
	s_or_b64 exec, exec, s[42:43]
	s_and_saveexec_b64 s[42:43], s[40:41]
	s_cbranch_execz .LBB2_4571
.LBB2_4570:                             ;   in Loop: Header=BB2_4035 Depth=3
	v_and_b32_e32 v53, 7, v30
	v_ffbh_u32_e32 v34, v53
	v_min_u32_e32 v46, 32, v34
	v_subrev_u32_e32 v34, 28, v46
	v_lshlrev_b64 v[34:35], v34, v[30:31]
	v_and_b32_e32 v54, 0x7f, v30
	v_bfe_u32 v55, v30, 3, 4
	v_sub_u32_e32 v35, 29, v46
	v_and_b32_e32 v34, 7, v34
	v_cmp_gt_u32_e32 vcc, 8, v54
	v_cndmask_b32_e32 v35, v55, v35, vcc
	v_cndmask_b32_e32 v34, v53, v34, vcc
	v_lshlrev_b32_e32 v30, 24, v30
	v_lshlrev_b32_e32 v34, 20, v34
	v_and_b32_e32 v30, 0x80000000, v30
	v_lshl_add_u32 v35, v35, 23, v17
	v_or3_b32 v30, v30, v35, v34
	v_cmp_ne_u32_e32 vcc, s85, v54
	v_cndmask_b32_e32 v34, v4, v30, vcc
.LBB2_4571:                             ;   in Loop: Header=BB2_4035 Depth=3
	s_or_b64 exec, exec, s[42:43]
	v_add_f32_e32 v34, v33, v34
	v_and_b32_e32 v53, 0x7f800000, v34
	v_mov_b32_e32 v54, v29
	v_cmp_ne_u64_e32 vcc, s[76:77], v[53:54]
                                        ; implicit-def: $vgpr33
	s_and_saveexec_b64 s[40:41], vcc
	s_xor_b64 s[42:43], exec, s[40:41]
	s_cbranch_execz .LBB2_4585
; %bb.4572:                             ;   in Loop: Header=BB2_4035 Depth=3
	v_and_b32_e32 v53, 0x7fffffff, v34
	v_mov_b32_e32 v54, v29
	v_cmp_gt_u64_e32 vcc, s[78:79], v[53:54]
	v_and_b32_sdwa v30, v34, s87 dst_sel:DWORD dst_unused:UNUSED_PAD src0_sel:BYTE_3 src1_sel:DWORD
                                        ; implicit-def: $vgpr33
	s_and_saveexec_b64 s[40:41], vcc
	s_xor_b64 s[36:37], exec, s[40:41]
	s_cbranch_execz .LBB2_4582
; %bb.4573:                             ;   in Loop: Header=BB2_4035 Depth=3
	v_mov_b32_e32 v33, 0
	v_cmp_ne_u32_e32 vcc, 0, v34
	s_and_saveexec_b64 s[38:39], vcc
	s_cbranch_execz .LBB2_4581
; %bb.4574:                             ;   in Loop: Header=BB2_4035 Depth=3
	v_bfe_u32 v33, v34, 23, 8
	v_and_b32_e32 v35, 0x7fffff, v34
	v_cmp_gt_u32_e64 s[40:41], s96, v33
	v_sub_u32_e32 v34, 0x79, v33
	v_cmp_eq_u32_e32 vcc, 0, v33
	v_cndmask_b32_e64 v34, 0, v34, s[40:41]
	v_or_b32_e32 v53, 0x800000, v35
	v_cndmask_b32_e32 v34, v34, v36, vcc
	v_cndmask_b32_e32 v53, v53, v35, vcc
	v_add_u32_e32 v35, 20, v34
	v_lshlrev_b64 v[46:47], v35, -1
	v_add_u32_e32 v35, 19, v34
	v_lshlrev_b64 v[55:56], v35, 1
	v_mov_b32_e32 v54, v29
	v_bfi_b32 v47, v47, 0, 0
	v_bfi_b32 v46, v46, 0, v53
	v_cmp_eq_u64_e64 s[40:41], v[46:47], v[55:56]
	v_lshrrev_b64 v[46:47], v34, v[53:54]
	v_mov_b32_e32 v56, v47
	v_mov_b32_e32 v55, v46
	s_and_saveexec_b64 s[48:49], s[40:41]
; %bb.4575:                             ;   in Loop: Header=BB2_4035 Depth=3
	v_bfe_u32 v35, v46, 20, 1
	v_add_co_u32_e64 v35, s[40:41], v46, v35
	v_add_co_u32_e64 v55, s[40:41], -1, v35
; %bb.4576:                             ;   in Loop: Header=BB2_4035 Depth=3
	s_or_b64 exec, exec, s[48:49]
	v_add_u32_e32 v33, 0xffffff81, v33
	v_cndmask_b32_e32 v33, v33, v37, vcc
	v_lshrrev_b32_e32 v35, 23, v46
	v_add3_u32 v35, v34, v33, v35
	v_add_u32_e32 v34, 6, v35
	v_and_b32_e32 v33, 0xfffff, v55
	v_add_u32_e32 v46, v33, v46
	v_mov_b32_e32 v47, v29
	v_cmp_ne_u32_e32 vcc, 0, v34
                                        ; implicit-def: $vgpr33
	s_and_saveexec_b64 s[40:41], vcc
	s_xor_b64 s[40:41], exec, s[40:41]
; %bb.4577:                             ;   in Loop: Header=BB2_4035 Depth=3
	v_cmp_lt_u64_e32 vcc, s[88:89], v[46:47]
	v_add_u32_e32 v33, 7, v35
	v_cndmask_b32_e32 v33, v34, v33, vcc
	v_cndmask_b32_e64 v34, 0, 1, vcc
	v_lshrrev_b64 v[46:47], v34, v[46:47]
; %bb.4578:                             ;   in Loop: Header=BB2_4035 Depth=3
	s_andn2_saveexec_b64 s[40:41], s[40:41]
; %bb.4579:                             ;   in Loop: Header=BB2_4035 Depth=3
	v_bfe_u32 v33, v46, 23, 1
; %bb.4580:                             ;   in Loop: Header=BB2_4035 Depth=3
	s_or_b64 exec, exec, s[40:41]
	v_lshrrev_b64 v[34:35], 20, v[46:47]
	v_cmp_gt_i32_e32 vcc, 16, v33
	v_cndmask_b32_e32 v35, 0, v35, vcc
	v_cndmask_b32_e32 v34, 7, v34, vcc
	v_cmp_eq_u32_e32 vcc, 0, v33
	v_min_i32_e32 v33, 15, v33
	v_cmp_eq_u64_e64 s[40:41], 0, v[34:35]
	v_lshlrev_b32_e32 v33, 3, v33
	v_and_b32_e32 v33, 0xf8, v33
	v_and_or_b32 v33, v34, 7, v33
	s_and_b64 s[40:41], vcc, s[40:41]
	v_cndmask_b32_e64 v33, v33, 0, s[40:41]
	v_or_b32_e32 v33, v33, v30
.LBB2_4581:                             ;   in Loop: Header=BB2_4035 Depth=3
	s_or_b64 exec, exec, s[38:39]
                                        ; implicit-def: $vgpr30
.LBB2_4582:                             ;   in Loop: Header=BB2_4035 Depth=3
	s_andn2_saveexec_b64 s[40:41], s[36:37]
; %bb.4583:                             ;   in Loop: Header=BB2_4035 Depth=3
	v_or_b32_e32 v33, 0x7e, v30
; %bb.4584:                             ;   in Loop: Header=BB2_4035 Depth=3
	s_or_b64 exec, exec, s[40:41]
                                        ; implicit-def: $vgpr34
.LBB2_4585:                             ;   in Loop: Header=BB2_4035 Depth=3
	s_andn2_saveexec_b64 s[40:41], s[42:43]
; %bb.4586:                             ;   in Loop: Header=BB2_4035 Depth=3
	v_or_b32_sdwa v33, v34, s85 dst_sel:DWORD dst_unused:UNUSED_PAD src0_sel:BYTE_3 src1_sel:DWORD
; %bb.4587:                             ;   in Loop: Header=BB2_4035 Depth=3
	s_or_b64 exec, exec, s[40:41]
	v_cmp_lt_u32_e32 vcc, s57, v28
	v_mov_b32_e32 v34, 0
	s_and_saveexec_b64 s[40:41], vcc
	s_cbranch_execz .LBB2_4593
; %bb.4588:                             ;   in Loop: Header=BB2_4035 Depth=3
	v_lshrrev_b32_e32 v30, 24, v28
	v_cmp_ne_u32_sdwa vcc, v28, s87 src0_sel:BYTE_3 src1_sel:DWORD
	v_bfrev_b32_e32 v34, 1
	s_and_saveexec_b64 s[42:43], vcc
	s_cbranch_execz .LBB2_4592
; %bb.4589:                             ;   in Loop: Header=BB2_4035 Depth=3
	v_bfe_u32 v35, v28, 24, 7
	v_cmp_ne_u32_e32 vcc, s85, v35
	v_mov_b32_e32 v34, 0x7f800001
	s_and_saveexec_b64 s[36:37], vcc
	s_cbranch_execz .LBB2_4591
; %bb.4590:                             ;   in Loop: Header=BB2_4035 Depth=3
	v_and_b32_e32 v53, 7, v30
	v_ffbh_u32_e32 v34, v53
	v_min_u32_e32 v55, 32, v34
	v_subrev_u32_e32 v34, 28, v55
	v_lshrrev_b32_e32 v54, 3, v35
	v_cmp_gt_u32_e32 vcc, 8, v35
	v_lshlrev_b64 v[34:35], v34, v[30:31]
	v_sub_u32_e32 v30, 29, v55
	v_and_b32_e32 v34, 7, v34
	v_mov_b32_e32 v35, 24
	v_cndmask_b32_e32 v30, v54, v30, vcc
	v_cndmask_b32_e32 v34, v53, v34, vcc
	v_lshlrev_b32_sdwa v28, v35, v28 dst_sel:DWORD dst_unused:UNUSED_PAD src0_sel:DWORD src1_sel:BYTE_3
	v_lshlrev_b32_e32 v34, 20, v34
	v_and_b32_e32 v28, 0x80000000, v28
	v_lshl_add_u32 v30, v30, 23, v17
	v_or3_b32 v34, v28, v30, v34
.LBB2_4591:                             ;   in Loop: Header=BB2_4035 Depth=3
	s_or_b64 exec, exec, s[36:37]
.LBB2_4592:                             ;   in Loop: Header=BB2_4035 Depth=3
	s_or_b64 exec, exec, s[42:43]
.LBB2_4593:                             ;   in Loop: Header=BB2_4035 Depth=3
	s_or_b64 exec, exec, s[40:41]
	v_bfe_u32 v30, v9, 24, 3
	v_ffbh_u32_e32 v53, v30
	v_min_u32_e32 v46, 32, v53
	v_lshrrev_b32_e32 v28, 24, v9
	v_subrev_u32_e32 v53, 28, v46
	v_lshlrev_b64 v[53:54], v53, v[28:29]
	v_bfe_u32 v35, v9, 24, 7
	v_bfe_u32 v55, v28, 3, 4
	v_sub_u32_e32 v54, 29, v46
	v_and_b32_e32 v53, 7, v53
	v_cmp_gt_u32_e32 vcc, 8, v35
	v_cndmask_b32_e32 v54, v55, v54, vcc
	v_cndmask_b32_e32 v30, v30, v53, vcc
	v_lshlrev_b32_e32 v30, 20, v30
	v_and_b32_e32 v53, 0x80000000, v9
	v_lshl_add_u32 v54, v54, 23, v17
	v_or3_b32 v30, v53, v54, v30
	v_cmp_ne_u32_e32 vcc, s85, v35
	v_cndmask_b32_e32 v30, v4, v30, vcc
	v_cmp_ne_u32_e32 vcc, s87, v28
	v_bfrev_b32_e32 v28, 1
	v_cndmask_b32_e32 v28, v28, v30, vcc
	v_cmp_lt_u64_e32 vcc, s[56:57], v[8:9]
                                        ; implicit-def: $vgpr30
	v_cndmask_b32_e32 v8, 0, v28, vcc
	v_add_f32_e32 v8, v8, v34
	v_and_b32_e32 v28, 0x7f800000, v8
	v_cmp_ne_u64_e32 vcc, s[76:77], v[28:29]
	s_and_saveexec_b64 s[40:41], vcc
	s_xor_b64 s[42:43], exec, s[40:41]
	s_cbranch_execz .LBB2_4607
; %bb.4594:                             ;   in Loop: Header=BB2_4035 Depth=3
	v_and_b32_e32 v28, 0x7fffffff, v8
	v_cmp_gt_u64_e32 vcc, s[78:79], v[28:29]
	v_and_b32_sdwa v34, v8, s87 dst_sel:DWORD dst_unused:UNUSED_PAD src0_sel:BYTE_3 src1_sel:DWORD
                                        ; implicit-def: $vgpr30
	s_and_saveexec_b64 s[40:41], vcc
	s_xor_b64 s[36:37], exec, s[40:41]
	s_cbranch_execz .LBB2_4604
; %bb.4595:                             ;   in Loop: Header=BB2_4035 Depth=3
	v_mov_b32_e32 v30, 0
	v_cmp_ne_u32_e32 vcc, 0, v8
	s_and_saveexec_b64 s[38:39], vcc
	s_cbranch_execz .LBB2_4603
; %bb.4596:                             ;   in Loop: Header=BB2_4035 Depth=3
	v_bfe_u32 v30, v8, 23, 8
	v_and_b32_e32 v9, 0x7fffff, v8
	v_cmp_gt_u32_e64 s[40:41], s96, v30
	v_sub_u32_e32 v8, 0x79, v30
	v_cmp_eq_u32_e32 vcc, 0, v30
	v_cndmask_b32_e64 v8, 0, v8, s[40:41]
	v_cndmask_b32_e32 v35, v8, v36, vcc
	v_or_b32_e32 v28, 0x800000, v9
	v_add_u32_e32 v8, 20, v35
	v_cndmask_b32_e32 v28, v28, v9, vcc
	v_lshlrev_b64 v[8:9], v8, -1
	v_add_u32_e32 v53, 19, v35
	v_lshlrev_b64 v[53:54], v53, 1
	v_bfi_b32 v9, v9, 0, 0
	v_bfi_b32 v8, v8, 0, v28
	v_cmp_eq_u64_e64 s[40:41], v[8:9], v[53:54]
	v_lshrrev_b64 v[8:9], v35, v[28:29]
	v_mov_b32_e32 v47, v9
	v_mov_b32_e32 v46, v8
	s_and_saveexec_b64 s[48:49], s[40:41]
; %bb.4597:                             ;   in Loop: Header=BB2_4035 Depth=3
	v_bfe_u32 v9, v8, 20, 1
	v_add_co_u32_e64 v9, s[40:41], v8, v9
	v_add_co_u32_e64 v46, s[40:41], -1, v9
; %bb.4598:                             ;   in Loop: Header=BB2_4035 Depth=3
	s_or_b64 exec, exec, s[48:49]
	v_add_u32_e32 v9, 0xffffff81, v30
	v_cndmask_b32_e32 v9, v9, v37, vcc
	v_lshrrev_b32_e32 v28, 23, v8
	v_add3_u32 v55, v35, v9, v28
	v_add_u32_e32 v35, 6, v55
	v_and_b32_e32 v9, 0xfffff, v46
	v_add_u32_e32 v28, v9, v8
	v_cmp_ne_u32_e32 vcc, 0, v35
                                        ; implicit-def: $vgpr8_vgpr9
                                        ; implicit-def: $vgpr30
	s_and_saveexec_b64 s[40:41], vcc
	s_xor_b64 s[40:41], exec, s[40:41]
; %bb.4599:                             ;   in Loop: Header=BB2_4035 Depth=3
	v_cmp_lt_u64_e32 vcc, s[88:89], v[28:29]
	v_add_u32_e32 v8, 7, v55
	v_cndmask_b32_e32 v30, v35, v8, vcc
	v_cndmask_b32_e64 v8, 0, 1, vcc
	v_lshrrev_b64 v[8:9], v8, v[28:29]
; %bb.4600:                             ;   in Loop: Header=BB2_4035 Depth=3
	s_andn2_saveexec_b64 s[40:41], s[40:41]
; %bb.4601:                             ;   in Loop: Header=BB2_4035 Depth=3
	v_mov_b32_e32 v8, v28
	v_bfe_u32 v30, v28, 23, 1
	v_mov_b32_e32 v9, v29
; %bb.4602:                             ;   in Loop: Header=BB2_4035 Depth=3
	s_or_b64 exec, exec, s[40:41]
	v_lshrrev_b64 v[8:9], 20, v[8:9]
	v_cmp_gt_i32_e32 vcc, 16, v30
	v_cndmask_b32_e32 v9, 0, v9, vcc
	v_cndmask_b32_e32 v8, 7, v8, vcc
	v_cmp_eq_u64_e64 s[40:41], 0, v[8:9]
	v_min_i32_e32 v9, 15, v30
	v_lshlrev_b32_e32 v9, 3, v9
	v_cmp_eq_u32_e32 vcc, 0, v30
	v_and_b32_e32 v9, 0xf8, v9
	v_and_or_b32 v8, v8, 7, v9
	s_and_b64 s[40:41], vcc, s[40:41]
	v_cndmask_b32_e64 v8, v8, 0, s[40:41]
	v_or_b32_e32 v30, v8, v34
.LBB2_4603:                             ;   in Loop: Header=BB2_4035 Depth=3
	s_or_b64 exec, exec, s[38:39]
                                        ; implicit-def: $vgpr34
.LBB2_4604:                             ;   in Loop: Header=BB2_4035 Depth=3
	s_andn2_saveexec_b64 s[40:41], s[36:37]
; %bb.4605:                             ;   in Loop: Header=BB2_4035 Depth=3
	v_or_b32_e32 v30, 0x7e, v34
; %bb.4606:                             ;   in Loop: Header=BB2_4035 Depth=3
	s_or_b64 exec, exec, s[40:41]
                                        ; implicit-def: $vgpr8
.LBB2_4607:                             ;   in Loop: Header=BB2_4035 Depth=3
	s_andn2_saveexec_b64 s[40:41], s[42:43]
; %bb.4608:                             ;   in Loop: Header=BB2_4035 Depth=3
	v_or_b32_sdwa v30, v8, s85 dst_sel:DWORD dst_unused:UNUSED_PAD src0_sel:BYTE_3 src1_sel:DWORD
; %bb.4609:                             ;   in Loop: Header=BB2_4035 Depth=3
	s_or_b64 exec, exec, s[40:41]
	v_lshl_or_b32 v24, v24, 8, v7
	v_lshlrev_b32_e32 v8, 16, v31
	v_lshlrev_b32_e32 v9, 24, v22
	v_or3_b32 v28, v8, v9, v24
	v_cmp_ne_u32_e32 vcc, 0, v7
	v_mov_b32_e32 v8, 0
	s_and_saveexec_b64 s[40:41], vcc
	s_cbranch_execz .LBB2_4615
; %bb.4610:                             ;   in Loop: Header=BB2_4035 Depth=3
	v_cmp_ne_u32_e32 vcc, s87, v7
	v_bfrev_b32_e32 v8, 1
	s_and_saveexec_b64 s[42:43], vcc
	s_cbranch_execz .LBB2_4614
; %bb.4611:                             ;   in Loop: Header=BB2_4035 Depth=3
	v_and_b32_e32 v9, 0x7f, v7
	v_cmp_ne_u32_e32 vcc, s85, v9
	v_mov_b32_e32 v8, 0x7f800001
	s_and_saveexec_b64 s[36:37], vcc
	s_cbranch_execz .LBB2_4613
; %bb.4612:                             ;   in Loop: Header=BB2_4035 Depth=3
	v_and_b32_e32 v7, 7, v7
	v_ffbh_u32_e32 v7, v7
	v_min_u32_e32 v7, 32, v7
	v_lshrrev_b32_e32 v8, 3, v9
	v_cmp_gt_u32_e32 vcc, 8, v9
	v_subrev_u32_e32 v9, 28, v7
	v_sub_u32_e32 v7, 29, v7
	v_cndmask_b32_e32 v22, v8, v7, vcc
	v_cndmask_b32_e32 v7, 0, v9, vcc
	v_lshlrev_b64 v[7:8], v7, v[28:29]
	v_lshlrev_b32_e32 v8, 24, v28
	v_lshlrev_b32_e32 v7, 20, v7
	v_and_b32_e32 v7, 0x700000, v7
	v_and_b32_e32 v8, 0x80000000, v8
	v_lshl_add_u32 v9, v22, 23, v17
	v_or3_b32 v8, v8, v9, v7
.LBB2_4613:                             ;   in Loop: Header=BB2_4035 Depth=3
	s_or_b64 exec, exec, s[36:37]
.LBB2_4614:                             ;   in Loop: Header=BB2_4035 Depth=3
	s_or_b64 exec, exec, s[42:43]
.LBB2_4615:                             ;   in Loop: Header=BB2_4035 Depth=3
	s_or_b64 exec, exec, s[40:41]
	v_cmp_gt_i16_sdwa s[42:43], v10, s85 src0_sel:BYTE_0 src1_sel:DWORD
	s_mov_b64 s[40:41], 0
	s_and_saveexec_b64 vcc, s[42:43]
	s_xor_b64 s[42:43], exec, vcc
	s_cbranch_execz .LBB2_4836
; %bb.4616:                             ;   in Loop: Header=BB2_4035 Depth=3
	v_cmp_eq_u16_sdwa s[36:37], v10, s87 src0_sel:BYTE_0 src1_sel:DWORD
	s_mov_b64 s[40:41], -1
	s_and_saveexec_b64 vcc, s[36:37]
; %bb.4617:                             ;   in Loop: Header=BB2_4035 Depth=3
	s_xor_b64 s[40:41], exec, -1
; %bb.4618:                             ;   in Loop: Header=BB2_4035 Depth=3
	s_or_b64 exec, exec, vcc
	s_and_b64 s[40:41], s[40:41], exec
	s_or_saveexec_b64 s[42:43], s[42:43]
	v_bfrev_b32_e32 v7, 1
	s_xor_b64 exec, exec, s[42:43]
	s_cbranch_execnz .LBB2_4837
.LBB2_4619:                             ;   in Loop: Header=BB2_4035 Depth=3
	s_or_b64 exec, exec, s[42:43]
	s_and_saveexec_b64 s[42:43], s[40:41]
	s_cbranch_execz .LBB2_4621
.LBB2_4620:                             ;   in Loop: Header=BB2_4035 Depth=3
	v_and_b32_e32 v7, 7, v10
	v_ffbh_u32_e32 v7, v7
	v_and_b32_e32 v9, 0x7f, v10
	v_min_u32_e32 v7, 32, v7
	v_bfe_u32 v22, v10, 3, 4
	v_subrev_u32_e32 v31, 28, v7
	v_sub_u32_e32 v7, 29, v7
	v_cmp_gt_u32_e32 vcc, 8, v9
	v_cndmask_b32_e32 v7, v22, v7, vcc
	v_cndmask_b32_e32 v22, 0, v31, vcc
	v_lshlrev_b64 v[34:35], v22, v[10:11]
	v_lshlrev_b32_e32 v31, 24, v10
	v_lshlrev_b32_e32 v22, 20, v34
	v_and_b32_e32 v22, 0x700000, v22
	v_and_b32_e32 v31, 0x80000000, v31
	v_lshl_add_u32 v7, v7, 23, v17
	v_or3_b32 v7, v31, v7, v22
	v_cmp_ne_u32_e32 vcc, s85, v9
	v_cndmask_b32_e32 v7, v4, v7, vcc
.LBB2_4621:                             ;   in Loop: Header=BB2_4035 Depth=3
	s_or_b64 exec, exec, s[42:43]
	v_add_f32_e32 v8, v8, v7
	v_and_b32_e32 v34, 0x7f800000, v8
	v_mov_b32_e32 v35, v29
	v_cmp_ne_u64_e32 vcc, s[76:77], v[34:35]
                                        ; implicit-def: $vgpr7
	s_and_saveexec_b64 s[40:41], vcc
	s_xor_b64 s[42:43], exec, s[40:41]
	s_cbranch_execz .LBB2_4635
; %bb.4622:                             ;   in Loop: Header=BB2_4035 Depth=3
	v_and_b32_e32 v34, 0x7fffffff, v8
	v_mov_b32_e32 v35, v29
	v_cmp_gt_u64_e32 vcc, s[78:79], v[34:35]
	v_and_b32_sdwa v22, v8, s87 dst_sel:DWORD dst_unused:UNUSED_PAD src0_sel:BYTE_3 src1_sel:DWORD
                                        ; implicit-def: $vgpr7
	s_and_saveexec_b64 s[40:41], vcc
	s_xor_b64 s[36:37], exec, s[40:41]
	s_cbranch_execz .LBB2_4632
; %bb.4623:                             ;   in Loop: Header=BB2_4035 Depth=3
	v_mov_b32_e32 v7, 0
	v_cmp_ne_u32_e32 vcc, 0, v8
	s_and_saveexec_b64 s[38:39], vcc
	s_cbranch_execz .LBB2_4631
; %bb.4624:                             ;   in Loop: Header=BB2_4035 Depth=3
	v_bfe_u32 v7, v8, 23, 8
	v_and_b32_e32 v9, 0x7fffff, v8
	v_cmp_gt_u32_e64 s[40:41], s96, v7
	v_sub_u32_e32 v8, 0x79, v7
	v_cmp_eq_u32_e32 vcc, 0, v7
	v_cndmask_b32_e64 v8, 0, v8, s[40:41]
	v_or_b32_e32 v34, 0x800000, v9
	v_cndmask_b32_e32 v31, v8, v36, vcc
	v_cndmask_b32_e32 v8, v34, v9, vcc
	v_add_u32_e32 v34, 20, v31
	v_lshlrev_b64 v[34:35], v34, -1
	v_mov_b32_e32 v9, v29
	v_add_u32_e32 v53, 19, v31
	v_bfi_b32 v34, v34, 0, v8
	v_lshlrev_b64 v[53:54], v53, 1
	v_lshrrev_b64 v[8:9], v31, v[8:9]
	v_bfi_b32 v35, v35, 0, 0
	v_cmp_eq_u64_e64 s[40:41], v[34:35], v[53:54]
	v_mov_b32_e32 v47, v9
	v_mov_b32_e32 v46, v8
	s_and_saveexec_b64 s[48:49], s[40:41]
; %bb.4625:                             ;   in Loop: Header=BB2_4035 Depth=3
	v_bfe_u32 v9, v8, 20, 1
	v_add_co_u32_e64 v9, s[40:41], v8, v9
	v_add_co_u32_e64 v46, s[40:41], -1, v9
; %bb.4626:                             ;   in Loop: Header=BB2_4035 Depth=3
	s_or_b64 exec, exec, s[48:49]
	v_add_u32_e32 v7, 0xffffff81, v7
	v_cndmask_b32_e32 v7, v7, v37, vcc
	v_lshrrev_b32_e32 v9, 23, v8
	v_add3_u32 v34, v31, v7, v9
	v_add_u32_e32 v31, 6, v34
	v_and_b32_e32 v7, 0xfffff, v46
	v_add_u32_e32 v8, v7, v8
	v_mov_b32_e32 v9, v29
	v_cmp_ne_u32_e32 vcc, 0, v31
                                        ; implicit-def: $vgpr7
	s_and_saveexec_b64 s[40:41], vcc
	s_xor_b64 s[40:41], exec, s[40:41]
; %bb.4627:                             ;   in Loop: Header=BB2_4035 Depth=3
	v_cmp_lt_u64_e32 vcc, s[88:89], v[8:9]
	v_add_u32_e32 v7, 7, v34
	v_cndmask_b32_e32 v7, v31, v7, vcc
	v_cndmask_b32_e64 v31, 0, 1, vcc
	v_lshrrev_b64 v[8:9], v31, v[8:9]
; %bb.4628:                             ;   in Loop: Header=BB2_4035 Depth=3
	s_andn2_saveexec_b64 s[40:41], s[40:41]
; %bb.4629:                             ;   in Loop: Header=BB2_4035 Depth=3
	v_bfe_u32 v7, v8, 23, 1
; %bb.4630:                             ;   in Loop: Header=BB2_4035 Depth=3
	s_or_b64 exec, exec, s[40:41]
	v_lshrrev_b64 v[8:9], 20, v[8:9]
	v_cmp_gt_i32_e32 vcc, 16, v7
	v_cndmask_b32_e32 v9, 0, v9, vcc
	v_cndmask_b32_e32 v8, 7, v8, vcc
	v_cmp_eq_u32_e32 vcc, 0, v7
	v_min_i32_e32 v7, 15, v7
	v_cmp_eq_u64_e64 s[40:41], 0, v[8:9]
	v_lshlrev_b32_e32 v7, 3, v7
	v_and_b32_e32 v7, 0xf8, v7
	v_and_or_b32 v7, v8, 7, v7
	s_and_b64 s[40:41], vcc, s[40:41]
	v_cndmask_b32_e64 v7, v7, 0, s[40:41]
	v_or_b32_e32 v7, v7, v22
.LBB2_4631:                             ;   in Loop: Header=BB2_4035 Depth=3
	s_or_b64 exec, exec, s[38:39]
                                        ; implicit-def: $vgpr22
.LBB2_4632:                             ;   in Loop: Header=BB2_4035 Depth=3
	s_andn2_saveexec_b64 s[40:41], s[36:37]
; %bb.4633:                             ;   in Loop: Header=BB2_4035 Depth=3
	v_or_b32_e32 v7, 0x7e, v22
; %bb.4634:                             ;   in Loop: Header=BB2_4035 Depth=3
	s_or_b64 exec, exec, s[40:41]
                                        ; implicit-def: $vgpr8
.LBB2_4635:                             ;   in Loop: Header=BB2_4035 Depth=3
	s_andn2_saveexec_b64 s[40:41], s[42:43]
; %bb.4636:                             ;   in Loop: Header=BB2_4035 Depth=3
	v_or_b32_sdwa v7, v8, s85 dst_sel:DWORD dst_unused:UNUSED_PAD src0_sel:BYTE_3 src1_sel:DWORD
; %bb.4637:                             ;   in Loop: Header=BB2_4035 Depth=3
	s_or_b64 exec, exec, s[40:41]
	v_lshrrev_b16_e32 v8, 8, v24
	v_cmp_ne_u16_e32 vcc, 0, v8
	v_mov_b32_e32 v22, 0
	s_and_saveexec_b64 s[40:41], vcc
	s_cbranch_execz .LBB2_4643
; %bb.4638:                             ;   in Loop: Header=BB2_4035 Depth=3
	v_cmp_ne_u16_e32 vcc, s87, v8
	v_bfrev_b32_e32 v22, 1
	s_and_saveexec_b64 s[42:43], vcc
	s_cbranch_execz .LBB2_4642
; %bb.4639:                             ;   in Loop: Header=BB2_4035 Depth=3
	v_and_b32_e32 v9, 0x7f, v8
	v_cmp_ne_u32_e32 vcc, s85, v9
	v_mov_b32_e32 v22, 0x7f800001
	s_and_saveexec_b64 s[36:37], vcc
	s_cbranch_execz .LBB2_4641
; %bb.4640:                             ;   in Loop: Header=BB2_4035 Depth=3
	v_and_b32_e32 v22, 7, v8
	v_lshrrev_b32_e32 v31, 3, v9
	v_cmp_gt_u32_e32 vcc, 8, v9
	v_ffbh_u32_e32 v9, v22
	v_min_u32_e32 v34, 32, v9
	v_subrev_u32_e32 v9, 28, v34
	v_lshlrev_b64 v[8:9], v9, v[8:9]
	v_sub_u32_e32 v9, 29, v34
	v_and_b32_e32 v8, 7, v8
	v_cndmask_b32_e32 v9, v31, v9, vcc
	v_cndmask_b32_e32 v8, v22, v8, vcc
	v_lshlrev_b32_e32 v22, 16, v24
	v_lshlrev_b32_e32 v8, 20, v8
	v_and_b32_e32 v22, 0x80000000, v22
	v_lshl_add_u32 v9, v9, 23, v17
	v_or3_b32 v22, v22, v9, v8
.LBB2_4641:                             ;   in Loop: Header=BB2_4035 Depth=3
	s_or_b64 exec, exec, s[36:37]
.LBB2_4642:                             ;   in Loop: Header=BB2_4035 Depth=3
	s_or_b64 exec, exec, s[42:43]
.LBB2_4643:                             ;   in Loop: Header=BB2_4035 Depth=3
	s_or_b64 exec, exec, s[40:41]
	v_lshrrev_b16_e32 v8, 8, v10
	v_cmp_lt_i16_e32 vcc, s85, v8
	s_mov_b64 s[40:41], 0
	s_and_saveexec_b64 s[42:43], vcc
	s_xor_b64 s[42:43], exec, s[42:43]
	s_cbranch_execz .LBB2_4838
; %bb.4644:                             ;   in Loop: Header=BB2_4035 Depth=3
	v_cmp_eq_u16_e32 vcc, s87, v8
	s_mov_b64 s[40:41], -1
	s_and_saveexec_b64 s[36:37], vcc
; %bb.4645:                             ;   in Loop: Header=BB2_4035 Depth=3
	s_xor_b64 s[40:41], exec, -1
; %bb.4646:                             ;   in Loop: Header=BB2_4035 Depth=3
	s_or_b64 exec, exec, s[36:37]
	s_and_b64 s[40:41], s[40:41], exec
	s_or_saveexec_b64 s[42:43], s[42:43]
	v_bfrev_b32_e32 v9, 1
	s_xor_b64 exec, exec, s[42:43]
	s_cbranch_execnz .LBB2_4839
.LBB2_4647:                             ;   in Loop: Header=BB2_4035 Depth=3
	s_or_b64 exec, exec, s[42:43]
	s_and_saveexec_b64 s[42:43], s[40:41]
	s_cbranch_execz .LBB2_4649
.LBB2_4648:                             ;   in Loop: Header=BB2_4035 Depth=3
	v_and_b32_e32 v24, 7, v8
	v_ffbh_u32_e32 v34, v24
	v_min_u32_e32 v54, 32, v34
	v_mov_b32_e32 v9, v29
	v_subrev_u32_e32 v34, 28, v54
	v_lshlrev_b64 v[34:35], v34, v[8:9]
	v_and_b32_e32 v31, 0x7f, v8
	v_bfe_u32 v53, v8, 3, 4
	v_sub_u32_e32 v9, 29, v54
	v_and_b32_e32 v34, 7, v34
	v_cmp_gt_u32_e32 vcc, 8, v31
	v_cndmask_b32_e32 v9, v53, v9, vcc
	v_cndmask_b32_e32 v24, v24, v34, vcc
	v_lshlrev_b32_e32 v8, 24, v8
	v_lshlrev_b32_e32 v24, 20, v24
	v_and_b32_e32 v8, 0x80000000, v8
	v_lshl_add_u32 v9, v9, 23, v17
	v_or3_b32 v8, v8, v9, v24
	v_cmp_ne_u32_e32 vcc, s85, v31
	v_cndmask_b32_e32 v9, v4, v8, vcc
.LBB2_4649:                             ;   in Loop: Header=BB2_4035 Depth=3
	s_or_b64 exec, exec, s[42:43]
	v_add_f32_e32 v8, v22, v9
	v_and_b32_e32 v34, 0x7f800000, v8
	v_mov_b32_e32 v35, v29
	v_cmp_ne_u64_e32 vcc, s[76:77], v[34:35]
                                        ; implicit-def: $vgpr22
	s_and_saveexec_b64 s[40:41], vcc
	s_xor_b64 s[42:43], exec, s[40:41]
	s_cbranch_execz .LBB2_4663
; %bb.4650:                             ;   in Loop: Header=BB2_4035 Depth=3
	v_and_b32_e32 v34, 0x7fffffff, v8
	v_mov_b32_e32 v35, v29
	v_cmp_gt_u64_e32 vcc, s[78:79], v[34:35]
	v_and_b32_sdwa v24, v8, s87 dst_sel:DWORD dst_unused:UNUSED_PAD src0_sel:BYTE_3 src1_sel:DWORD
                                        ; implicit-def: $vgpr22
	s_and_saveexec_b64 s[40:41], vcc
	s_xor_b64 s[36:37], exec, s[40:41]
	s_cbranch_execz .LBB2_4660
; %bb.4651:                             ;   in Loop: Header=BB2_4035 Depth=3
	v_mov_b32_e32 v22, 0
	v_cmp_ne_u32_e32 vcc, 0, v8
	s_and_saveexec_b64 s[38:39], vcc
	s_cbranch_execz .LBB2_4659
; %bb.4652:                             ;   in Loop: Header=BB2_4035 Depth=3
	v_bfe_u32 v22, v8, 23, 8
	v_and_b32_e32 v9, 0x7fffff, v8
	v_cmp_gt_u32_e64 s[40:41], s96, v22
	v_sub_u32_e32 v8, 0x79, v22
	v_cmp_eq_u32_e32 vcc, 0, v22
	v_cndmask_b32_e64 v8, 0, v8, s[40:41]
	v_or_b32_e32 v34, 0x800000, v9
	v_cndmask_b32_e32 v31, v8, v36, vcc
	v_cndmask_b32_e32 v8, v34, v9, vcc
	v_add_u32_e32 v34, 20, v31
	v_lshlrev_b64 v[34:35], v34, -1
	v_mov_b32_e32 v9, v29
	v_add_u32_e32 v53, 19, v31
	v_bfi_b32 v34, v34, 0, v8
	v_lshlrev_b64 v[53:54], v53, 1
	v_lshrrev_b64 v[8:9], v31, v[8:9]
	v_bfi_b32 v35, v35, 0, 0
	v_cmp_eq_u64_e64 s[40:41], v[34:35], v[53:54]
	v_mov_b32_e32 v47, v9
	v_mov_b32_e32 v46, v8
	s_and_saveexec_b64 s[48:49], s[40:41]
; %bb.4653:                             ;   in Loop: Header=BB2_4035 Depth=3
	v_bfe_u32 v9, v8, 20, 1
	v_add_co_u32_e64 v9, s[40:41], v8, v9
	v_add_co_u32_e64 v46, s[40:41], -1, v9
; %bb.4654:                             ;   in Loop: Header=BB2_4035 Depth=3
	s_or_b64 exec, exec, s[48:49]
	v_add_u32_e32 v9, 0xffffff81, v22
	v_cndmask_b32_e32 v9, v9, v37, vcc
	v_lshrrev_b32_e32 v22, 23, v8
	v_add3_u32 v34, v31, v9, v22
	v_add_u32_e32 v31, 6, v34
	v_and_b32_e32 v9, 0xfffff, v46
	v_add_u32_e32 v8, v9, v8
	v_mov_b32_e32 v9, v29
	v_cmp_ne_u32_e32 vcc, 0, v31
                                        ; implicit-def: $vgpr22
	s_and_saveexec_b64 s[40:41], vcc
	s_xor_b64 s[40:41], exec, s[40:41]
; %bb.4655:                             ;   in Loop: Header=BB2_4035 Depth=3
	v_cmp_lt_u64_e32 vcc, s[88:89], v[8:9]
	v_add_u32_e32 v22, 7, v34
	v_cndmask_b32_e32 v22, v31, v22, vcc
	v_cndmask_b32_e64 v31, 0, 1, vcc
	v_lshrrev_b64 v[8:9], v31, v[8:9]
; %bb.4656:                             ;   in Loop: Header=BB2_4035 Depth=3
	s_andn2_saveexec_b64 s[40:41], s[40:41]
; %bb.4657:                             ;   in Loop: Header=BB2_4035 Depth=3
	v_bfe_u32 v22, v8, 23, 1
; %bb.4658:                             ;   in Loop: Header=BB2_4035 Depth=3
	s_or_b64 exec, exec, s[40:41]
	v_lshrrev_b64 v[8:9], 20, v[8:9]
	v_cmp_gt_i32_e32 vcc, 16, v22
	v_cndmask_b32_e32 v9, 0, v9, vcc
	v_cndmask_b32_e32 v8, 7, v8, vcc
	v_cmp_eq_u64_e64 s[40:41], 0, v[8:9]
	v_min_i32_e32 v9, 15, v22
	v_lshlrev_b32_e32 v9, 3, v9
	v_cmp_eq_u32_e32 vcc, 0, v22
	v_and_b32_e32 v9, 0xf8, v9
	v_and_or_b32 v8, v8, 7, v9
	s_and_b64 s[40:41], vcc, s[40:41]
	v_cndmask_b32_e64 v8, v8, 0, s[40:41]
	v_or_b32_e32 v22, v8, v24
.LBB2_4659:                             ;   in Loop: Header=BB2_4035 Depth=3
	s_or_b64 exec, exec, s[38:39]
                                        ; implicit-def: $vgpr24
.LBB2_4660:                             ;   in Loop: Header=BB2_4035 Depth=3
	s_andn2_saveexec_b64 s[40:41], s[36:37]
; %bb.4661:                             ;   in Loop: Header=BB2_4035 Depth=3
	v_or_b32_e32 v22, 0x7e, v24
; %bb.4662:                             ;   in Loop: Header=BB2_4035 Depth=3
	s_or_b64 exec, exec, s[40:41]
                                        ; implicit-def: $vgpr8
.LBB2_4663:                             ;   in Loop: Header=BB2_4035 Depth=3
	s_andn2_saveexec_b64 s[40:41], s[42:43]
; %bb.4664:                             ;   in Loop: Header=BB2_4035 Depth=3
	v_or_b32_sdwa v22, v8, s85 dst_sel:DWORD dst_unused:UNUSED_PAD src0_sel:BYTE_3 src1_sel:DWORD
; %bb.4665:                             ;   in Loop: Header=BB2_4035 Depth=3
	s_or_b64 exec, exec, s[40:41]
	v_lshrrev_b32_e32 v8, 16, v28
	v_cmp_ne_u16_sdwa s[42:43], v8, v29 src0_sel:BYTE_0 src1_sel:DWORD
	v_mov_b32_e32 v9, 0
	s_and_saveexec_b64 s[40:41], s[42:43]
	s_cbranch_execz .LBB2_4671
; %bb.4666:                             ;   in Loop: Header=BB2_4035 Depth=3
	v_cmp_ne_u16_sdwa vcc, v8, s87 src0_sel:BYTE_0 src1_sel:DWORD
	v_bfrev_b32_e32 v9, 1
	s_and_saveexec_b64 s[42:43], vcc
	s_cbranch_execz .LBB2_4670
; %bb.4667:                             ;   in Loop: Header=BB2_4035 Depth=3
	v_bfe_u32 v24, v28, 16, 7
	v_cmp_ne_u32_e32 vcc, s85, v24
	v_mov_b32_e32 v9, 0x7f800001
	s_and_saveexec_b64 s[36:37], vcc
	s_cbranch_execz .LBB2_4669
; %bb.4668:                             ;   in Loop: Header=BB2_4035 Depth=3
	v_and_b32_e32 v9, 7, v8
	v_lshrrev_b32_e32 v31, 3, v24
	v_cmp_gt_u32_e32 vcc, 8, v24
	v_ffbh_u32_e32 v24, v9
	v_min_u32_e32 v24, 32, v24
	v_subrev_u32_e32 v34, 28, v24
	v_lshlrev_b64 v[34:35], v34, v[8:9]
	v_sub_u32_e32 v24, 29, v24
	v_and_b32_e32 v34, 7, v34
	v_cndmask_b32_e32 v24, v31, v24, vcc
	v_cndmask_b32_e32 v9, v9, v34, vcc
	v_lshlrev_b32_e32 v8, 24, v8
	v_lshlrev_b32_e32 v9, 20, v9
	v_and_b32_e32 v8, 0x80000000, v8
	v_lshl_add_u32 v24, v24, 23, v17
	v_or3_b32 v9, v8, v24, v9
.LBB2_4669:                             ;   in Loop: Header=BB2_4035 Depth=3
	s_or_b64 exec, exec, s[36:37]
.LBB2_4670:                             ;   in Loop: Header=BB2_4035 Depth=3
	s_or_b64 exec, exec, s[42:43]
.LBB2_4671:                             ;   in Loop: Header=BB2_4035 Depth=3
	s_or_b64 exec, exec, s[40:41]
	v_lshrrev_b32_e32 v8, 16, v10
	v_cmp_gt_i16_sdwa s[42:43], v8, s85 src0_sel:BYTE_0 src1_sel:DWORD
	s_mov_b64 s[40:41], 0
	s_and_saveexec_b64 vcc, s[42:43]
	s_xor_b64 s[42:43], exec, vcc
	s_cbranch_execz .LBB2_4840
; %bb.4672:                             ;   in Loop: Header=BB2_4035 Depth=3
	v_cmp_eq_u16_sdwa s[36:37], v8, s87 src0_sel:BYTE_0 src1_sel:DWORD
	s_mov_b64 s[40:41], -1
	s_and_saveexec_b64 vcc, s[36:37]
; %bb.4673:                             ;   in Loop: Header=BB2_4035 Depth=3
	s_xor_b64 s[40:41], exec, -1
; %bb.4674:                             ;   in Loop: Header=BB2_4035 Depth=3
	s_or_b64 exec, exec, vcc
	s_and_b64 s[40:41], s[40:41], exec
	s_or_saveexec_b64 s[42:43], s[42:43]
	v_bfrev_b32_e32 v24, 1
	s_xor_b64 exec, exec, s[42:43]
	s_cbranch_execnz .LBB2_4841
.LBB2_4675:                             ;   in Loop: Header=BB2_4035 Depth=3
	s_or_b64 exec, exec, s[42:43]
	s_and_saveexec_b64 s[42:43], s[40:41]
	s_cbranch_execz .LBB2_4677
.LBB2_4676:                             ;   in Loop: Header=BB2_4035 Depth=3
	v_and_b32_e32 v24, 7, v8
	v_ffbh_u32_e32 v34, v24
	v_min_u32_e32 v54, 32, v34
	v_subrev_u32_e32 v34, 28, v54
	v_lshlrev_b64 v[34:35], v34, v[8:9]
	v_and_b32_e32 v31, 0x7f, v8
	v_bfe_u32 v53, v8, 3, 4
	v_sub_u32_e32 v35, 29, v54
	v_and_b32_e32 v34, 7, v34
	v_cmp_gt_u32_e32 vcc, 8, v31
	v_cndmask_b32_e32 v35, v53, v35, vcc
	v_cndmask_b32_e32 v24, v24, v34, vcc
	v_lshlrev_b32_e32 v8, 24, v8
	v_lshlrev_b32_e32 v24, 20, v24
	v_and_b32_e32 v8, 0x80000000, v8
	v_lshl_add_u32 v34, v35, 23, v17
	v_or3_b32 v8, v8, v34, v24
	v_cmp_ne_u32_e32 vcc, s85, v31
	v_cndmask_b32_e32 v24, v4, v8, vcc
.LBB2_4677:                             ;   in Loop: Header=BB2_4035 Depth=3
	s_or_b64 exec, exec, s[42:43]
	v_add_f32_e32 v8, v9, v24
	v_and_b32_e32 v34, 0x7f800000, v8
	v_mov_b32_e32 v35, v29
	v_cmp_ne_u64_e32 vcc, s[76:77], v[34:35]
                                        ; implicit-def: $vgpr24
	s_and_saveexec_b64 s[40:41], vcc
	s_xor_b64 s[42:43], exec, s[40:41]
	s_cbranch_execz .LBB2_4691
; %bb.4678:                             ;   in Loop: Header=BB2_4035 Depth=3
	v_and_b32_e32 v34, 0x7fffffff, v8
	v_mov_b32_e32 v35, v29
	v_cmp_gt_u64_e32 vcc, s[78:79], v[34:35]
	v_and_b32_sdwa v31, v8, s87 dst_sel:DWORD dst_unused:UNUSED_PAD src0_sel:BYTE_3 src1_sel:DWORD
                                        ; implicit-def: $vgpr24
	s_and_saveexec_b64 s[40:41], vcc
	s_xor_b64 s[36:37], exec, s[40:41]
	s_cbranch_execz .LBB2_4688
; %bb.4679:                             ;   in Loop: Header=BB2_4035 Depth=3
	v_mov_b32_e32 v24, 0
	v_cmp_ne_u32_e32 vcc, 0, v8
	s_and_saveexec_b64 s[38:39], vcc
	s_cbranch_execz .LBB2_4687
; %bb.4680:                             ;   in Loop: Header=BB2_4035 Depth=3
	v_bfe_u32 v24, v8, 23, 8
	v_and_b32_e32 v9, 0x7fffff, v8
	v_cmp_gt_u32_e64 s[40:41], s96, v24
	v_sub_u32_e32 v8, 0x79, v24
	v_cmp_eq_u32_e32 vcc, 0, v24
	v_cndmask_b32_e64 v8, 0, v8, s[40:41]
	v_or_b32_e32 v35, 0x800000, v9
	v_cndmask_b32_e32 v34, v8, v36, vcc
	v_cndmask_b32_e32 v8, v35, v9, vcc
	v_add_u32_e32 v35, 20, v34
	v_lshlrev_b64 v[53:54], v35, -1
	v_mov_b32_e32 v9, v29
	v_add_u32_e32 v35, 19, v34
	v_bfi_b32 v53, v53, 0, v8
	v_lshlrev_b64 v[46:47], v35, 1
	v_lshrrev_b64 v[8:9], v34, v[8:9]
	v_bfi_b32 v54, v54, 0, 0
	v_cmp_eq_u64_e64 s[40:41], v[53:54], v[46:47]
	v_mov_b32_e32 v47, v9
	v_mov_b32_e32 v46, v8
	s_and_saveexec_b64 s[48:49], s[40:41]
; %bb.4681:                             ;   in Loop: Header=BB2_4035 Depth=3
	v_bfe_u32 v9, v8, 20, 1
	v_add_co_u32_e64 v9, s[40:41], v8, v9
	v_add_co_u32_e64 v46, s[40:41], -1, v9
; %bb.4682:                             ;   in Loop: Header=BB2_4035 Depth=3
	s_or_b64 exec, exec, s[48:49]
	v_add_u32_e32 v9, 0xffffff81, v24
	v_cndmask_b32_e32 v9, v9, v37, vcc
	v_lshrrev_b32_e32 v24, 23, v8
	v_add3_u32 v35, v34, v9, v24
	v_add_u32_e32 v34, 6, v35
	v_and_b32_e32 v9, 0xfffff, v46
	v_add_u32_e32 v8, v9, v8
	v_mov_b32_e32 v9, v29
	v_cmp_ne_u32_e32 vcc, 0, v34
                                        ; implicit-def: $vgpr24
	s_and_saveexec_b64 s[40:41], vcc
	s_xor_b64 s[40:41], exec, s[40:41]
; %bb.4683:                             ;   in Loop: Header=BB2_4035 Depth=3
	v_cmp_lt_u64_e32 vcc, s[88:89], v[8:9]
	v_add_u32_e32 v24, 7, v35
	v_cndmask_b32_e32 v24, v34, v24, vcc
	v_cndmask_b32_e64 v34, 0, 1, vcc
	v_lshrrev_b64 v[8:9], v34, v[8:9]
; %bb.4684:                             ;   in Loop: Header=BB2_4035 Depth=3
	s_andn2_saveexec_b64 s[40:41], s[40:41]
; %bb.4685:                             ;   in Loop: Header=BB2_4035 Depth=3
	v_bfe_u32 v24, v8, 23, 1
; %bb.4686:                             ;   in Loop: Header=BB2_4035 Depth=3
	s_or_b64 exec, exec, s[40:41]
	v_lshrrev_b64 v[8:9], 20, v[8:9]
	v_cmp_gt_i32_e32 vcc, 16, v24
	v_cndmask_b32_e32 v9, 0, v9, vcc
	v_cndmask_b32_e32 v8, 7, v8, vcc
	v_cmp_eq_u64_e64 s[40:41], 0, v[8:9]
	v_min_i32_e32 v9, 15, v24
	v_lshlrev_b32_e32 v9, 3, v9
	v_cmp_eq_u32_e32 vcc, 0, v24
	v_and_b32_e32 v9, 0xf8, v9
	v_and_or_b32 v8, v8, 7, v9
	s_and_b64 s[40:41], vcc, s[40:41]
	v_cndmask_b32_e64 v8, v8, 0, s[40:41]
	v_or_b32_e32 v24, v8, v31
.LBB2_4687:                             ;   in Loop: Header=BB2_4035 Depth=3
	s_or_b64 exec, exec, s[38:39]
                                        ; implicit-def: $vgpr31
.LBB2_4688:                             ;   in Loop: Header=BB2_4035 Depth=3
	s_andn2_saveexec_b64 s[40:41], s[36:37]
; %bb.4689:                             ;   in Loop: Header=BB2_4035 Depth=3
	v_or_b32_e32 v24, 0x7e, v31
; %bb.4690:                             ;   in Loop: Header=BB2_4035 Depth=3
	s_or_b64 exec, exec, s[40:41]
                                        ; implicit-def: $vgpr8
.LBB2_4691:                             ;   in Loop: Header=BB2_4035 Depth=3
	s_andn2_saveexec_b64 s[40:41], s[42:43]
; %bb.4692:                             ;   in Loop: Header=BB2_4035 Depth=3
	v_or_b32_sdwa v24, v8, s85 dst_sel:DWORD dst_unused:UNUSED_PAD src0_sel:BYTE_3 src1_sel:DWORD
; %bb.4693:                             ;   in Loop: Header=BB2_4035 Depth=3
	s_or_b64 exec, exec, s[40:41]
	v_cmp_lt_u32_e32 vcc, s57, v28
	v_mov_b32_e32 v9, 0
	s_and_saveexec_b64 s[40:41], vcc
	s_cbranch_execz .LBB2_4699
; %bb.4694:                             ;   in Loop: Header=BB2_4035 Depth=3
	v_lshrrev_b32_e32 v8, 24, v28
	v_cmp_ne_u32_sdwa vcc, v28, s87 src0_sel:BYTE_3 src1_sel:DWORD
	v_bfrev_b32_e32 v9, 1
	s_and_saveexec_b64 s[42:43], vcc
	s_cbranch_execz .LBB2_4698
; %bb.4695:                             ;   in Loop: Header=BB2_4035 Depth=3
	v_bfe_u32 v31, v28, 24, 7
	v_cmp_ne_u32_e32 vcc, s85, v31
	v_mov_b32_e32 v9, 0x7f800001
	s_and_saveexec_b64 s[36:37], vcc
	s_cbranch_execz .LBB2_4697
; %bb.4696:                             ;   in Loop: Header=BB2_4035 Depth=3
	v_and_b32_e32 v34, 7, v8
	v_ffbh_u32_e32 v9, v34
	v_lshrrev_b32_e32 v35, 3, v31
	v_cmp_gt_u32_e32 vcc, 8, v31
	v_min_u32_e32 v31, 32, v9
	v_subrev_u32_e32 v9, 28, v31
	v_lshlrev_b64 v[8:9], v9, v[8:9]
	v_sub_u32_e32 v9, 29, v31
	v_and_b32_e32 v8, 7, v8
	v_mov_b32_e32 v31, 24
	v_cndmask_b32_e32 v9, v35, v9, vcc
	v_cndmask_b32_e32 v8, v34, v8, vcc
	v_lshlrev_b32_sdwa v28, v31, v28 dst_sel:DWORD dst_unused:UNUSED_PAD src0_sel:DWORD src1_sel:BYTE_3
	v_lshlrev_b32_e32 v8, 20, v8
	v_and_b32_e32 v28, 0x80000000, v28
	v_lshl_add_u32 v9, v9, 23, v17
	v_or3_b32 v9, v28, v9, v8
.LBB2_4697:                             ;   in Loop: Header=BB2_4035 Depth=3
	s_or_b64 exec, exec, s[36:37]
.LBB2_4698:                             ;   in Loop: Header=BB2_4035 Depth=3
	s_or_b64 exec, exec, s[42:43]
.LBB2_4699:                             ;   in Loop: Header=BB2_4035 Depth=3
	s_or_b64 exec, exec, s[40:41]
	v_bfe_u32 v28, v10, 24, 3
	v_ffbh_u32_e32 v34, v28
	v_min_u32_e32 v54, 32, v34
	v_lshrrev_b32_e32 v8, 24, v10
	v_subrev_u32_e32 v34, 28, v54
	v_lshlrev_b64 v[34:35], v34, v[8:9]
	v_bfe_u32 v31, v10, 24, 7
	v_bfe_u32 v53, v8, 3, 4
	v_sub_u32_e32 v35, 29, v54
	v_and_b32_e32 v34, 7, v34
	v_cmp_gt_u32_e32 vcc, 8, v31
	v_cndmask_b32_e32 v35, v53, v35, vcc
	v_cndmask_b32_e32 v28, v28, v34, vcc
	v_lshlrev_b32_e32 v28, 20, v28
	v_and_b32_e32 v34, 0x80000000, v10
	v_lshl_add_u32 v35, v35, 23, v17
	v_or3_b32 v28, v34, v35, v28
	v_cmp_ne_u32_e32 vcc, s85, v31
	v_cndmask_b32_e32 v28, v4, v28, vcc
	v_cmp_ne_u32_e32 vcc, s87, v8
	v_bfrev_b32_e32 v8, 1
	v_cndmask_b32_e32 v8, v8, v28, vcc
	v_cmp_lt_u32_e32 vcc, s57, v10
	v_cndmask_b32_e32 v8, 0, v8, vcc
	v_add_f32_e32 v8, v8, v9
	v_and_b32_e32 v28, 0x7f800000, v8
	v_cmp_ne_u64_e32 vcc, s[76:77], v[28:29]
                                        ; implicit-def: $vgpr31
	s_and_saveexec_b64 s[40:41], vcc
	s_xor_b64 s[42:43], exec, s[40:41]
	s_cbranch_execz .LBB2_4713
; %bb.4700:                             ;   in Loop: Header=BB2_4035 Depth=3
	v_and_b32_e32 v28, 0x7fffffff, v8
	v_cmp_gt_u64_e32 vcc, s[78:79], v[28:29]
	v_and_b32_sdwa v34, v8, s87 dst_sel:DWORD dst_unused:UNUSED_PAD src0_sel:BYTE_3 src1_sel:DWORD
                                        ; implicit-def: $vgpr31
	s_and_saveexec_b64 s[40:41], vcc
	s_xor_b64 s[36:37], exec, s[40:41]
	s_cbranch_execz .LBB2_4710
; %bb.4701:                             ;   in Loop: Header=BB2_4035 Depth=3
	v_mov_b32_e32 v31, 0
	v_cmp_ne_u32_e32 vcc, 0, v8
	s_and_saveexec_b64 s[38:39], vcc
	s_cbranch_execz .LBB2_4709
; %bb.4702:                             ;   in Loop: Header=BB2_4035 Depth=3
	v_bfe_u32 v31, v8, 23, 8
	v_and_b32_e32 v9, 0x7fffff, v8
	v_cmp_gt_u32_e64 s[40:41], s96, v31
	v_sub_u32_e32 v8, 0x79, v31
	v_cmp_eq_u32_e32 vcc, 0, v31
	v_cndmask_b32_e64 v8, 0, v8, s[40:41]
	v_cndmask_b32_e32 v35, v8, v36, vcc
	v_or_b32_e32 v28, 0x800000, v9
	v_add_u32_e32 v8, 20, v35
	v_cndmask_b32_e32 v28, v28, v9, vcc
	v_lshlrev_b64 v[8:9], v8, -1
	v_add_u32_e32 v53, 19, v35
	v_lshlrev_b64 v[53:54], v53, 1
	v_bfi_b32 v9, v9, 0, 0
	v_bfi_b32 v8, v8, 0, v28
	v_cmp_eq_u64_e64 s[40:41], v[8:9], v[53:54]
	v_lshrrev_b64 v[8:9], v35, v[28:29]
	v_mov_b32_e32 v47, v9
	v_mov_b32_e32 v46, v8
	s_and_saveexec_b64 s[48:49], s[40:41]
; %bb.4703:                             ;   in Loop: Header=BB2_4035 Depth=3
	v_bfe_u32 v9, v8, 20, 1
	v_add_co_u32_e64 v9, s[40:41], v8, v9
	v_add_co_u32_e64 v46, s[40:41], -1, v9
; %bb.4704:                             ;   in Loop: Header=BB2_4035 Depth=3
	s_or_b64 exec, exec, s[48:49]
	v_add_u32_e32 v9, 0xffffff81, v31
	v_cndmask_b32_e32 v9, v9, v37, vcc
	v_lshrrev_b32_e32 v28, 23, v8
	v_add3_u32 v55, v35, v9, v28
	v_add_u32_e32 v35, 6, v55
	v_and_b32_e32 v9, 0xfffff, v46
	v_add_u32_e32 v28, v9, v8
	v_cmp_ne_u32_e32 vcc, 0, v35
                                        ; implicit-def: $vgpr8_vgpr9
                                        ; implicit-def: $vgpr31
	s_and_saveexec_b64 s[40:41], vcc
	s_xor_b64 s[40:41], exec, s[40:41]
; %bb.4705:                             ;   in Loop: Header=BB2_4035 Depth=3
	v_cmp_lt_u64_e32 vcc, s[88:89], v[28:29]
	v_add_u32_e32 v8, 7, v55
	v_cndmask_b32_e32 v31, v35, v8, vcc
	v_cndmask_b32_e64 v8, 0, 1, vcc
	v_lshrrev_b64 v[8:9], v8, v[28:29]
; %bb.4706:                             ;   in Loop: Header=BB2_4035 Depth=3
	s_andn2_saveexec_b64 s[40:41], s[40:41]
; %bb.4707:                             ;   in Loop: Header=BB2_4035 Depth=3
	v_mov_b32_e32 v8, v28
	v_bfe_u32 v31, v28, 23, 1
	v_mov_b32_e32 v9, v29
; %bb.4708:                             ;   in Loop: Header=BB2_4035 Depth=3
	s_or_b64 exec, exec, s[40:41]
	v_lshrrev_b64 v[8:9], 20, v[8:9]
	v_cmp_gt_i32_e32 vcc, 16, v31
	v_cndmask_b32_e32 v9, 0, v9, vcc
	v_cndmask_b32_e32 v8, 7, v8, vcc
	v_cmp_eq_u64_e64 s[40:41], 0, v[8:9]
	v_min_i32_e32 v9, 15, v31
	v_lshlrev_b32_e32 v9, 3, v9
	v_cmp_eq_u32_e32 vcc, 0, v31
	v_and_b32_e32 v9, 0xf8, v9
	v_and_or_b32 v8, v8, 7, v9
	s_and_b64 s[40:41], vcc, s[40:41]
	v_cndmask_b32_e64 v8, v8, 0, s[40:41]
	v_or_b32_e32 v31, v8, v34
.LBB2_4709:                             ;   in Loop: Header=BB2_4035 Depth=3
	s_or_b64 exec, exec, s[38:39]
                                        ; implicit-def: $vgpr34
.LBB2_4710:                             ;   in Loop: Header=BB2_4035 Depth=3
	s_andn2_saveexec_b64 s[40:41], s[36:37]
; %bb.4711:                             ;   in Loop: Header=BB2_4035 Depth=3
	v_or_b32_e32 v31, 0x7e, v34
; %bb.4712:                             ;   in Loop: Header=BB2_4035 Depth=3
	s_or_b64 exec, exec, s[40:41]
                                        ; implicit-def: $vgpr8
.LBB2_4713:                             ;   in Loop: Header=BB2_4035 Depth=3
	s_andn2_saveexec_b64 s[40:41], s[42:43]
; %bb.4714:                             ;   in Loop: Header=BB2_4035 Depth=3
	v_or_b32_sdwa v31, v8, s85 dst_sel:DWORD dst_unused:UNUSED_PAD src0_sel:BYTE_3 src1_sel:DWORD
; %bb.4715:                             ;   in Loop: Header=BB2_4035 Depth=3
	s_or_b64 exec, exec, s[40:41]
	v_lshlrev_b32_e32 v3, 24, v3
	v_lshlrev_b32_e32 v8, 16, v5
	v_lshl_or_b32 v5, v16, 8, v18
	v_or3_b32 v28, v8, v3, v5
	v_cmp_ne_u32_e32 vcc, 0, v18
	v_mov_b32_e32 v3, 0
	s_and_saveexec_b64 s[40:41], vcc
	s_cbranch_execz .LBB2_4721
; %bb.4716:                             ;   in Loop: Header=BB2_4035 Depth=3
	v_cmp_ne_u32_e32 vcc, s87, v18
	v_bfrev_b32_e32 v3, 1
	s_and_saveexec_b64 s[42:43], vcc
	s_cbranch_execz .LBB2_4720
; %bb.4717:                             ;   in Loop: Header=BB2_4035 Depth=3
	v_and_b32_e32 v8, 0x7f, v18
	v_cmp_ne_u32_e32 vcc, s85, v8
	v_mov_b32_e32 v3, 0x7f800001
	s_and_saveexec_b64 s[36:37], vcc
	s_cbranch_execz .LBB2_4719
; %bb.4718:                             ;   in Loop: Header=BB2_4035 Depth=3
	v_and_b32_e32 v3, 7, v18
	v_ffbh_u32_e32 v3, v3
	v_min_u32_e32 v3, 32, v3
	v_lshrrev_b32_e32 v9, 3, v8
	v_cmp_gt_u32_e32 vcc, 8, v8
	v_subrev_u32_e32 v8, 28, v3
	v_sub_u32_e32 v3, 29, v3
	v_cndmask_b32_e32 v8, 0, v8, vcc
	v_cndmask_b32_e32 v3, v9, v3, vcc
	v_lshlrev_b64 v[8:9], v8, v[28:29]
	v_lshlrev_b32_e32 v9, 24, v28
	v_lshlrev_b32_e32 v8, 20, v8
	v_and_b32_e32 v8, 0x700000, v8
	v_and_b32_e32 v9, 0x80000000, v9
	v_lshl_add_u32 v3, v3, 23, v17
	v_or3_b32 v3, v9, v3, v8
.LBB2_4719:                             ;   in Loop: Header=BB2_4035 Depth=3
	s_or_b64 exec, exec, s[36:37]
.LBB2_4720:                             ;   in Loop: Header=BB2_4035 Depth=3
	s_or_b64 exec, exec, s[42:43]
.LBB2_4721:                             ;   in Loop: Header=BB2_4035 Depth=3
	s_or_b64 exec, exec, s[40:41]
	v_cmp_gt_i16_sdwa s[42:43], v11, s85 src0_sel:BYTE_0 src1_sel:DWORD
	s_mov_b64 s[40:41], 0
	s_and_saveexec_b64 vcc, s[42:43]
	s_xor_b64 s[42:43], exec, vcc
	s_cbranch_execz .LBB2_4725
; %bb.4722:                             ;   in Loop: Header=BB2_4035 Depth=3
	v_cmp_eq_u16_sdwa s[36:37], v11, s87 src0_sel:BYTE_0 src1_sel:DWORD
	s_mov_b64 s[40:41], -1
	s_and_saveexec_b64 vcc, s[36:37]
; %bb.4723:                             ;   in Loop: Header=BB2_4035 Depth=3
	s_xor_b64 s[40:41], exec, -1
; %bb.4724:                             ;   in Loop: Header=BB2_4035 Depth=3
	s_or_b64 exec, exec, vcc
	s_and_b64 s[40:41], s[40:41], exec
.LBB2_4725:                             ;   in Loop: Header=BB2_4035 Depth=3
	s_or_saveexec_b64 s[42:43], s[42:43]
	v_bfrev_b32_e32 v16, 1
	s_xor_b64 exec, exec, s[42:43]
; %bb.4726:                             ;   in Loop: Header=BB2_4035 Depth=3
	v_cmp_ne_u16_sdwa vcc, v11, v29 src0_sel:BYTE_0 src1_sel:DWORD
	s_andn2_b64 s[40:41], s[40:41], exec
	s_and_b64 vcc, vcc, exec
	v_mov_b32_e32 v16, 0
	s_or_b64 s[40:41], s[40:41], vcc
; %bb.4727:                             ;   in Loop: Header=BB2_4035 Depth=3
	s_or_b64 exec, exec, s[42:43]
	v_mov_b32_e32 v8, v11
	v_mov_b32_e32 v9, v29
	s_and_saveexec_b64 s[42:43], s[40:41]
	s_cbranch_execz .LBB2_4729
; %bb.4728:                             ;   in Loop: Header=BB2_4035 Depth=3
	v_and_b32_e32 v16, 7, v11
	v_ffbh_u32_e32 v16, v16
	v_and_b32_e32 v18, 0x7f, v11
	v_min_u32_e32 v16, 32, v16
	v_bfe_u32 v34, v11, 3, 4
	v_subrev_u32_e32 v35, 28, v16
	v_sub_u32_e32 v16, 29, v16
	v_cmp_gt_u32_e32 vcc, 8, v18
	v_cndmask_b32_e32 v16, v34, v16, vcc
	v_cndmask_b32_e32 v34, 0, v35, vcc
	v_lshlrev_b64 v[34:35], v34, v[8:9]
	v_lshl_add_u32 v16, v16, 23, v17
	v_lshlrev_b32_e32 v9, 20, v34
	v_lshlrev_b32_e32 v34, 24, v8
	v_and_b32_e32 v9, 0x700000, v9
	v_and_b32_e32 v34, 0x80000000, v34
	v_or3_b32 v9, v34, v16, v9
	v_cmp_ne_u32_e32 vcc, s85, v18
	v_cndmask_b32_e32 v16, v4, v9, vcc
.LBB2_4729:                             ;   in Loop: Header=BB2_4035 Depth=3
	s_or_b64 exec, exec, s[42:43]
	v_add_f32_e32 v16, v3, v16
	v_and_b32_e32 v34, 0x7f800000, v16
	v_mov_b32_e32 v35, v29
	v_cmp_ne_u64_e32 vcc, s[76:77], v[34:35]
                                        ; implicit-def: $vgpr3
	s_and_saveexec_b64 s[40:41], vcc
	s_xor_b64 s[42:43], exec, s[40:41]
	s_cbranch_execz .LBB2_4743
; %bb.4730:                             ;   in Loop: Header=BB2_4035 Depth=3
	v_and_b32_e32 v34, 0x7fffffff, v16
	v_mov_b32_e32 v35, v29
	v_cmp_gt_u64_e32 vcc, s[78:79], v[34:35]
	v_and_b32_sdwa v9, v16, s87 dst_sel:DWORD dst_unused:UNUSED_PAD src0_sel:BYTE_3 src1_sel:DWORD
                                        ; implicit-def: $vgpr3
	s_and_saveexec_b64 s[40:41], vcc
	s_xor_b64 s[36:37], exec, s[40:41]
	s_cbranch_execz .LBB2_4740
; %bb.4731:                             ;   in Loop: Header=BB2_4035 Depth=3
	v_mov_b32_e32 v3, 0
	v_cmp_ne_u32_e32 vcc, 0, v16
	s_and_saveexec_b64 s[38:39], vcc
	s_cbranch_execz .LBB2_4739
; %bb.4732:                             ;   in Loop: Header=BB2_4035 Depth=3
	v_bfe_u32 v3, v16, 23, 8
	v_and_b32_e32 v18, 0x7fffff, v16
	v_cmp_gt_u32_e64 s[40:41], s96, v3
	v_sub_u32_e32 v16, 0x79, v3
	v_cmp_eq_u32_e32 vcc, 0, v3
	v_cndmask_b32_e64 v16, 0, v16, s[40:41]
	v_or_b32_e32 v34, 0x800000, v18
	v_cndmask_b32_e32 v16, v16, v36, vcc
	v_cndmask_b32_e32 v34, v34, v18, vcc
	v_add_u32_e32 v18, 20, v16
	v_lshlrev_b64 v[53:54], v18, -1
	v_add_u32_e32 v18, 19, v16
	v_lshlrev_b64 v[46:47], v18, 1
	v_mov_b32_e32 v35, v29
	v_bfi_b32 v54, v54, 0, 0
	v_bfi_b32 v53, v53, 0, v34
	v_cmp_eq_u64_e64 s[40:41], v[53:54], v[46:47]
	v_lshrrev_b64 v[46:47], v16, v[34:35]
	v_mov_b32_e32 v56, v47
	v_mov_b32_e32 v55, v46
	s_and_saveexec_b64 s[48:49], s[40:41]
; %bb.4733:                             ;   in Loop: Header=BB2_4035 Depth=3
	v_bfe_u32 v18, v46, 20, 1
	v_add_co_u32_e64 v18, s[40:41], v46, v18
	v_add_co_u32_e64 v55, s[40:41], -1, v18
; %bb.4734:                             ;   in Loop: Header=BB2_4035 Depth=3
	s_or_b64 exec, exec, s[48:49]
	v_add_u32_e32 v3, 0xffffff81, v3
	v_cndmask_b32_e32 v3, v3, v37, vcc
	v_lshrrev_b32_e32 v18, 23, v46
	v_add3_u32 v18, v16, v3, v18
	v_add_u32_e32 v16, 6, v18
	v_and_b32_e32 v3, 0xfffff, v55
	v_add_u32_e32 v46, v3, v46
	v_mov_b32_e32 v47, v29
	v_cmp_ne_u32_e32 vcc, 0, v16
                                        ; implicit-def: $vgpr3
	s_and_saveexec_b64 s[40:41], vcc
	s_xor_b64 s[40:41], exec, s[40:41]
; %bb.4735:                             ;   in Loop: Header=BB2_4035 Depth=3
	v_cmp_lt_u64_e32 vcc, s[88:89], v[46:47]
	v_add_u32_e32 v3, 7, v18
	v_cndmask_b32_e32 v3, v16, v3, vcc
	v_cndmask_b32_e64 v16, 0, 1, vcc
	v_lshrrev_b64 v[46:47], v16, v[46:47]
; %bb.4736:                             ;   in Loop: Header=BB2_4035 Depth=3
	s_andn2_saveexec_b64 s[40:41], s[40:41]
; %bb.4737:                             ;   in Loop: Header=BB2_4035 Depth=3
	v_bfe_u32 v3, v46, 23, 1
; %bb.4738:                             ;   in Loop: Header=BB2_4035 Depth=3
	s_or_b64 exec, exec, s[40:41]
	v_lshrrev_b64 v[34:35], 20, v[46:47]
	v_cmp_gt_i32_e32 vcc, 16, v3
	v_cndmask_b32_e32 v35, 0, v35, vcc
	v_cndmask_b32_e32 v34, 7, v34, vcc
	v_cmp_eq_u32_e32 vcc, 0, v3
	v_min_i32_e32 v3, 15, v3
	v_cmp_eq_u64_e64 s[40:41], 0, v[34:35]
	v_lshlrev_b32_e32 v3, 3, v3
	v_and_b32_e32 v3, 0xf8, v3
	v_and_or_b32 v3, v34, 7, v3
	s_and_b64 s[40:41], vcc, s[40:41]
	v_cndmask_b32_e64 v3, v3, 0, s[40:41]
	v_or_b32_e32 v3, v3, v9
.LBB2_4739:                             ;   in Loop: Header=BB2_4035 Depth=3
	s_or_b64 exec, exec, s[38:39]
                                        ; implicit-def: $vgpr9
.LBB2_4740:                             ;   in Loop: Header=BB2_4035 Depth=3
	s_andn2_saveexec_b64 s[40:41], s[36:37]
; %bb.4741:                             ;   in Loop: Header=BB2_4035 Depth=3
	v_or_b32_e32 v3, 0x7e, v9
; %bb.4742:                             ;   in Loop: Header=BB2_4035 Depth=3
	s_or_b64 exec, exec, s[40:41]
                                        ; implicit-def: $vgpr16
.LBB2_4743:                             ;   in Loop: Header=BB2_4035 Depth=3
	s_andn2_saveexec_b64 s[40:41], s[42:43]
; %bb.4744:                             ;   in Loop: Header=BB2_4035 Depth=3
	v_or_b32_sdwa v3, v16, s85 dst_sel:DWORD dst_unused:UNUSED_PAD src0_sel:BYTE_3 src1_sel:DWORD
; %bb.4745:                             ;   in Loop: Header=BB2_4035 Depth=3
	s_or_b64 exec, exec, s[40:41]
	v_lshrrev_b16_e32 v9, 8, v5
	v_cmp_ne_u16_e32 vcc, 0, v9
	v_mov_b32_e32 v16, 0
	s_and_saveexec_b64 s[40:41], vcc
	s_cbranch_execz .LBB2_4751
; %bb.4746:                             ;   in Loop: Header=BB2_4035 Depth=3
	v_cmp_ne_u16_e32 vcc, s87, v9
	v_bfrev_b32_e32 v16, 1
	s_and_saveexec_b64 s[42:43], vcc
	s_cbranch_execz .LBB2_4750
; %bb.4747:                             ;   in Loop: Header=BB2_4035 Depth=3
	v_and_b32_e32 v18, 0x7f, v9
	v_cmp_ne_u32_e32 vcc, s85, v18
	v_mov_b32_e32 v16, 0x7f800001
	s_and_saveexec_b64 s[36:37], vcc
	s_cbranch_execz .LBB2_4749
; %bb.4748:                             ;   in Loop: Header=BB2_4035 Depth=3
	v_and_b32_e32 v16, 7, v9
	v_lshrrev_b32_e32 v53, 3, v18
	v_cmp_gt_u32_e32 vcc, 8, v18
	v_ffbh_u32_e32 v18, v16
	v_min_u32_e32 v18, 32, v18
	v_subrev_u32_e32 v34, 28, v18
	v_lshlrev_b64 v[34:35], v34, v[9:10]
	v_sub_u32_e32 v9, 29, v18
	v_and_b32_e32 v18, 7, v34
	v_cndmask_b32_e32 v9, v53, v9, vcc
	v_cndmask_b32_e32 v16, v16, v18, vcc
	v_lshlrev_b32_e32 v5, 16, v5
	v_lshlrev_b32_e32 v16, 20, v16
	v_and_b32_e32 v5, 0x80000000, v5
	v_lshl_add_u32 v9, v9, 23, v17
	v_or3_b32 v16, v5, v9, v16
.LBB2_4749:                             ;   in Loop: Header=BB2_4035 Depth=3
	s_or_b64 exec, exec, s[36:37]
.LBB2_4750:                             ;   in Loop: Header=BB2_4035 Depth=3
	s_or_b64 exec, exec, s[42:43]
.LBB2_4751:                             ;   in Loop: Header=BB2_4035 Depth=3
	s_or_b64 exec, exec, s[40:41]
	v_lshrrev_b16_e32 v8, 8, v8
	v_cmp_lt_i16_e32 vcc, s85, v8
	s_mov_b64 s[40:41], 0
	s_and_saveexec_b64 s[42:43], vcc
	s_xor_b64 s[42:43], exec, s[42:43]
	s_cbranch_execz .LBB2_4842
; %bb.4752:                             ;   in Loop: Header=BB2_4035 Depth=3
	v_cmp_eq_u16_e32 vcc, s87, v8
	s_mov_b64 s[40:41], -1
	s_and_saveexec_b64 s[36:37], vcc
; %bb.4753:                             ;   in Loop: Header=BB2_4035 Depth=3
	s_xor_b64 s[40:41], exec, -1
; %bb.4754:                             ;   in Loop: Header=BB2_4035 Depth=3
	s_or_b64 exec, exec, s[36:37]
	s_and_b64 s[40:41], s[40:41], exec
	s_or_saveexec_b64 s[42:43], s[42:43]
	v_bfrev_b32_e32 v5, 1
	s_xor_b64 exec, exec, s[42:43]
	s_cbranch_execnz .LBB2_4843
.LBB2_4755:                             ;   in Loop: Header=BB2_4035 Depth=3
	s_or_b64 exec, exec, s[42:43]
	s_and_saveexec_b64 s[42:43], s[40:41]
	s_cbranch_execz .LBB2_4757
.LBB2_4756:                             ;   in Loop: Header=BB2_4035 Depth=3
	v_and_b32_e32 v5, 7, v8
	v_ffbh_u32_e32 v34, v5
	v_min_u32_e32 v54, 32, v34
	v_mov_b32_e32 v9, v29
	v_subrev_u32_e32 v34, 28, v54
	v_lshlrev_b64 v[34:35], v34, v[8:9]
	v_and_b32_e32 v18, 0x7f, v8
	v_bfe_u32 v53, v8, 3, 4
	v_sub_u32_e32 v9, 29, v54
	v_and_b32_e32 v34, 7, v34
	v_cmp_gt_u32_e32 vcc, 8, v18
	v_cndmask_b32_e32 v9, v53, v9, vcc
	v_cndmask_b32_e32 v5, v5, v34, vcc
	v_lshlrev_b32_e32 v8, 24, v8
	v_lshlrev_b32_e32 v5, 20, v5
	v_and_b32_e32 v8, 0x80000000, v8
	v_lshl_add_u32 v9, v9, 23, v17
	v_or3_b32 v5, v8, v9, v5
	v_cmp_ne_u32_e32 vcc, s85, v18
	v_cndmask_b32_e32 v5, v4, v5, vcc
.LBB2_4757:                             ;   in Loop: Header=BB2_4035 Depth=3
	s_or_b64 exec, exec, s[42:43]
	v_add_f32_e32 v8, v16, v5
	v_and_b32_e32 v34, 0x7f800000, v8
	v_mov_b32_e32 v35, v29
	v_cmp_ne_u64_e32 vcc, s[76:77], v[34:35]
                                        ; implicit-def: $vgpr5
	s_and_saveexec_b64 s[40:41], vcc
	s_xor_b64 s[42:43], exec, s[40:41]
	s_cbranch_execz .LBB2_4771
; %bb.4758:                             ;   in Loop: Header=BB2_4035 Depth=3
	v_and_b32_e32 v34, 0x7fffffff, v8
	v_mov_b32_e32 v35, v29
	v_cmp_gt_u64_e32 vcc, s[78:79], v[34:35]
	v_and_b32_sdwa v16, v8, s87 dst_sel:DWORD dst_unused:UNUSED_PAD src0_sel:BYTE_3 src1_sel:DWORD
                                        ; implicit-def: $vgpr5
	s_and_saveexec_b64 s[40:41], vcc
	s_xor_b64 s[36:37], exec, s[40:41]
	s_cbranch_execz .LBB2_4768
; %bb.4759:                             ;   in Loop: Header=BB2_4035 Depth=3
	v_mov_b32_e32 v5, 0
	v_cmp_ne_u32_e32 vcc, 0, v8
	s_and_saveexec_b64 s[38:39], vcc
	s_cbranch_execz .LBB2_4767
; %bb.4760:                             ;   in Loop: Header=BB2_4035 Depth=3
	v_bfe_u32 v5, v8, 23, 8
	v_and_b32_e32 v9, 0x7fffff, v8
	v_cmp_gt_u32_e64 s[40:41], s96, v5
	v_sub_u32_e32 v8, 0x79, v5
	v_cmp_eq_u32_e32 vcc, 0, v5
	v_cndmask_b32_e64 v8, 0, v8, s[40:41]
	v_or_b32_e32 v34, 0x800000, v9
	v_cndmask_b32_e32 v18, v8, v36, vcc
	v_cndmask_b32_e32 v8, v34, v9, vcc
	v_add_u32_e32 v34, 20, v18
	v_lshlrev_b64 v[34:35], v34, -1
	v_mov_b32_e32 v9, v29
	v_add_u32_e32 v53, 19, v18
	v_bfi_b32 v34, v34, 0, v8
	v_lshlrev_b64 v[53:54], v53, 1
	v_lshrrev_b64 v[8:9], v18, v[8:9]
	v_bfi_b32 v35, v35, 0, 0
	v_cmp_eq_u64_e64 s[40:41], v[34:35], v[53:54]
	v_mov_b32_e32 v47, v9
	v_mov_b32_e32 v46, v8
	s_and_saveexec_b64 s[48:49], s[40:41]
; %bb.4761:                             ;   in Loop: Header=BB2_4035 Depth=3
	v_bfe_u32 v9, v8, 20, 1
	v_add_co_u32_e64 v9, s[40:41], v8, v9
	v_add_co_u32_e64 v46, s[40:41], -1, v9
; %bb.4762:                             ;   in Loop: Header=BB2_4035 Depth=3
	s_or_b64 exec, exec, s[48:49]
	v_add_u32_e32 v5, 0xffffff81, v5
	v_cndmask_b32_e32 v5, v5, v37, vcc
	v_lshrrev_b32_e32 v9, 23, v8
	v_add3_u32 v34, v18, v5, v9
	v_add_u32_e32 v18, 6, v34
	v_and_b32_e32 v5, 0xfffff, v46
	v_add_u32_e32 v8, v5, v8
	v_mov_b32_e32 v9, v29
	v_cmp_ne_u32_e32 vcc, 0, v18
                                        ; implicit-def: $vgpr5
	s_and_saveexec_b64 s[40:41], vcc
	s_xor_b64 s[40:41], exec, s[40:41]
; %bb.4763:                             ;   in Loop: Header=BB2_4035 Depth=3
	v_cmp_lt_u64_e32 vcc, s[88:89], v[8:9]
	v_add_u32_e32 v5, 7, v34
	v_cndmask_b32_e32 v5, v18, v5, vcc
	v_cndmask_b32_e64 v18, 0, 1, vcc
	v_lshrrev_b64 v[8:9], v18, v[8:9]
; %bb.4764:                             ;   in Loop: Header=BB2_4035 Depth=3
	s_andn2_saveexec_b64 s[40:41], s[40:41]
; %bb.4765:                             ;   in Loop: Header=BB2_4035 Depth=3
	v_bfe_u32 v5, v8, 23, 1
; %bb.4766:                             ;   in Loop: Header=BB2_4035 Depth=3
	s_or_b64 exec, exec, s[40:41]
	v_lshrrev_b64 v[8:9], 20, v[8:9]
	v_cmp_gt_i32_e32 vcc, 16, v5
	v_cndmask_b32_e32 v9, 0, v9, vcc
	v_cndmask_b32_e32 v8, 7, v8, vcc
	v_cmp_eq_u32_e32 vcc, 0, v5
	v_min_i32_e32 v5, 15, v5
	v_cmp_eq_u64_e64 s[40:41], 0, v[8:9]
	v_lshlrev_b32_e32 v5, 3, v5
	v_and_b32_e32 v5, 0xf8, v5
	v_and_or_b32 v5, v8, 7, v5
	s_and_b64 s[40:41], vcc, s[40:41]
	v_cndmask_b32_e64 v5, v5, 0, s[40:41]
	v_or_b32_e32 v5, v5, v16
.LBB2_4767:                             ;   in Loop: Header=BB2_4035 Depth=3
	s_or_b64 exec, exec, s[38:39]
                                        ; implicit-def: $vgpr16
.LBB2_4768:                             ;   in Loop: Header=BB2_4035 Depth=3
	s_andn2_saveexec_b64 s[40:41], s[36:37]
; %bb.4769:                             ;   in Loop: Header=BB2_4035 Depth=3
	v_or_b32_e32 v5, 0x7e, v16
; %bb.4770:                             ;   in Loop: Header=BB2_4035 Depth=3
	s_or_b64 exec, exec, s[40:41]
                                        ; implicit-def: $vgpr8
.LBB2_4771:                             ;   in Loop: Header=BB2_4035 Depth=3
	s_andn2_saveexec_b64 s[40:41], s[42:43]
; %bb.4772:                             ;   in Loop: Header=BB2_4035 Depth=3
	v_or_b32_sdwa v5, v8, s85 dst_sel:DWORD dst_unused:UNUSED_PAD src0_sel:BYTE_3 src1_sel:DWORD
; %bb.4773:                             ;   in Loop: Header=BB2_4035 Depth=3
	s_or_b64 exec, exec, s[40:41]
	v_lshrrev_b32_e32 v8, 16, v28
	v_cmp_ne_u16_sdwa s[42:43], v8, v29 src0_sel:BYTE_0 src1_sel:DWORD
	v_mov_b32_e32 v9, 0
	s_and_saveexec_b64 s[40:41], s[42:43]
	s_cbranch_execz .LBB2_4779
; %bb.4774:                             ;   in Loop: Header=BB2_4035 Depth=3
	v_cmp_ne_u16_sdwa vcc, v8, s87 src0_sel:BYTE_0 src1_sel:DWORD
	v_bfrev_b32_e32 v9, 1
	s_and_saveexec_b64 s[42:43], vcc
	s_cbranch_execz .LBB2_4778
; %bb.4775:                             ;   in Loop: Header=BB2_4035 Depth=3
	v_bfe_u32 v16, v28, 16, 7
	v_cmp_ne_u32_e32 vcc, s85, v16
	v_mov_b32_e32 v9, 0x7f800001
	s_and_saveexec_b64 s[36:37], vcc
	s_cbranch_execz .LBB2_4777
; %bb.4776:                             ;   in Loop: Header=BB2_4035 Depth=3
	v_and_b32_e32 v9, 7, v8
	v_lshrrev_b32_e32 v18, 3, v16
	v_cmp_gt_u32_e32 vcc, 8, v16
	v_ffbh_u32_e32 v16, v9
	v_min_u32_e32 v16, 32, v16
	v_subrev_u32_e32 v34, 28, v16
	v_lshlrev_b64 v[34:35], v34, v[8:9]
	v_sub_u32_e32 v16, 29, v16
	v_and_b32_e32 v34, 7, v34
	v_cndmask_b32_e32 v16, v18, v16, vcc
	v_cndmask_b32_e32 v9, v9, v34, vcc
	v_lshlrev_b32_e32 v8, 24, v8
	v_lshlrev_b32_e32 v9, 20, v9
	v_and_b32_e32 v8, 0x80000000, v8
	v_lshl_add_u32 v16, v16, 23, v17
	v_or3_b32 v9, v8, v16, v9
.LBB2_4777:                             ;   in Loop: Header=BB2_4035 Depth=3
	s_or_b64 exec, exec, s[36:37]
.LBB2_4778:                             ;   in Loop: Header=BB2_4035 Depth=3
	s_or_b64 exec, exec, s[42:43]
.LBB2_4779:                             ;   in Loop: Header=BB2_4035 Depth=3
	s_or_b64 exec, exec, s[40:41]
	v_lshrrev_b32_e32 v8, 16, v11
	v_cmp_gt_i16_sdwa s[42:43], v8, s85 src0_sel:BYTE_0 src1_sel:DWORD
	s_mov_b64 s[40:41], 0
	s_and_saveexec_b64 vcc, s[42:43]
	s_xor_b64 s[42:43], exec, vcc
	s_cbranch_execz .LBB2_4844
; %bb.4780:                             ;   in Loop: Header=BB2_4035 Depth=3
	v_cmp_eq_u16_sdwa s[36:37], v8, s87 src0_sel:BYTE_0 src1_sel:DWORD
	s_mov_b64 s[40:41], -1
	s_and_saveexec_b64 vcc, s[36:37]
; %bb.4781:                             ;   in Loop: Header=BB2_4035 Depth=3
	s_xor_b64 s[40:41], exec, -1
; %bb.4782:                             ;   in Loop: Header=BB2_4035 Depth=3
	s_or_b64 exec, exec, vcc
	s_and_b64 s[40:41], s[40:41], exec
	s_or_saveexec_b64 s[42:43], s[42:43]
	v_bfrev_b32_e32 v16, 1
	s_xor_b64 exec, exec, s[42:43]
	s_cbranch_execnz .LBB2_4845
.LBB2_4783:                             ;   in Loop: Header=BB2_4035 Depth=3
	s_or_b64 exec, exec, s[42:43]
	s_and_saveexec_b64 s[42:43], s[40:41]
	s_cbranch_execz .LBB2_4785
.LBB2_4784:                             ;   in Loop: Header=BB2_4035 Depth=3
	v_and_b32_e32 v16, 7, v8
	v_ffbh_u32_e32 v34, v16
	v_min_u32_e32 v54, 32, v34
	v_subrev_u32_e32 v34, 28, v54
	v_lshlrev_b64 v[34:35], v34, v[8:9]
	v_and_b32_e32 v18, 0x7f, v8
	v_bfe_u32 v53, v8, 3, 4
	v_sub_u32_e32 v35, 29, v54
	v_and_b32_e32 v34, 7, v34
	v_cmp_gt_u32_e32 vcc, 8, v18
	v_cndmask_b32_e32 v35, v53, v35, vcc
	v_cndmask_b32_e32 v16, v16, v34, vcc
	v_lshlrev_b32_e32 v8, 24, v8
	v_lshlrev_b32_e32 v16, 20, v16
	v_and_b32_e32 v8, 0x80000000, v8
	v_lshl_add_u32 v34, v35, 23, v17
	v_or3_b32 v8, v8, v34, v16
	v_cmp_ne_u32_e32 vcc, s85, v18
	v_cndmask_b32_e32 v16, v4, v8, vcc
.LBB2_4785:                             ;   in Loop: Header=BB2_4035 Depth=3
	s_or_b64 exec, exec, s[42:43]
	v_add_f32_e32 v8, v9, v16
	v_and_b32_e32 v34, 0x7f800000, v8
	v_mov_b32_e32 v35, v29
	v_cmp_ne_u64_e32 vcc, s[76:77], v[34:35]
                                        ; implicit-def: $vgpr16
	s_and_saveexec_b64 s[40:41], vcc
	s_xor_b64 s[42:43], exec, s[40:41]
	s_cbranch_execz .LBB2_4799
; %bb.4786:                             ;   in Loop: Header=BB2_4035 Depth=3
	v_and_b32_e32 v34, 0x7fffffff, v8
	v_mov_b32_e32 v35, v29
	v_cmp_gt_u64_e32 vcc, s[78:79], v[34:35]
	v_and_b32_sdwa v18, v8, s87 dst_sel:DWORD dst_unused:UNUSED_PAD src0_sel:BYTE_3 src1_sel:DWORD
                                        ; implicit-def: $vgpr16
	s_and_saveexec_b64 s[40:41], vcc
	s_xor_b64 s[36:37], exec, s[40:41]
	s_cbranch_execz .LBB2_4796
; %bb.4787:                             ;   in Loop: Header=BB2_4035 Depth=3
	v_mov_b32_e32 v16, 0
	v_cmp_ne_u32_e32 vcc, 0, v8
	s_and_saveexec_b64 s[38:39], vcc
	s_cbranch_execz .LBB2_4795
; %bb.4788:                             ;   in Loop: Header=BB2_4035 Depth=3
	v_bfe_u32 v16, v8, 23, 8
	v_and_b32_e32 v9, 0x7fffff, v8
	v_cmp_gt_u32_e64 s[40:41], s96, v16
	v_sub_u32_e32 v8, 0x79, v16
	v_cmp_eq_u32_e32 vcc, 0, v16
	v_cndmask_b32_e64 v8, 0, v8, s[40:41]
	v_or_b32_e32 v35, 0x800000, v9
	v_cndmask_b32_e32 v34, v8, v36, vcc
	v_cndmask_b32_e32 v8, v35, v9, vcc
	v_add_u32_e32 v35, 20, v34
	v_lshlrev_b64 v[53:54], v35, -1
	v_mov_b32_e32 v9, v29
	v_add_u32_e32 v35, 19, v34
	v_bfi_b32 v53, v53, 0, v8
	v_lshlrev_b64 v[46:47], v35, 1
	v_lshrrev_b64 v[8:9], v34, v[8:9]
	v_bfi_b32 v54, v54, 0, 0
	v_cmp_eq_u64_e64 s[40:41], v[53:54], v[46:47]
	v_mov_b32_e32 v47, v9
	v_mov_b32_e32 v46, v8
	s_and_saveexec_b64 s[48:49], s[40:41]
; %bb.4789:                             ;   in Loop: Header=BB2_4035 Depth=3
	v_bfe_u32 v9, v8, 20, 1
	v_add_co_u32_e64 v9, s[40:41], v8, v9
	v_add_co_u32_e64 v46, s[40:41], -1, v9
; %bb.4790:                             ;   in Loop: Header=BB2_4035 Depth=3
	s_or_b64 exec, exec, s[48:49]
	v_add_u32_e32 v9, 0xffffff81, v16
	v_cndmask_b32_e32 v9, v9, v37, vcc
	v_lshrrev_b32_e32 v16, 23, v8
	v_add3_u32 v35, v34, v9, v16
	v_add_u32_e32 v34, 6, v35
	v_and_b32_e32 v9, 0xfffff, v46
	v_add_u32_e32 v8, v9, v8
	v_mov_b32_e32 v9, v29
	v_cmp_ne_u32_e32 vcc, 0, v34
                                        ; implicit-def: $vgpr16
	s_and_saveexec_b64 s[40:41], vcc
	s_xor_b64 s[40:41], exec, s[40:41]
; %bb.4791:                             ;   in Loop: Header=BB2_4035 Depth=3
	v_cmp_lt_u64_e32 vcc, s[88:89], v[8:9]
	v_add_u32_e32 v16, 7, v35
	v_cndmask_b32_e32 v16, v34, v16, vcc
	v_cndmask_b32_e64 v34, 0, 1, vcc
	v_lshrrev_b64 v[8:9], v34, v[8:9]
; %bb.4792:                             ;   in Loop: Header=BB2_4035 Depth=3
	s_andn2_saveexec_b64 s[40:41], s[40:41]
; %bb.4793:                             ;   in Loop: Header=BB2_4035 Depth=3
	v_bfe_u32 v16, v8, 23, 1
; %bb.4794:                             ;   in Loop: Header=BB2_4035 Depth=3
	s_or_b64 exec, exec, s[40:41]
	v_lshrrev_b64 v[8:9], 20, v[8:9]
	v_cmp_gt_i32_e32 vcc, 16, v16
	v_cndmask_b32_e32 v9, 0, v9, vcc
	v_cndmask_b32_e32 v8, 7, v8, vcc
	v_cmp_eq_u64_e64 s[40:41], 0, v[8:9]
	v_min_i32_e32 v9, 15, v16
	v_lshlrev_b32_e32 v9, 3, v9
	v_cmp_eq_u32_e32 vcc, 0, v16
	v_and_b32_e32 v9, 0xf8, v9
	v_and_or_b32 v8, v8, 7, v9
	s_and_b64 s[40:41], vcc, s[40:41]
	v_cndmask_b32_e64 v8, v8, 0, s[40:41]
	v_or_b32_e32 v16, v8, v18
.LBB2_4795:                             ;   in Loop: Header=BB2_4035 Depth=3
	s_or_b64 exec, exec, s[38:39]
                                        ; implicit-def: $vgpr18
.LBB2_4796:                             ;   in Loop: Header=BB2_4035 Depth=3
	s_andn2_saveexec_b64 s[40:41], s[36:37]
; %bb.4797:                             ;   in Loop: Header=BB2_4035 Depth=3
	v_or_b32_e32 v16, 0x7e, v18
; %bb.4798:                             ;   in Loop: Header=BB2_4035 Depth=3
	s_or_b64 exec, exec, s[40:41]
                                        ; implicit-def: $vgpr8
.LBB2_4799:                             ;   in Loop: Header=BB2_4035 Depth=3
	s_andn2_saveexec_b64 s[40:41], s[42:43]
; %bb.4800:                             ;   in Loop: Header=BB2_4035 Depth=3
	v_or_b32_sdwa v16, v8, s85 dst_sel:DWORD dst_unused:UNUSED_PAD src0_sel:BYTE_3 src1_sel:DWORD
; %bb.4801:                             ;   in Loop: Header=BB2_4035 Depth=3
	s_or_b64 exec, exec, s[40:41]
	v_cmp_lt_u32_e32 vcc, s57, v28
	v_mov_b32_e32 v9, 0
	s_and_saveexec_b64 s[40:41], vcc
	s_cbranch_execz .LBB2_4807
; %bb.4802:                             ;   in Loop: Header=BB2_4035 Depth=3
	v_lshrrev_b32_e32 v8, 24, v28
	v_cmp_ne_u32_sdwa vcc, v28, s87 src0_sel:BYTE_3 src1_sel:DWORD
	v_bfrev_b32_e32 v9, 1
	s_and_saveexec_b64 s[42:43], vcc
	s_cbranch_execz .LBB2_4806
; %bb.4803:                             ;   in Loop: Header=BB2_4035 Depth=3
	v_bfe_u32 v18, v28, 24, 7
	v_cmp_ne_u32_e32 vcc, s85, v18
	v_mov_b32_e32 v9, 0x7f800001
	s_and_saveexec_b64 s[36:37], vcc
	s_cbranch_execz .LBB2_4805
; %bb.4804:                             ;   in Loop: Header=BB2_4035 Depth=3
	v_and_b32_e32 v34, 7, v8
	v_ffbh_u32_e32 v9, v34
	v_lshrrev_b32_e32 v35, 3, v18
	v_cmp_gt_u32_e32 vcc, 8, v18
	v_min_u32_e32 v18, 32, v9
	v_subrev_u32_e32 v9, 28, v18
	v_lshlrev_b64 v[8:9], v9, v[8:9]
	v_sub_u32_e32 v9, 29, v18
	v_and_b32_e32 v8, 7, v8
	v_mov_b32_e32 v18, 24
	v_cndmask_b32_e32 v9, v35, v9, vcc
	v_cndmask_b32_e32 v8, v34, v8, vcc
	v_lshlrev_b32_sdwa v18, v18, v28 dst_sel:DWORD dst_unused:UNUSED_PAD src0_sel:DWORD src1_sel:BYTE_3
	v_lshlrev_b32_e32 v8, 20, v8
	v_and_b32_e32 v18, 0x80000000, v18
	v_lshl_add_u32 v9, v9, 23, v17
	v_or3_b32 v9, v18, v9, v8
.LBB2_4805:                             ;   in Loop: Header=BB2_4035 Depth=3
	s_or_b64 exec, exec, s[36:37]
.LBB2_4806:                             ;   in Loop: Header=BB2_4035 Depth=3
	s_or_b64 exec, exec, s[42:43]
.LBB2_4807:                             ;   in Loop: Header=BB2_4035 Depth=3
	s_or_b64 exec, exec, s[40:41]
	v_bfe_u32 v18, v11, 24, 3
	v_ffbh_u32_e32 v34, v18
	v_min_u32_e32 v54, 32, v34
	v_lshrrev_b32_e32 v8, 24, v11
	v_subrev_u32_e32 v34, 28, v54
	v_lshlrev_b64 v[34:35], v34, v[8:9]
	v_bfe_u32 v28, v11, 24, 7
	v_bfe_u32 v53, v8, 3, 4
	v_sub_u32_e32 v35, 29, v54
	v_and_b32_e32 v34, 7, v34
	v_cmp_gt_u32_e32 vcc, 8, v28
	v_cndmask_b32_e32 v35, v53, v35, vcc
	v_cndmask_b32_e32 v18, v18, v34, vcc
	v_lshlrev_b32_e32 v18, 20, v18
	v_and_b32_e32 v34, 0x80000000, v11
	v_lshl_add_u32 v35, v35, 23, v17
	v_or3_b32 v18, v34, v35, v18
	v_cmp_ne_u32_e32 vcc, s85, v28
	v_cndmask_b32_e32 v18, v4, v18, vcc
	v_cmp_ne_u32_e32 vcc, s87, v8
	v_bfrev_b32_e32 v8, 1
	v_cndmask_b32_e32 v8, v8, v18, vcc
	v_cmp_lt_u64_e32 vcc, s[56:57], v[10:11]
                                        ; implicit-def: $vgpr18
	v_cndmask_b32_e32 v8, 0, v8, vcc
	v_add_f32_e32 v8, v8, v9
	v_and_b32_e32 v28, 0x7f800000, v8
	v_cmp_ne_u64_e32 vcc, s[76:77], v[28:29]
	s_and_saveexec_b64 s[40:41], vcc
	s_xor_b64 s[42:43], exec, s[40:41]
	s_cbranch_execz .LBB2_4821
; %bb.4808:                             ;   in Loop: Header=BB2_4035 Depth=3
	v_and_b32_e32 v28, 0x7fffffff, v8
	v_cmp_gt_u64_e32 vcc, s[78:79], v[28:29]
	v_and_b32_sdwa v11, v8, s87 dst_sel:DWORD dst_unused:UNUSED_PAD src0_sel:BYTE_3 src1_sel:DWORD
                                        ; implicit-def: $vgpr18
	s_and_saveexec_b64 s[40:41], vcc
	s_xor_b64 s[36:37], exec, s[40:41]
	s_cbranch_execz .LBB2_4818
; %bb.4809:                             ;   in Loop: Header=BB2_4035 Depth=3
	v_mov_b32_e32 v18, 0
	v_cmp_ne_u32_e32 vcc, 0, v8
	s_and_saveexec_b64 s[38:39], vcc
	s_cbranch_execz .LBB2_4817
; %bb.4810:                             ;   in Loop: Header=BB2_4035 Depth=3
	v_bfe_u32 v18, v8, 23, 8
	v_and_b32_e32 v9, 0x7fffff, v8
	v_cmp_gt_u32_e64 s[40:41], s96, v18
	v_sub_u32_e32 v8, 0x79, v18
	v_cmp_eq_u32_e32 vcc, 0, v18
	v_cndmask_b32_e64 v8, 0, v8, s[40:41]
	v_cndmask_b32_e32 v34, v8, v36, vcc
	v_or_b32_e32 v10, 0x800000, v9
	v_add_u32_e32 v8, 20, v34
	v_cndmask_b32_e32 v28, v10, v9, vcc
	v_lshlrev_b64 v[8:9], v8, -1
	v_add_u32_e32 v10, 19, v34
	v_lshlrev_b64 v[53:54], v10, 1
	v_bfi_b32 v9, v9, 0, 0
	v_bfi_b32 v8, v8, 0, v28
	v_cmp_eq_u64_e64 s[40:41], v[8:9], v[53:54]
	v_lshrrev_b64 v[8:9], v34, v[28:29]
	v_mov_b32_e32 v10, v9
	v_mov_b32_e32 v9, v8
	s_and_saveexec_b64 s[48:49], s[40:41]
; %bb.4811:                             ;   in Loop: Header=BB2_4035 Depth=3
	v_bfe_u32 v9, v8, 20, 1
	v_add_co_u32_e64 v9, s[40:41], v8, v9
	v_add_co_u32_e64 v9, s[40:41], -1, v9
; %bb.4812:                             ;   in Loop: Header=BB2_4035 Depth=3
	s_or_b64 exec, exec, s[48:49]
	v_add_u32_e32 v10, 0xffffff81, v18
	v_cndmask_b32_e32 v10, v10, v37, vcc
	v_lshrrev_b32_e32 v18, 23, v8
	v_add3_u32 v34, v34, v10, v18
	v_add_u32_e32 v18, 6, v34
	v_and_b32_e32 v9, 0xfffff, v9
	v_add_u32_e32 v28, v9, v8
	v_cmp_ne_u32_e32 vcc, 0, v18
                                        ; implicit-def: $vgpr8_vgpr9
                                        ; implicit-def: $vgpr10
	s_and_saveexec_b64 s[40:41], vcc
	s_xor_b64 s[40:41], exec, s[40:41]
; %bb.4813:                             ;   in Loop: Header=BB2_4035 Depth=3
	v_cmp_lt_u64_e32 vcc, s[88:89], v[28:29]
	v_add_u32_e32 v8, 7, v34
	v_cndmask_b32_e32 v10, v18, v8, vcc
	v_cndmask_b32_e64 v8, 0, 1, vcc
	v_lshrrev_b64 v[8:9], v8, v[28:29]
; %bb.4814:                             ;   in Loop: Header=BB2_4035 Depth=3
	s_andn2_saveexec_b64 s[40:41], s[40:41]
; %bb.4815:                             ;   in Loop: Header=BB2_4035 Depth=3
	v_mov_b32_e32 v8, v28
	v_mov_b32_e32 v9, v29
	v_bfe_u32 v10, v28, 23, 1
; %bb.4816:                             ;   in Loop: Header=BB2_4035 Depth=3
	s_or_b64 exec, exec, s[40:41]
	v_lshrrev_b64 v[8:9], 20, v[8:9]
	v_cmp_gt_i32_e32 vcc, 16, v10
	v_cndmask_b32_e32 v9, 0, v9, vcc
	v_cndmask_b32_e32 v8, 7, v8, vcc
	v_cmp_eq_u64_e64 s[40:41], 0, v[8:9]
	v_min_i32_e32 v9, 15, v10
	v_lshlrev_b32_e32 v9, 3, v9
	v_cmp_eq_u32_e32 vcc, 0, v10
	v_and_b32_e32 v9, 0xf8, v9
	v_and_or_b32 v8, v8, 7, v9
	s_and_b64 s[40:41], vcc, s[40:41]
	v_cndmask_b32_e64 v8, v8, 0, s[40:41]
	v_or_b32_e32 v18, v8, v11
.LBB2_4817:                             ;   in Loop: Header=BB2_4035 Depth=3
	s_or_b64 exec, exec, s[38:39]
                                        ; implicit-def: $vgpr11
.LBB2_4818:                             ;   in Loop: Header=BB2_4035 Depth=3
	s_andn2_saveexec_b64 s[40:41], s[36:37]
; %bb.4819:                             ;   in Loop: Header=BB2_4035 Depth=3
	v_or_b32_e32 v18, 0x7e, v11
; %bb.4820:                             ;   in Loop: Header=BB2_4035 Depth=3
	s_or_b64 exec, exec, s[40:41]
                                        ; implicit-def: $vgpr8
.LBB2_4821:                             ;   in Loop: Header=BB2_4035 Depth=3
	s_andn2_saveexec_b64 s[40:41], s[42:43]
; %bb.4822:                             ;   in Loop: Header=BB2_4035 Depth=3
	v_or_b32_sdwa v18, v8, s85 dst_sel:DWORD dst_unused:UNUSED_PAD src0_sel:BYTE_3 src1_sel:DWORD
; %bb.4823:                             ;   in Loop: Header=BB2_4035 Depth=3
	s_or_b64 exec, exec, s[40:41]
	v_lshl_or_b32 v8, v23, 8, v19
	v_lshlrev_b32_e32 v9, 16, v33
	v_lshlrev_b32_e32 v10, 24, v30
	v_lshl_or_b32 v1, v6, 8, v1
	v_lshlrev_b32_e32 v2, 16, v2
	v_lshlrev_b32_e32 v6, 24, v25
	v_or3_b32 v9, v8, v9, v10
	v_or3_b32 v8, v1, v2, v6
	v_lshl_or_b32 v1, v22, 8, v7
	v_lshlrev_b32_e32 v2, 16, v24
	v_lshlrev_b32_e32 v6, 24, v31
	v_or3_b32 v10, v1, v2, v6
	v_lshlrev_b32_e32 v1, 24, v18
	v_lshlrev_b32_e32 v2, 16, v16
	v_lshl_or_b32 v3, v5, 8, v3
	v_or3_b32 v11, v3, v2, v1
	s_mov_b64 s[38:39], 0
	s_mov_b64 s[36:37], -1
.LBB2_4824:                             ;   Parent Loop BB2_47 Depth=1
                                        ;     Parent Loop BB2_3957 Depth=2
                                        ;       Parent Loop BB2_4035 Depth=3
                                        ; =>      This Inner Loop Header: Depth=4
	s_cmp_eq_u32 s38, 1
	s_cselect_b64 s[40:41], -1, 0
	v_cndmask_b32_e64 v2, v52, v41, s[40:41]
	v_cndmask_b32_e64 v1, v51, v40, s[40:41]
	global_store_dwordx4 v[1:2], v[8:11], off glc slc
	v_add_co_u32_e32 v1, vcc, 0x400, v1
	s_cmp_eq_u32 s38, 0
	v_addc_co_u32_e32 v2, vcc, 0, v2, vcc
	s_cselect_b64 vcc, -1, 0
	s_and_b64 s[42:43], exec, s[36:37]
	s_mov_b64 s[38:39], 1
	v_cndmask_b32_e64 v40, v40, v1, s[40:41]
	s_mov_b64 s[36:37], 0
	v_cndmask_b32_e64 v41, v41, v2, s[40:41]
	v_cndmask_b32_e32 v52, v52, v2, vcc
	v_cndmask_b32_e32 v51, v51, v1, vcc
	s_mov_b64 vcc, s[42:43]
	s_cbranch_vccnz .LBB2_4824
; %bb.4825:                             ;   in Loop: Header=BB2_4035 Depth=3
	buffer_load_dword v1, off, s[0:3], s33 offset:64 ; 4-byte Folded Reload
	buffer_load_dword v2, off, s[0:3], s33 offset:68 ; 4-byte Folded Reload
	v_sub_u32_e32 v48, v48, v15
	v_sub_u32_e32 v49, v49, v14
	s_waitcnt vmcnt(1)
	v_add_co_u32_e32 v42, vcc, v42, v1
	s_waitcnt vmcnt(0)
	v_addc_co_u32_e32 v43, vcc, v43, v2, vcc
	v_add_co_u32_e32 v44, vcc, v44, v1
	v_addc_co_u32_e32 v45, vcc, v45, v2, vcc
	buffer_load_dword v2, off, s[0:3], s33 offset:60 ; 4-byte Folded Reload
	v_add_u32_e32 v1, 0xfffffc00, v15
	v_add_co_u32_e32 v51, vcc, v51, v1
	s_waitcnt vmcnt(0)
	v_addc_co_u32_e32 v52, vcc, v52, v2, vcc
	v_add_co_u32_e32 v40, vcc, v40, v1
	v_addc_co_u32_e32 v41, vcc, v41, v2, vcc
	v_cmp_gt_i32_e32 vcc, 16, v48
	s_or_b64 s[34:35], vcc, s[34:35]
	s_andn2_b64 exec, exec, s[34:35]
	s_cbranch_execnz .LBB2_4035
	s_branch .LBB2_4846
.LBB2_4826:                             ;   in Loop: Header=BB2_4035 Depth=3
	s_or_saveexec_b64 s[42:43], s[42:43]
	v_bfrev_b32_e32 v1, 1
	s_xor_b64 exec, exec, s[42:43]
	s_cbranch_execz .LBB2_4405
.LBB2_4827:                             ;   in Loop: Header=BB2_4035 Depth=3
	v_cmp_ne_u16_sdwa vcc, v8, v29 src0_sel:BYTE_0 src1_sel:DWORD
	s_andn2_b64 s[40:41], s[40:41], exec
	s_and_b64 vcc, vcc, exec
	v_mov_b32_e32 v1, 0
	s_or_b64 s[40:41], s[40:41], vcc
	s_or_b64 exec, exec, s[42:43]
	s_and_saveexec_b64 s[42:43], s[40:41]
	s_cbranch_execnz .LBB2_4406
	s_branch .LBB2_4407
.LBB2_4828:                             ;   in Loop: Header=BB2_4035 Depth=3
	s_or_saveexec_b64 s[42:43], s[42:43]
	v_bfrev_b32_e32 v2, 1
	s_xor_b64 exec, exec, s[42:43]
	s_cbranch_execz .LBB2_4433
.LBB2_4829:                             ;   in Loop: Header=BB2_4035 Depth=3
	v_cmp_ne_u16_e32 vcc, 0, v46
	s_andn2_b64 s[40:41], s[40:41], exec
	s_and_b64 vcc, vcc, exec
	v_mov_b32_e32 v2, 0
	s_or_b64 s[40:41], s[40:41], vcc
	s_or_b64 exec, exec, s[42:43]
	s_and_saveexec_b64 s[42:43], s[40:41]
	s_cbranch_execnz .LBB2_4434
	s_branch .LBB2_4435
.LBB2_4830:                             ;   in Loop: Header=BB2_4035 Depth=3
	s_or_saveexec_b64 s[42:43], s[42:43]
	v_bfrev_b32_e32 v25, 1
	s_xor_b64 exec, exec, s[42:43]
	s_cbranch_execz .LBB2_4461
.LBB2_4831:                             ;   in Loop: Header=BB2_4035 Depth=3
	v_cmp_ne_u16_sdwa vcc, v30, v29 src0_sel:BYTE_0 src1_sel:DWORD
	s_andn2_b64 s[40:41], s[40:41], exec
	s_and_b64 vcc, vcc, exec
	v_mov_b32_e32 v25, 0
	s_or_b64 s[40:41], s[40:41], vcc
	s_or_b64 exec, exec, s[42:43]
	s_and_saveexec_b64 s[42:43], s[40:41]
	s_cbranch_execnz .LBB2_4462
	s_branch .LBB2_4463
.LBB2_4832:                             ;   in Loop: Header=BB2_4035 Depth=3
	s_or_saveexec_b64 s[42:43], s[42:43]
	v_bfrev_b32_e32 v30, 1
	s_xor_b64 exec, exec, s[42:43]
	s_cbranch_execz .LBB2_4541
.LBB2_4833:                             ;   in Loop: Header=BB2_4035 Depth=3
	v_cmp_ne_u16_e32 vcc, 0, v46
	s_andn2_b64 s[40:41], s[40:41], exec
	s_and_b64 vcc, vcc, exec
	v_mov_b32_e32 v30, 0
	s_or_b64 s[40:41], s[40:41], vcc
	s_or_b64 exec, exec, s[42:43]
	s_and_saveexec_b64 s[42:43], s[40:41]
	s_cbranch_execnz .LBB2_4542
	s_branch .LBB2_4543
.LBB2_4834:                             ;   in Loop: Header=BB2_4035 Depth=3
	s_or_saveexec_b64 s[42:43], s[42:43]
	v_bfrev_b32_e32 v34, 1
	s_xor_b64 exec, exec, s[42:43]
	s_cbranch_execz .LBB2_4569
.LBB2_4835:                             ;   in Loop: Header=BB2_4035 Depth=3
	v_cmp_ne_u16_sdwa vcc, v30, v29 src0_sel:BYTE_0 src1_sel:DWORD
	s_andn2_b64 s[40:41], s[40:41], exec
	s_and_b64 vcc, vcc, exec
	v_mov_b32_e32 v34, 0
	s_or_b64 s[40:41], s[40:41], vcc
	s_or_b64 exec, exec, s[42:43]
	s_and_saveexec_b64 s[42:43], s[40:41]
	s_cbranch_execnz .LBB2_4570
	s_branch .LBB2_4571
.LBB2_4836:                             ;   in Loop: Header=BB2_4035 Depth=3
	s_or_saveexec_b64 s[42:43], s[42:43]
	v_bfrev_b32_e32 v7, 1
	s_xor_b64 exec, exec, s[42:43]
	s_cbranch_execz .LBB2_4619
.LBB2_4837:                             ;   in Loop: Header=BB2_4035 Depth=3
	v_cmp_ne_u16_sdwa vcc, v10, v29 src0_sel:BYTE_0 src1_sel:DWORD
	s_andn2_b64 s[40:41], s[40:41], exec
	s_and_b64 vcc, vcc, exec
	v_mov_b32_e32 v7, 0
	s_or_b64 s[40:41], s[40:41], vcc
	s_or_b64 exec, exec, s[42:43]
	s_and_saveexec_b64 s[42:43], s[40:41]
	s_cbranch_execnz .LBB2_4620
	s_branch .LBB2_4621
.LBB2_4838:                             ;   in Loop: Header=BB2_4035 Depth=3
	s_or_saveexec_b64 s[42:43], s[42:43]
	v_bfrev_b32_e32 v9, 1
	s_xor_b64 exec, exec, s[42:43]
	s_cbranch_execz .LBB2_4647
.LBB2_4839:                             ;   in Loop: Header=BB2_4035 Depth=3
	v_cmp_ne_u16_e32 vcc, 0, v8
	s_andn2_b64 s[40:41], s[40:41], exec
	s_and_b64 vcc, vcc, exec
	v_mov_b32_e32 v9, 0
	s_or_b64 s[40:41], s[40:41], vcc
	s_or_b64 exec, exec, s[42:43]
	s_and_saveexec_b64 s[42:43], s[40:41]
	s_cbranch_execnz .LBB2_4648
	s_branch .LBB2_4649
.LBB2_4840:                             ;   in Loop: Header=BB2_4035 Depth=3
	s_or_saveexec_b64 s[42:43], s[42:43]
	v_bfrev_b32_e32 v24, 1
	s_xor_b64 exec, exec, s[42:43]
	s_cbranch_execz .LBB2_4675
.LBB2_4841:                             ;   in Loop: Header=BB2_4035 Depth=3
	v_cmp_ne_u16_sdwa vcc, v8, v29 src0_sel:BYTE_0 src1_sel:DWORD
	s_andn2_b64 s[40:41], s[40:41], exec
	s_and_b64 vcc, vcc, exec
	v_mov_b32_e32 v24, 0
	s_or_b64 s[40:41], s[40:41], vcc
	s_or_b64 exec, exec, s[42:43]
	s_and_saveexec_b64 s[42:43], s[40:41]
	s_cbranch_execnz .LBB2_4676
	s_branch .LBB2_4677
.LBB2_4842:                             ;   in Loop: Header=BB2_4035 Depth=3
	s_or_saveexec_b64 s[42:43], s[42:43]
	v_bfrev_b32_e32 v5, 1
	s_xor_b64 exec, exec, s[42:43]
	s_cbranch_execz .LBB2_4755
.LBB2_4843:                             ;   in Loop: Header=BB2_4035 Depth=3
	v_cmp_ne_u16_e32 vcc, 0, v8
	s_andn2_b64 s[40:41], s[40:41], exec
	s_and_b64 vcc, vcc, exec
	v_mov_b32_e32 v5, 0
	s_or_b64 s[40:41], s[40:41], vcc
	s_or_b64 exec, exec, s[42:43]
	s_and_saveexec_b64 s[42:43], s[40:41]
	s_cbranch_execnz .LBB2_4756
	s_branch .LBB2_4757
.LBB2_4844:                             ;   in Loop: Header=BB2_4035 Depth=3
	s_or_saveexec_b64 s[42:43], s[42:43]
	v_bfrev_b32_e32 v16, 1
	s_xor_b64 exec, exec, s[42:43]
	s_cbranch_execz .LBB2_4783
.LBB2_4845:                             ;   in Loop: Header=BB2_4035 Depth=3
	v_cmp_ne_u16_sdwa vcc, v8, v29 src0_sel:BYTE_0 src1_sel:DWORD
	s_andn2_b64 s[40:41], s[40:41], exec
	s_and_b64 vcc, vcc, exec
	v_mov_b32_e32 v16, 0
	s_or_b64 s[40:41], s[40:41], vcc
	s_or_b64 exec, exec, s[42:43]
	s_and_saveexec_b64 s[42:43], s[40:41]
	s_cbranch_execnz .LBB2_4784
	s_branch .LBB2_4785
.LBB2_4846:                             ;   in Loop: Header=BB2_3957 Depth=2
	s_or_b64 exec, exec, s[34:35]
	buffer_load_dword v10, off, s[0:3], s33 offset:196 ; 4-byte Folded Reload
	buffer_load_dword v11, off, s[0:3], s33 offset:200 ; 4-byte Folded Reload
	buffer_load_dword v3, off, s[0:3], s33 offset:204 ; 4-byte Folded Reload
	buffer_load_dword v6, off, s[0:3], s33 offset:208 ; 4-byte Folded Reload
.LBB2_4847:                             ;   in Loop: Header=BB2_3957 Depth=2
	s_or_b64 exec, exec, s[30:31]
	v_and_b32_e32 v2, 15, v58
	s_waitcnt vmcnt(0)
	v_cndmask_b32_e64 v5, v6, v2, s[28:29]
	v_mov_b32_e32 v0, 0
	v_cmp_ne_u32_e32 vcc, 0, v5
	s_mov_b64 s[40:41], 0
                                        ; implicit-def: $vgpr1
                                        ; implicit-def: $vgpr18
	s_and_saveexec_b64 s[30:31], vcc
	s_cbranch_execz .LBB2_5663
; %bb.4848:                             ;   in Loop: Header=BB2_3957 Depth=2
	buffer_load_dword v1, off, s[0:3], s33 offset:176 ; 4-byte Folded Reload
	v_sub_u32_e32 v0, v6, v2
	v_cndmask_b32_e64 v0, 0, v0, s[28:29]
	v_cmp_lt_i32_e32 vcc, 0, v49
	v_add_u32_e32 v6, v0, v3
	v_cndmask_b32_e32 v0, 0, v14, vcc
	v_sub_u32_e32 v0, v0, v49
	s_waitcnt vmcnt(0)
	v_lshl_or_b32 v0, v0, 6, v1
	v_ashrrev_i32_e32 v1, 31, v0
	v_lshrrev_b32_e32 v1, 26, v1
	v_add_u32_e32 v1, v0, v1
	v_ashrrev_i32_e32 v2, 6, v1
	v_and_b32_e32 v1, 0xffffffc0, v1
	v_sub_u32_e32 v7, v0, v1
	v_ashrrev_i32_e32 v1, 31, v5
	v_lshrrev_b32_e32 v1, 22, v1
	v_add_u32_e32 v1, v5, v1
	v_and_b32_e32 v8, 0xfffffc00, v1
	v_lshlrev_b32_e32 v0, 4, v7
	v_sub_u32_e32 v9, v5, v8
	v_lshl_add_u32 v0, v2, 10, v0
	v_ashrrev_i32_e32 v3, 10, v1
	v_cmp_lt_i32_e64 s[28:29], 15, v9
	v_sub_u32_e32 v51, v5, v0
	v_addc_co_u32_e64 v1, vcc, 0, v3, s[28:29]
	v_sub_u32_e32 v49, v1, v2
	v_cmp_lt_i32_e32 vcc, 15, v51
	s_and_saveexec_b64 s[34:35], vcc
	s_cbranch_execz .LBB2_5662
; %bb.4849:                             ;   in Loop: Header=BB2_3957 Depth=2
	buffer_store_dword v9, off, s[0:3], s33 offset:232 ; 4-byte Folded Spill
	buffer_store_dword v8, off, s[0:3], s33 offset:224 ; 4-byte Folded Spill
	;; [unrolled: 1-line block ×5, first 2 shown]
	v_add_u32_e32 v2, v0, v6
	buffer_load_dword v0, off, s[0:3], s33 offset:140 ; 4-byte Folded Reload
	buffer_load_dword v1, off, s[0:3], s33 offset:144 ; 4-byte Folded Reload
	v_ashrrev_i32_e32 v3, 31, v2
	s_mov_b64 s[36:37], 0
	s_waitcnt vmcnt(1)
	v_add_co_u32_e32 v52, vcc, v2, v0
	s_waitcnt vmcnt(0)
	v_addc_co_u32_e32 v48, vcc, v3, v1, vcc
	v_add_co_u32_e32 v40, vcc, v2, v10
	buffer_store_dword v10, off, s[0:3], s33 offset:196 ; 4-byte Folded Spill
	s_nop 0
	buffer_store_dword v11, off, s[0:3], s33 offset:200 ; 4-byte Folded Spill
	s_trap 2
	ds_read_b64 v[0:1], v0
	buffer_load_dword v5, off, s[0:3], s33 offset:156 ; 4-byte Folded Reload
	buffer_load_dword v6, off, s[0:3], s33 offset:160 ; 4-byte Folded Reload
	s_waitcnt lgkmcnt(0)
	v_readfirstlane_b32 s40, v0
	s_and_b32 s41, s40, 7
	s_flbit_i32_b32 s41, s41
	s_min_u32 s41, s41, 32
	s_and_b32 s42, s40, 0x7f
	s_bfe_u32 s43, s40, 0x40003
	s_sub_i32 s44, s41, 28
	s_sub_i32 s41, 29, s41
	s_cmp_lt_u32 s42, 8
	s_cselect_b32 s44, s44, 0
	s_cselect_b32 s41, s41, s43
	s_lshl_b32 s43, s40, 24
	s_lshl_b32 s41, s41, 23
	s_and_b32 s43, s43, 0x80000000
	s_add_i32 s41, s41, 0x3c000000
	s_or_b32 s41, s43, s41
	s_cmpk_lg_i32 s42, 0x7f
	v_addc_co_u32_e32 v41, vcc, v3, v11, vcc
	s_waitcnt vmcnt(1)
	v_add_co_u32_e32 v42, vcc, v2, v5
	s_waitcnt vmcnt(0)
	v_addc_co_u32_e32 v43, vcc, v3, v6, vcc
	v_add_co_u32_e32 v44, vcc, v0, v2
	v_addc_co_u32_e32 v45, vcc, v1, v3, vcc
	v_lshlrev_b64 v[0:1], s44, v[0:1]
	s_cselect_b64 vcc, -1, 0
	v_lshlrev_b32_e32 v0, 20, v0
	v_and_b32_e32 v0, 0x700000, v0
	v_or_b32_e32 v0, s41, v0
	v_cndmask_b32_e32 v0, v4, v0, vcc
	s_and_b32 s44, s40, 0xff
.LBB2_4850:                             ;   Parent Loop BB2_47 Depth=1
                                        ;     Parent Loop BB2_3957 Depth=2
                                        ; =>    This Loop Header: Depth=3
                                        ;         Child Loop BB2_5639 Depth 4
	s_cmpk_lt_i32 s44, 0x80
	s_cbranch_scc1 .LBB2_4854
; %bb.4851:                             ;   in Loop: Header=BB2_4850 Depth=3
	s_and_b32 s42, 0xffff, s44
	s_mov_b64 s[40:41], -1
	s_cmpk_eq_i32 s42, 0x80
	s_cbranch_scc0 .LBB2_4853
; %bb.4852:                             ;   in Loop: Header=BB2_4850 Depth=3
	s_mov_b64 s[40:41], 0
.LBB2_4853:                             ;   in Loop: Header=BB2_4850 Depth=3
	s_brev_b32 s45, 1
	s_branch .LBB2_4856
.LBB2_4854:                             ;   in Loop: Header=BB2_4850 Depth=3
	s_mov_b64 s[40:41], 0
	s_brev_b32 s45, 1
	s_cbranch_execz .LBB2_4856
; %bb.4855:                             ;   in Loop: Header=BB2_4850 Depth=3
	s_and_b32 s40, 0xffff, s44
	s_cmp_lg_u32 s40, 0
	s_mov_b32 s45, 0
	s_cselect_b64 s[40:41], -1, 0
.LBB2_4856:                             ;   in Loop: Header=BB2_4850 Depth=3
	s_andn2_b64 vcc, exec, s[40:41]
	v_mov_b32_e32 v2, s45
	s_cbranch_vccnz .LBB2_4858
; %bb.4857:                             ;   in Loop: Header=BB2_4850 Depth=3
	v_mov_b32_e32 v2, v0
.LBB2_4858:                             ;   in Loop: Header=BB2_4850 Depth=3
	global_load_dwordx4 v[8:11], v[42:43], off glc slc
	v_mov_b32_e32 v1, 0
	s_waitcnt vmcnt(0)
	v_cmp_ne_u16_sdwa s[42:43], v8, v29 src0_sel:BYTE_0 src1_sel:DWORD
	s_and_saveexec_b64 s[40:41], s[42:43]
	s_cbranch_execz .LBB2_4864
; %bb.4859:                             ;   in Loop: Header=BB2_4850 Depth=3
	v_cmp_ne_u16_sdwa vcc, v8, s87 src0_sel:BYTE_0 src1_sel:DWORD
	v_bfrev_b32_e32 v1, 1
	s_and_saveexec_b64 s[42:43], vcc
	s_cbranch_execz .LBB2_4863
; %bb.4860:                             ;   in Loop: Header=BB2_4850 Depth=3
	v_and_b32_e32 v3, 0x7f, v8
	v_cmp_ne_u32_e32 vcc, s85, v3
	v_mov_b32_e32 v1, 0x7f800001
	s_and_saveexec_b64 s[38:39], vcc
	s_cbranch_execz .LBB2_4862
; %bb.4861:                             ;   in Loop: Header=BB2_4850 Depth=3
	v_and_b32_e32 v1, 7, v8
	v_ffbh_u32_e32 v1, v1
	v_min_u32_e32 v1, 32, v1
	v_lshrrev_b32_e32 v5, 3, v3
	v_cmp_gt_u32_e32 vcc, 8, v3
	v_subrev_u32_e32 v3, 28, v1
	v_sub_u32_e32 v1, 29, v1
	v_cndmask_b32_e32 v3, 0, v3, vcc
	v_cndmask_b32_e32 v1, v5, v1, vcc
	v_lshlrev_b64 v[5:6], v3, v[8:9]
	v_lshl_add_u32 v1, v1, 23, v17
	v_lshlrev_b32_e32 v3, 20, v5
	v_lshlrev_b32_e32 v5, 24, v8
	v_and_b32_e32 v3, 0x700000, v3
	v_and_b32_e32 v5, 0x80000000, v5
	v_or3_b32 v1, v5, v1, v3
.LBB2_4862:                             ;   in Loop: Header=BB2_4850 Depth=3
	s_or_b64 exec, exec, s[38:39]
.LBB2_4863:                             ;   in Loop: Header=BB2_4850 Depth=3
	s_or_b64 exec, exec, s[42:43]
.LBB2_4864:                             ;   in Loop: Header=BB2_4850 Depth=3
	s_or_b64 exec, exec, s[40:41]
	v_mul_f32_e32 v5, v2, v1
	v_and_b32_e32 v28, 0x7f800000, v5
	v_cmp_ne_u64_e32 vcc, s[76:77], v[28:29]
                                        ; implicit-def: $vgpr1
	s_and_saveexec_b64 s[40:41], vcc
	s_xor_b64 s[42:43], exec, s[40:41]
	s_cbranch_execz .LBB2_4878
; %bb.4865:                             ;   in Loop: Header=BB2_4850 Depth=3
	v_and_b32_e32 v28, 0x7fffffff, v5
	v_cmp_gt_u64_e32 vcc, s[78:79], v[28:29]
	v_and_b32_sdwa v3, v5, s87 dst_sel:DWORD dst_unused:UNUSED_PAD src0_sel:BYTE_3 src1_sel:DWORD
                                        ; implicit-def: $vgpr1
	s_and_saveexec_b64 s[40:41], vcc
	s_xor_b64 s[38:39], exec, s[40:41]
	s_cbranch_execz .LBB2_4875
; %bb.4866:                             ;   in Loop: Header=BB2_4850 Depth=3
	v_mov_b32_e32 v1, 0
	v_cmp_ne_u32_e32 vcc, 0, v5
	s_and_saveexec_b64 s[48:49], vcc
	s_cbranch_execz .LBB2_4874
; %bb.4867:                             ;   in Loop: Header=BB2_4850 Depth=3
	v_bfe_u32 v1, v5, 23, 8
	v_and_b32_e32 v6, 0x7fffff, v5
	v_cmp_gt_u32_e64 s[40:41], s96, v1
	v_sub_u32_e32 v5, 0x79, v1
	v_cmp_eq_u32_e32 vcc, 0, v1
	v_cndmask_b32_e64 v5, 0, v5, s[40:41]
	v_or_b32_e32 v7, 0x800000, v6
	v_cndmask_b32_e32 v5, v5, v36, vcc
	v_cndmask_b32_e32 v28, v7, v6, vcc
	v_add_u32_e32 v6, 20, v5
	v_lshlrev_b64 v[6:7], v6, -1
	v_add_u32_e32 v16, 19, v5
	v_lshlrev_b64 v[18:19], v16, 1
	v_lshrrev_b64 v[46:47], v5, v[28:29]
	v_bfi_b32 v7, v7, 0, 0
	v_bfi_b32 v6, v6, 0, v28
	v_cmp_eq_u64_e64 s[40:41], v[6:7], v[18:19]
	v_mov_b32_e32 v56, v47
	v_mov_b32_e32 v55, v46
	s_and_saveexec_b64 s[50:51], s[40:41]
; %bb.4868:                             ;   in Loop: Header=BB2_4850 Depth=3
	v_bfe_u32 v6, v46, 20, 1
	v_add_co_u32_e64 v6, s[40:41], v46, v6
	v_add_co_u32_e64 v55, s[40:41], -1, v6
; %bb.4869:                             ;   in Loop: Header=BB2_4850 Depth=3
	s_or_b64 exec, exec, s[50:51]
	v_add_u32_e32 v1, 0xffffff81, v1
	v_cndmask_b32_e32 v1, v1, v37, vcc
	v_lshrrev_b32_e32 v6, 23, v46
	v_add3_u32 v6, v5, v1, v6
	v_add_u32_e32 v5, 6, v6
	v_and_b32_e32 v1, 0xfffff, v55
	v_add_u32_e32 v28, v1, v46
	v_cmp_ne_u32_e32 vcc, 0, v5
                                        ; implicit-def: $vgpr46_vgpr47
                                        ; implicit-def: $vgpr1
	s_and_saveexec_b64 s[40:41], vcc
	s_xor_b64 s[40:41], exec, s[40:41]
; %bb.4870:                             ;   in Loop: Header=BB2_4850 Depth=3
	v_cmp_lt_u64_e32 vcc, s[88:89], v[28:29]
	v_add_u32_e32 v1, 7, v6
	v_cndmask_b32_e32 v1, v5, v1, vcc
	v_cndmask_b32_e64 v5, 0, 1, vcc
	v_lshrrev_b64 v[46:47], v5, v[28:29]
; %bb.4871:                             ;   in Loop: Header=BB2_4850 Depth=3
	s_andn2_saveexec_b64 s[40:41], s[40:41]
; %bb.4872:                             ;   in Loop: Header=BB2_4850 Depth=3
	v_mov_b32_e32 v47, v29
	v_mov_b32_e32 v46, v28
	v_bfe_u32 v1, v28, 23, 1
; %bb.4873:                             ;   in Loop: Header=BB2_4850 Depth=3
	s_or_b64 exec, exec, s[40:41]
	v_lshrrev_b64 v[5:6], 20, v[46:47]
	v_cmp_gt_i32_e32 vcc, 16, v1
	v_cndmask_b32_e32 v6, 0, v6, vcc
	v_cndmask_b32_e32 v5, 7, v5, vcc
	v_cmp_eq_u32_e32 vcc, 0, v1
	v_min_i32_e32 v1, 15, v1
	v_cmp_eq_u64_e64 s[40:41], 0, v[5:6]
	v_lshlrev_b32_e32 v1, 3, v1
	v_and_b32_e32 v1, 0xf8, v1
	v_and_or_b32 v1, v5, 7, v1
	s_and_b64 s[40:41], vcc, s[40:41]
	v_cndmask_b32_e64 v1, v1, 0, s[40:41]
	v_or_b32_e32 v1, v1, v3
.LBB2_4874:                             ;   in Loop: Header=BB2_4850 Depth=3
	s_or_b64 exec, exec, s[48:49]
                                        ; implicit-def: $vgpr3
.LBB2_4875:                             ;   in Loop: Header=BB2_4850 Depth=3
	s_andn2_saveexec_b64 s[40:41], s[38:39]
; %bb.4876:                             ;   in Loop: Header=BB2_4850 Depth=3
	v_or_b32_e32 v1, 0x7e, v3
; %bb.4877:                             ;   in Loop: Header=BB2_4850 Depth=3
	s_or_b64 exec, exec, s[40:41]
                                        ; implicit-def: $vgpr5
.LBB2_4878:                             ;   in Loop: Header=BB2_4850 Depth=3
	s_andn2_saveexec_b64 s[40:41], s[42:43]
; %bb.4879:                             ;   in Loop: Header=BB2_4850 Depth=3
	v_or_b32_sdwa v1, v5, s85 dst_sel:DWORD dst_unused:UNUSED_PAD src0_sel:BYTE_3 src1_sel:DWORD
; %bb.4880:                             ;   in Loop: Header=BB2_4850 Depth=3
	s_or_b64 exec, exec, s[40:41]
	v_lshrrev_b16_e32 v28, 8, v8
	v_cmp_ne_u16_e32 vcc, 0, v28
	v_mov_b32_e32 v3, 0
	s_and_saveexec_b64 s[40:41], vcc
	s_cbranch_execz .LBB2_4886
; %bb.4881:                             ;   in Loop: Header=BB2_4850 Depth=3
	v_cmp_ne_u16_e32 vcc, s87, v28
	v_bfrev_b32_e32 v3, 1
	s_and_saveexec_b64 s[42:43], vcc
	s_cbranch_execz .LBB2_4885
; %bb.4882:                             ;   in Loop: Header=BB2_4850 Depth=3
	v_and_b32_e32 v5, 0x7f, v28
	v_cmp_ne_u32_e32 vcc, s85, v5
	v_mov_b32_e32 v3, 0x7f800001
	s_and_saveexec_b64 s[38:39], vcc
	s_cbranch_execz .LBB2_4884
; %bb.4883:                             ;   in Loop: Header=BB2_4850 Depth=3
	v_and_b32_e32 v3, 7, v28
	v_lshrrev_b32_e32 v7, 3, v5
	v_cmp_gt_u32_e32 vcc, 8, v5
	v_ffbh_u32_e32 v5, v3
	v_min_u32_e32 v16, 32, v5
	v_subrev_u32_e32 v5, 28, v16
	v_lshlrev_b64 v[5:6], v5, v[28:29]
	v_sub_u32_e32 v6, 29, v16
	v_and_b32_e32 v5, 7, v5
	v_cndmask_b32_e32 v6, v7, v6, vcc
	v_cndmask_b32_e32 v3, v3, v5, vcc
	v_lshlrev_b32_e32 v5, 16, v8
	v_lshlrev_b32_e32 v3, 20, v3
	v_and_b32_e32 v5, 0x80000000, v5
	v_lshl_add_u32 v6, v6, 23, v17
	v_or3_b32 v3, v5, v6, v3
.LBB2_4884:                             ;   in Loop: Header=BB2_4850 Depth=3
	s_or_b64 exec, exec, s[38:39]
.LBB2_4885:                             ;   in Loop: Header=BB2_4850 Depth=3
	s_or_b64 exec, exec, s[42:43]
.LBB2_4886:                             ;   in Loop: Header=BB2_4850 Depth=3
	s_or_b64 exec, exec, s[40:41]
	v_mul_f32_e32 v5, v2, v3
	v_and_b32_e32 v28, 0x7f800000, v5
	v_cmp_ne_u64_e32 vcc, s[76:77], v[28:29]
                                        ; implicit-def: $vgpr6
	s_and_saveexec_b64 s[40:41], vcc
	s_xor_b64 s[42:43], exec, s[40:41]
	s_cbranch_execz .LBB2_4900
; %bb.4887:                             ;   in Loop: Header=BB2_4850 Depth=3
	v_and_b32_e32 v28, 0x7fffffff, v5
	v_cmp_gt_u64_e32 vcc, s[78:79], v[28:29]
	v_and_b32_sdwa v3, v5, s87 dst_sel:DWORD dst_unused:UNUSED_PAD src0_sel:BYTE_3 src1_sel:DWORD
                                        ; implicit-def: $vgpr6
	s_and_saveexec_b64 s[40:41], vcc
	s_xor_b64 s[38:39], exec, s[40:41]
	s_cbranch_execz .LBB2_4897
; %bb.4888:                             ;   in Loop: Header=BB2_4850 Depth=3
	v_mov_b32_e32 v6, 0
	v_cmp_ne_u32_e32 vcc, 0, v5
	s_and_saveexec_b64 s[48:49], vcc
	s_cbranch_execz .LBB2_4896
; %bb.4889:                             ;   in Loop: Header=BB2_4850 Depth=3
	v_and_b32_e32 v7, 0x7fffff, v5
	v_bfe_u32 v5, v5, 23, 8
	v_cmp_gt_u32_e64 s[40:41], s96, v5
	v_sub_u32_e32 v6, 0x79, v5
	v_cmp_eq_u32_e32 vcc, 0, v5
	v_cndmask_b32_e64 v6, 0, v6, s[40:41]
	v_or_b32_e32 v16, 0x800000, v7
	v_cndmask_b32_e32 v6, v6, v36, vcc
	v_cndmask_b32_e32 v28, v16, v7, vcc
	v_add_u32_e32 v7, 20, v6
	v_lshlrev_b64 v[18:19], v7, -1
	v_add_u32_e32 v7, 19, v6
	v_lshlrev_b64 v[22:23], v7, 1
	v_lshrrev_b64 v[46:47], v6, v[28:29]
	v_bfi_b32 v19, v19, 0, 0
	v_bfi_b32 v18, v18, 0, v28
	v_cmp_eq_u64_e64 s[40:41], v[18:19], v[22:23]
	v_mov_b32_e32 v56, v47
	v_mov_b32_e32 v55, v46
	s_and_saveexec_b64 s[50:51], s[40:41]
; %bb.4890:                             ;   in Loop: Header=BB2_4850 Depth=3
	v_bfe_u32 v7, v46, 20, 1
	v_add_co_u32_e64 v7, s[40:41], v46, v7
	v_add_co_u32_e64 v55, s[40:41], -1, v7
; %bb.4891:                             ;   in Loop: Header=BB2_4850 Depth=3
	s_or_b64 exec, exec, s[50:51]
	v_add_u32_e32 v5, 0xffffff81, v5
	v_cndmask_b32_e32 v5, v5, v37, vcc
	v_lshrrev_b32_e32 v7, 23, v46
	v_add3_u32 v7, v6, v5, v7
	v_add_u32_e32 v6, 6, v7
	v_and_b32_e32 v5, 0xfffff, v55
	v_add_u32_e32 v28, v5, v46
	v_cmp_ne_u32_e32 vcc, 0, v6
                                        ; implicit-def: $vgpr46_vgpr47
                                        ; implicit-def: $vgpr5
	s_and_saveexec_b64 s[40:41], vcc
	s_xor_b64 s[40:41], exec, s[40:41]
; %bb.4892:                             ;   in Loop: Header=BB2_4850 Depth=3
	v_cmp_lt_u64_e32 vcc, s[88:89], v[28:29]
	v_add_u32_e32 v5, 7, v7
	v_cndmask_b32_e32 v5, v6, v5, vcc
	v_cndmask_b32_e64 v6, 0, 1, vcc
	v_lshrrev_b64 v[46:47], v6, v[28:29]
; %bb.4893:                             ;   in Loop: Header=BB2_4850 Depth=3
	s_andn2_saveexec_b64 s[40:41], s[40:41]
; %bb.4894:                             ;   in Loop: Header=BB2_4850 Depth=3
	v_mov_b32_e32 v47, v29
	v_mov_b32_e32 v46, v28
	v_bfe_u32 v5, v28, 23, 1
; %bb.4895:                             ;   in Loop: Header=BB2_4850 Depth=3
	s_or_b64 exec, exec, s[40:41]
	v_lshrrev_b64 v[6:7], 20, v[46:47]
	v_cmp_gt_i32_e32 vcc, 16, v5
	v_cndmask_b32_e32 v7, 0, v7, vcc
	v_cndmask_b32_e32 v6, 7, v6, vcc
	v_cmp_eq_u32_e32 vcc, 0, v5
	v_min_i32_e32 v5, 15, v5
	v_cmp_eq_u64_e64 s[40:41], 0, v[6:7]
	v_lshlrev_b32_e32 v5, 3, v5
	v_and_b32_e32 v5, 0xf8, v5
	v_and_or_b32 v5, v6, 7, v5
	s_and_b64 s[40:41], vcc, s[40:41]
	v_cndmask_b32_e64 v5, v5, 0, s[40:41]
	v_or_b32_e32 v6, v5, v3
.LBB2_4896:                             ;   in Loop: Header=BB2_4850 Depth=3
	s_or_b64 exec, exec, s[48:49]
                                        ; implicit-def: $vgpr3
.LBB2_4897:                             ;   in Loop: Header=BB2_4850 Depth=3
	s_andn2_saveexec_b64 s[40:41], s[38:39]
; %bb.4898:                             ;   in Loop: Header=BB2_4850 Depth=3
	v_or_b32_e32 v6, 0x7e, v3
; %bb.4899:                             ;   in Loop: Header=BB2_4850 Depth=3
	s_or_b64 exec, exec, s[40:41]
                                        ; implicit-def: $vgpr5
.LBB2_4900:                             ;   in Loop: Header=BB2_4850 Depth=3
	s_andn2_saveexec_b64 s[40:41], s[42:43]
; %bb.4901:                             ;   in Loop: Header=BB2_4850 Depth=3
	v_or_b32_sdwa v6, v5, s85 dst_sel:DWORD dst_unused:UNUSED_PAD src0_sel:BYTE_3 src1_sel:DWORD
; %bb.4902:                             ;   in Loop: Header=BB2_4850 Depth=3
	s_or_b64 exec, exec, s[40:41]
	v_lshrrev_b32_e32 v28, 16, v8
	v_cmp_ne_u16_sdwa s[42:43], v28, v29 src0_sel:BYTE_0 src1_sel:DWORD
	v_mov_b32_e32 v3, 0
	s_and_saveexec_b64 s[40:41], s[42:43]
	s_cbranch_execz .LBB2_4908
; %bb.4903:                             ;   in Loop: Header=BB2_4850 Depth=3
	v_cmp_ne_u16_sdwa vcc, v28, s87 src0_sel:BYTE_0 src1_sel:DWORD
	v_bfrev_b32_e32 v3, 1
	s_and_saveexec_b64 s[42:43], vcc
	s_cbranch_execz .LBB2_4907
; %bb.4904:                             ;   in Loop: Header=BB2_4850 Depth=3
	v_bfe_u32 v5, v8, 16, 7
	v_cmp_ne_u32_e32 vcc, s85, v5
	v_mov_b32_e32 v3, 0x7f800001
	s_and_saveexec_b64 s[38:39], vcc
	s_cbranch_execz .LBB2_4906
; %bb.4905:                             ;   in Loop: Header=BB2_4850 Depth=3
	v_and_b32_e32 v3, 7, v28
	v_lshrrev_b32_e32 v7, 3, v5
	v_cmp_gt_u32_e32 vcc, 8, v5
	v_ffbh_u32_e32 v5, v3
	v_min_u32_e32 v5, 32, v5
	v_subrev_u32_e32 v16, 28, v5
	v_lshlrev_b64 v[18:19], v16, v[28:29]
	v_sub_u32_e32 v5, 29, v5
	v_and_b32_e32 v16, 7, v18
	v_cndmask_b32_e32 v5, v7, v5, vcc
	v_cndmask_b32_e32 v3, v3, v16, vcc
	v_lshlrev_b32_e32 v7, 24, v28
	v_lshlrev_b32_e32 v3, 20, v3
	v_and_b32_e32 v7, 0x80000000, v7
	v_lshl_add_u32 v5, v5, 23, v17
	v_or3_b32 v3, v7, v5, v3
.LBB2_4906:                             ;   in Loop: Header=BB2_4850 Depth=3
	s_or_b64 exec, exec, s[38:39]
.LBB2_4907:                             ;   in Loop: Header=BB2_4850 Depth=3
	s_or_b64 exec, exec, s[42:43]
.LBB2_4908:                             ;   in Loop: Header=BB2_4850 Depth=3
	s_or_b64 exec, exec, s[40:41]
	v_mul_f32_e32 v5, v2, v3
	v_and_b32_e32 v28, 0x7f800000, v5
	v_cmp_ne_u64_e32 vcc, s[76:77], v[28:29]
                                        ; implicit-def: $vgpr25
	s_and_saveexec_b64 s[40:41], vcc
	s_xor_b64 s[42:43], exec, s[40:41]
	s_cbranch_execz .LBB2_4922
; %bb.4909:                             ;   in Loop: Header=BB2_4850 Depth=3
	v_and_b32_e32 v28, 0x7fffffff, v5
	v_cmp_gt_u64_e32 vcc, s[78:79], v[28:29]
	v_and_b32_sdwa v3, v5, s87 dst_sel:DWORD dst_unused:UNUSED_PAD src0_sel:BYTE_3 src1_sel:DWORD
                                        ; implicit-def: $vgpr25
	s_and_saveexec_b64 s[40:41], vcc
	s_xor_b64 s[38:39], exec, s[40:41]
	s_cbranch_execz .LBB2_4919
; %bb.4910:                             ;   in Loop: Header=BB2_4850 Depth=3
	v_mov_b32_e32 v25, 0
	v_cmp_ne_u32_e32 vcc, 0, v5
	s_and_saveexec_b64 s[48:49], vcc
	s_cbranch_execz .LBB2_4918
; %bb.4911:                             ;   in Loop: Header=BB2_4850 Depth=3
	v_and_b32_e32 v16, 0x7fffff, v5
	v_bfe_u32 v5, v5, 23, 8
	v_cmp_gt_u32_e64 s[40:41], s96, v5
	v_sub_u32_e32 v7, 0x79, v5
	v_cmp_eq_u32_e32 vcc, 0, v5
	v_cndmask_b32_e64 v7, 0, v7, s[40:41]
	v_or_b32_e32 v18, 0x800000, v16
	v_cndmask_b32_e32 v7, v7, v36, vcc
	v_cndmask_b32_e32 v28, v18, v16, vcc
	v_add_u32_e32 v16, 20, v7
	v_lshlrev_b64 v[18:19], v16, -1
	v_add_u32_e32 v16, 19, v7
	v_lshlrev_b64 v[22:23], v16, 1
	v_lshrrev_b64 v[46:47], v7, v[28:29]
	v_bfi_b32 v19, v19, 0, 0
	v_bfi_b32 v18, v18, 0, v28
	v_cmp_eq_u64_e64 s[40:41], v[18:19], v[22:23]
	v_mov_b32_e32 v56, v47
	v_mov_b32_e32 v55, v46
	s_and_saveexec_b64 s[50:51], s[40:41]
; %bb.4912:                             ;   in Loop: Header=BB2_4850 Depth=3
	v_bfe_u32 v16, v46, 20, 1
	v_add_co_u32_e64 v16, s[40:41], v46, v16
	v_add_co_u32_e64 v55, s[40:41], -1, v16
; %bb.4913:                             ;   in Loop: Header=BB2_4850 Depth=3
	s_or_b64 exec, exec, s[50:51]
	v_add_u32_e32 v5, 0xffffff81, v5
	v_cndmask_b32_e32 v5, v5, v37, vcc
	v_lshrrev_b32_e32 v16, 23, v46
	v_add3_u32 v16, v7, v5, v16
	v_add_u32_e32 v7, 6, v16
	v_and_b32_e32 v5, 0xfffff, v55
	v_add_u32_e32 v28, v5, v46
	v_cmp_ne_u32_e32 vcc, 0, v7
                                        ; implicit-def: $vgpr46_vgpr47
                                        ; implicit-def: $vgpr5
	s_and_saveexec_b64 s[40:41], vcc
	s_xor_b64 s[40:41], exec, s[40:41]
; %bb.4914:                             ;   in Loop: Header=BB2_4850 Depth=3
	v_cmp_lt_u64_e32 vcc, s[88:89], v[28:29]
	v_add_u32_e32 v5, 7, v16
	v_cndmask_b32_e32 v5, v7, v5, vcc
	v_cndmask_b32_e64 v7, 0, 1, vcc
	v_lshrrev_b64 v[46:47], v7, v[28:29]
; %bb.4915:                             ;   in Loop: Header=BB2_4850 Depth=3
	s_andn2_saveexec_b64 s[40:41], s[40:41]
; %bb.4916:                             ;   in Loop: Header=BB2_4850 Depth=3
	v_mov_b32_e32 v47, v29
	v_mov_b32_e32 v46, v28
	v_bfe_u32 v5, v28, 23, 1
; %bb.4917:                             ;   in Loop: Header=BB2_4850 Depth=3
	s_or_b64 exec, exec, s[40:41]
	v_lshrrev_b64 v[18:19], 20, v[46:47]
	v_cmp_gt_i32_e32 vcc, 16, v5
	v_cndmask_b32_e32 v19, 0, v19, vcc
	v_cndmask_b32_e32 v18, 7, v18, vcc
	v_cmp_eq_u32_e32 vcc, 0, v5
	v_min_i32_e32 v5, 15, v5
	v_cmp_eq_u64_e64 s[40:41], 0, v[18:19]
	v_lshlrev_b32_e32 v5, 3, v5
	v_and_b32_e32 v5, 0xf8, v5
	v_and_or_b32 v5, v18, 7, v5
	s_and_b64 s[40:41], vcc, s[40:41]
	v_cndmask_b32_e64 v5, v5, 0, s[40:41]
	v_or_b32_e32 v25, v5, v3
.LBB2_4918:                             ;   in Loop: Header=BB2_4850 Depth=3
	s_or_b64 exec, exec, s[48:49]
                                        ; implicit-def: $vgpr3
.LBB2_4919:                             ;   in Loop: Header=BB2_4850 Depth=3
	s_andn2_saveexec_b64 s[40:41], s[38:39]
; %bb.4920:                             ;   in Loop: Header=BB2_4850 Depth=3
	v_or_b32_e32 v25, 0x7e, v3
; %bb.4921:                             ;   in Loop: Header=BB2_4850 Depth=3
	s_or_b64 exec, exec, s[40:41]
                                        ; implicit-def: $vgpr5
.LBB2_4922:                             ;   in Loop: Header=BB2_4850 Depth=3
	s_andn2_saveexec_b64 s[40:41], s[42:43]
; %bb.4923:                             ;   in Loop: Header=BB2_4850 Depth=3
	v_or_b32_sdwa v25, v5, s85 dst_sel:DWORD dst_unused:UNUSED_PAD src0_sel:BYTE_3 src1_sel:DWORD
; %bb.4924:                             ;   in Loop: Header=BB2_4850 Depth=3
	s_or_b64 exec, exec, s[40:41]
	v_cmp_lt_u32_e32 vcc, s57, v8
	v_mov_b32_e32 v3, 0
	s_and_saveexec_b64 s[40:41], vcc
	s_cbranch_execz .LBB2_4930
; %bb.4925:                             ;   in Loop: Header=BB2_4850 Depth=3
	v_lshrrev_b32_e32 v28, 24, v8
	v_cmp_ne_u32_e32 vcc, s87, v28
	v_bfrev_b32_e32 v3, 1
	s_and_saveexec_b64 s[42:43], vcc
	s_cbranch_execz .LBB2_4929
; %bb.4926:                             ;   in Loop: Header=BB2_4850 Depth=3
	v_bfe_u32 v5, v8, 24, 7
	v_cmp_ne_u32_e32 vcc, s85, v5
	v_mov_b32_e32 v3, 0x7f800001
	s_and_saveexec_b64 s[38:39], vcc
	s_cbranch_execz .LBB2_4928
; %bb.4927:                             ;   in Loop: Header=BB2_4850 Depth=3
	v_and_b32_e32 v3, 7, v28
	v_lshrrev_b32_e32 v7, 3, v5
	v_cmp_gt_u32_e32 vcc, 8, v5
	v_ffbh_u32_e32 v5, v3
	v_min_u32_e32 v5, 32, v5
	v_subrev_u32_e32 v16, 28, v5
	v_lshlrev_b64 v[18:19], v16, v[28:29]
	v_sub_u32_e32 v5, 29, v5
	v_and_b32_e32 v16, 7, v18
	v_cndmask_b32_e32 v5, v7, v5, vcc
	v_cndmask_b32_e32 v3, v3, v16, vcc
	v_lshlrev_b32_e32 v7, 24, v28
	v_lshlrev_b32_e32 v3, 20, v3
	v_and_b32_e32 v7, 0x80000000, v7
	v_lshl_add_u32 v5, v5, 23, v17
	v_or3_b32 v3, v7, v5, v3
.LBB2_4928:                             ;   in Loop: Header=BB2_4850 Depth=3
	s_or_b64 exec, exec, s[38:39]
.LBB2_4929:                             ;   in Loop: Header=BB2_4850 Depth=3
	s_or_b64 exec, exec, s[42:43]
.LBB2_4930:                             ;   in Loop: Header=BB2_4850 Depth=3
	s_or_b64 exec, exec, s[40:41]
	v_mul_f32_e32 v5, v2, v3
	v_and_b32_e32 v28, 0x7f800000, v5
	v_cmp_ne_u64_e32 vcc, s[76:77], v[28:29]
                                        ; implicit-def: $vgpr35
	s_and_saveexec_b64 s[40:41], vcc
	s_xor_b64 s[42:43], exec, s[40:41]
	s_cbranch_execz .LBB2_4944
; %bb.4931:                             ;   in Loop: Header=BB2_4850 Depth=3
	v_and_b32_e32 v28, 0x7fffffff, v5
	v_cmp_gt_u64_e32 vcc, s[78:79], v[28:29]
	v_and_b32_sdwa v3, v5, s87 dst_sel:DWORD dst_unused:UNUSED_PAD src0_sel:BYTE_3 src1_sel:DWORD
                                        ; implicit-def: $vgpr35
	s_and_saveexec_b64 s[40:41], vcc
	s_xor_b64 s[38:39], exec, s[40:41]
	s_cbranch_execz .LBB2_4941
; %bb.4932:                             ;   in Loop: Header=BB2_4850 Depth=3
	v_mov_b32_e32 v35, 0
	v_cmp_ne_u32_e32 vcc, 0, v5
	s_and_saveexec_b64 s[48:49], vcc
	s_cbranch_execz .LBB2_4940
; %bb.4933:                             ;   in Loop: Header=BB2_4850 Depth=3
	v_and_b32_e32 v16, 0x7fffff, v5
	v_bfe_u32 v5, v5, 23, 8
	v_cmp_gt_u32_e64 s[40:41], s96, v5
	v_sub_u32_e32 v7, 0x79, v5
	v_cmp_eq_u32_e32 vcc, 0, v5
	v_cndmask_b32_e64 v7, 0, v7, s[40:41]
	v_or_b32_e32 v18, 0x800000, v16
	v_cndmask_b32_e32 v7, v7, v36, vcc
	v_cndmask_b32_e32 v28, v18, v16, vcc
	v_add_u32_e32 v16, 20, v7
	v_lshlrev_b64 v[18:19], v16, -1
	v_add_u32_e32 v16, 19, v7
	v_lshlrev_b64 v[22:23], v16, 1
	v_lshrrev_b64 v[46:47], v7, v[28:29]
	v_bfi_b32 v19, v19, 0, 0
	v_bfi_b32 v18, v18, 0, v28
	v_cmp_eq_u64_e64 s[40:41], v[18:19], v[22:23]
	v_mov_b32_e32 v56, v47
	v_mov_b32_e32 v55, v46
	s_and_saveexec_b64 s[50:51], s[40:41]
; %bb.4934:                             ;   in Loop: Header=BB2_4850 Depth=3
	v_bfe_u32 v16, v46, 20, 1
	v_add_co_u32_e64 v16, s[40:41], v46, v16
	v_add_co_u32_e64 v55, s[40:41], -1, v16
; %bb.4935:                             ;   in Loop: Header=BB2_4850 Depth=3
	s_or_b64 exec, exec, s[50:51]
	v_add_u32_e32 v5, 0xffffff81, v5
	v_cndmask_b32_e32 v5, v5, v37, vcc
	v_lshrrev_b32_e32 v16, 23, v46
	v_add3_u32 v16, v7, v5, v16
	v_add_u32_e32 v7, 6, v16
	v_and_b32_e32 v5, 0xfffff, v55
	v_add_u32_e32 v28, v5, v46
	v_cmp_ne_u32_e32 vcc, 0, v7
                                        ; implicit-def: $vgpr46_vgpr47
                                        ; implicit-def: $vgpr5
	s_and_saveexec_b64 s[40:41], vcc
	s_xor_b64 s[40:41], exec, s[40:41]
; %bb.4936:                             ;   in Loop: Header=BB2_4850 Depth=3
	v_cmp_lt_u64_e32 vcc, s[88:89], v[28:29]
	v_add_u32_e32 v5, 7, v16
	v_cndmask_b32_e32 v5, v7, v5, vcc
	v_cndmask_b32_e64 v7, 0, 1, vcc
	v_lshrrev_b64 v[46:47], v7, v[28:29]
; %bb.4937:                             ;   in Loop: Header=BB2_4850 Depth=3
	s_andn2_saveexec_b64 s[40:41], s[40:41]
; %bb.4938:                             ;   in Loop: Header=BB2_4850 Depth=3
	v_mov_b32_e32 v47, v29
	v_mov_b32_e32 v46, v28
	v_bfe_u32 v5, v28, 23, 1
; %bb.4939:                             ;   in Loop: Header=BB2_4850 Depth=3
	s_or_b64 exec, exec, s[40:41]
	v_lshrrev_b64 v[18:19], 20, v[46:47]
	v_cmp_gt_i32_e32 vcc, 16, v5
	v_cndmask_b32_e32 v19, 0, v19, vcc
	v_cndmask_b32_e32 v18, 7, v18, vcc
	v_cmp_eq_u32_e32 vcc, 0, v5
	v_min_i32_e32 v5, 15, v5
	v_cmp_eq_u64_e64 s[40:41], 0, v[18:19]
	v_lshlrev_b32_e32 v5, 3, v5
	v_and_b32_e32 v5, 0xf8, v5
	v_and_or_b32 v5, v18, 7, v5
	s_and_b64 s[40:41], vcc, s[40:41]
	v_cndmask_b32_e64 v5, v5, 0, s[40:41]
	v_or_b32_e32 v35, v5, v3
.LBB2_4940:                             ;   in Loop: Header=BB2_4850 Depth=3
	s_or_b64 exec, exec, s[48:49]
                                        ; implicit-def: $vgpr3
.LBB2_4941:                             ;   in Loop: Header=BB2_4850 Depth=3
	s_andn2_saveexec_b64 s[40:41], s[38:39]
; %bb.4942:                             ;   in Loop: Header=BB2_4850 Depth=3
	v_or_b32_e32 v35, 0x7e, v3
; %bb.4943:                             ;   in Loop: Header=BB2_4850 Depth=3
	s_or_b64 exec, exec, s[40:41]
                                        ; implicit-def: $vgpr5
.LBB2_4944:                             ;   in Loop: Header=BB2_4850 Depth=3
	s_andn2_saveexec_b64 s[40:41], s[42:43]
; %bb.4945:                             ;   in Loop: Header=BB2_4850 Depth=3
	v_or_b32_sdwa v35, v5, s85 dst_sel:DWORD dst_unused:UNUSED_PAD src0_sel:BYTE_3 src1_sel:DWORD
; %bb.4946:                             ;   in Loop: Header=BB2_4850 Depth=3
	s_or_b64 exec, exec, s[40:41]
	v_mov_b32_e32 v28, v9
	v_cmp_ne_u16_sdwa s[42:43], v9, v29 src0_sel:BYTE_0 src1_sel:DWORD
	v_mov_b32_e32 v3, 0
	s_and_saveexec_b64 s[40:41], s[42:43]
	s_cbranch_execz .LBB2_4952
; %bb.4947:                             ;   in Loop: Header=BB2_4850 Depth=3
	v_cmp_ne_u16_sdwa vcc, v9, s87 src0_sel:BYTE_0 src1_sel:DWORD
	v_bfrev_b32_e32 v3, 1
	s_and_saveexec_b64 s[42:43], vcc
	s_cbranch_execz .LBB2_4951
; %bb.4948:                             ;   in Loop: Header=BB2_4850 Depth=3
	v_and_b32_e32 v5, 0x7f, v9
	v_cmp_ne_u32_e32 vcc, s85, v5
	v_mov_b32_e32 v3, 0x7f800001
	s_and_saveexec_b64 s[38:39], vcc
	s_cbranch_execz .LBB2_4950
; %bb.4949:                             ;   in Loop: Header=BB2_4850 Depth=3
	v_and_b32_e32 v3, 7, v9
	v_ffbh_u32_e32 v3, v3
	v_min_u32_e32 v3, 32, v3
	v_lshrrev_b32_e32 v7, 3, v5
	v_cmp_gt_u32_e32 vcc, 8, v5
	v_subrev_u32_e32 v5, 28, v3
	v_cndmask_b32_e32 v5, 0, v5, vcc
	v_lshlrev_b64 v[18:19], v5, v[28:29]
	v_sub_u32_e32 v3, 29, v3
	v_cndmask_b32_e32 v3, v7, v3, vcc
	v_lshlrev_b32_e32 v5, 20, v18
	v_lshlrev_b32_e32 v7, 24, v28
	v_and_b32_e32 v5, 0x700000, v5
	v_and_b32_e32 v7, 0x80000000, v7
	v_lshl_add_u32 v3, v3, 23, v17
	v_or3_b32 v3, v7, v3, v5
.LBB2_4950:                             ;   in Loop: Header=BB2_4850 Depth=3
	s_or_b64 exec, exec, s[38:39]
.LBB2_4951:                             ;   in Loop: Header=BB2_4850 Depth=3
	s_or_b64 exec, exec, s[42:43]
.LBB2_4952:                             ;   in Loop: Header=BB2_4850 Depth=3
	s_or_b64 exec, exec, s[40:41]
	v_mul_f32_e32 v5, v2, v3
	v_and_b32_e32 v18, 0x7f800000, v5
	v_mov_b32_e32 v19, v29
	v_cmp_ne_u64_e32 vcc, s[76:77], v[18:19]
                                        ; implicit-def: $vgpr19
	s_and_saveexec_b64 s[40:41], vcc
	s_xor_b64 s[42:43], exec, s[40:41]
	s_cbranch_execz .LBB2_4966
; %bb.4953:                             ;   in Loop: Header=BB2_4850 Depth=3
	v_and_b32_e32 v18, 0x7fffffff, v5
	v_mov_b32_e32 v19, v29
	v_cmp_gt_u64_e32 vcc, s[78:79], v[18:19]
	v_and_b32_sdwa v3, v5, s87 dst_sel:DWORD dst_unused:UNUSED_PAD src0_sel:BYTE_3 src1_sel:DWORD
                                        ; implicit-def: $vgpr19
	s_and_saveexec_b64 s[40:41], vcc
	s_xor_b64 s[38:39], exec, s[40:41]
	s_cbranch_execz .LBB2_4963
; %bb.4954:                             ;   in Loop: Header=BB2_4850 Depth=3
	v_mov_b32_e32 v19, 0
	v_cmp_ne_u32_e32 vcc, 0, v5
	s_and_saveexec_b64 s[48:49], vcc
	s_cbranch_execz .LBB2_4962
; %bb.4955:                             ;   in Loop: Header=BB2_4850 Depth=3
	v_and_b32_e32 v16, 0x7fffff, v5
	v_bfe_u32 v5, v5, 23, 8
	v_cmp_gt_u32_e64 s[40:41], s96, v5
	v_sub_u32_e32 v7, 0x79, v5
	v_cmp_eq_u32_e32 vcc, 0, v5
	v_cndmask_b32_e64 v7, 0, v7, s[40:41]
	v_or_b32_e32 v18, 0x800000, v16
	v_cndmask_b32_e32 v7, v7, v36, vcc
	v_cndmask_b32_e32 v18, v18, v16, vcc
	v_add_u32_e32 v16, 20, v7
	v_mov_b32_e32 v19, v29
	v_lshlrev_b64 v[22:23], v16, -1
	v_add_u32_e32 v16, 19, v7
	v_lshlrev_b64 v[30:31], v16, 1
	v_lshrrev_b64 v[46:47], v7, v[18:19]
	v_bfi_b32 v23, v23, 0, 0
	v_bfi_b32 v22, v22, 0, v18
	v_cmp_eq_u64_e64 s[40:41], v[22:23], v[30:31]
	v_mov_b32_e32 v56, v47
	v_mov_b32_e32 v55, v46
	s_and_saveexec_b64 s[50:51], s[40:41]
; %bb.4956:                             ;   in Loop: Header=BB2_4850 Depth=3
	v_bfe_u32 v16, v46, 20, 1
	v_add_co_u32_e64 v16, s[40:41], v46, v16
	v_add_co_u32_e64 v55, s[40:41], -1, v16
; %bb.4957:                             ;   in Loop: Header=BB2_4850 Depth=3
	s_or_b64 exec, exec, s[50:51]
	v_add_u32_e32 v5, 0xffffff81, v5
	v_cndmask_b32_e32 v5, v5, v37, vcc
	v_lshrrev_b32_e32 v16, 23, v46
	v_add3_u32 v16, v7, v5, v16
	v_add_u32_e32 v7, 6, v16
	v_and_b32_e32 v5, 0xfffff, v55
	v_add_u32_e32 v46, v5, v46
	v_mov_b32_e32 v47, v29
	v_cmp_ne_u32_e32 vcc, 0, v7
                                        ; implicit-def: $vgpr5
	s_and_saveexec_b64 s[40:41], vcc
	s_xor_b64 s[40:41], exec, s[40:41]
; %bb.4958:                             ;   in Loop: Header=BB2_4850 Depth=3
	v_cmp_lt_u64_e32 vcc, s[88:89], v[46:47]
	v_add_u32_e32 v5, 7, v16
	v_cndmask_b32_e32 v5, v7, v5, vcc
	v_cndmask_b32_e64 v7, 0, 1, vcc
	v_lshrrev_b64 v[46:47], v7, v[46:47]
; %bb.4959:                             ;   in Loop: Header=BB2_4850 Depth=3
	s_andn2_saveexec_b64 s[40:41], s[40:41]
; %bb.4960:                             ;   in Loop: Header=BB2_4850 Depth=3
	v_bfe_u32 v5, v46, 23, 1
; %bb.4961:                             ;   in Loop: Header=BB2_4850 Depth=3
	s_or_b64 exec, exec, s[40:41]
	v_lshrrev_b64 v[18:19], 20, v[46:47]
	v_cmp_gt_i32_e32 vcc, 16, v5
	v_cndmask_b32_e32 v19, 0, v19, vcc
	v_cndmask_b32_e32 v18, 7, v18, vcc
	v_cmp_eq_u32_e32 vcc, 0, v5
	v_min_i32_e32 v5, 15, v5
	v_cmp_eq_u64_e64 s[40:41], 0, v[18:19]
	v_lshlrev_b32_e32 v5, 3, v5
	v_and_b32_e32 v5, 0xf8, v5
	v_and_or_b32 v5, v18, 7, v5
	s_and_b64 s[40:41], vcc, s[40:41]
	v_cndmask_b32_e64 v5, v5, 0, s[40:41]
	v_or_b32_e32 v19, v5, v3
.LBB2_4962:                             ;   in Loop: Header=BB2_4850 Depth=3
	s_or_b64 exec, exec, s[48:49]
                                        ; implicit-def: $vgpr3
.LBB2_4963:                             ;   in Loop: Header=BB2_4850 Depth=3
	s_andn2_saveexec_b64 s[40:41], s[38:39]
; %bb.4964:                             ;   in Loop: Header=BB2_4850 Depth=3
	v_or_b32_e32 v19, 0x7e, v3
; %bb.4965:                             ;   in Loop: Header=BB2_4850 Depth=3
	s_or_b64 exec, exec, s[40:41]
                                        ; implicit-def: $vgpr5
.LBB2_4966:                             ;   in Loop: Header=BB2_4850 Depth=3
	s_andn2_saveexec_b64 s[40:41], s[42:43]
; %bb.4967:                             ;   in Loop: Header=BB2_4850 Depth=3
	v_or_b32_sdwa v19, v5, s85 dst_sel:DWORD dst_unused:UNUSED_PAD src0_sel:BYTE_3 src1_sel:DWORD
; %bb.4968:                             ;   in Loop: Header=BB2_4850 Depth=3
	s_or_b64 exec, exec, s[40:41]
	v_lshrrev_b16_e32 v30, 8, v28
	v_cmp_ne_u16_e32 vcc, 0, v30
	v_mov_b32_e32 v3, 0
	s_and_saveexec_b64 s[40:41], vcc
	s_cbranch_execz .LBB2_4974
; %bb.4969:                             ;   in Loop: Header=BB2_4850 Depth=3
	v_cmp_ne_u16_e32 vcc, s87, v30
	v_bfrev_b32_e32 v3, 1
	s_and_saveexec_b64 s[42:43], vcc
	s_cbranch_execz .LBB2_4973
; %bb.4970:                             ;   in Loop: Header=BB2_4850 Depth=3
	v_and_b32_e32 v5, 0x7f, v30
	v_cmp_ne_u32_e32 vcc, s85, v5
	v_mov_b32_e32 v3, 0x7f800001
	s_and_saveexec_b64 s[38:39], vcc
	s_cbranch_execz .LBB2_4972
; %bb.4971:                             ;   in Loop: Header=BB2_4850 Depth=3
	v_and_b32_e32 v3, 7, v30
	v_lshrrev_b32_e32 v7, 3, v5
	v_cmp_gt_u32_e32 vcc, 8, v5
	v_ffbh_u32_e32 v5, v3
	v_min_u32_e32 v5, 32, v5
	v_subrev_u32_e32 v16, 28, v5
	v_lshlrev_b64 v[22:23], v16, v[30:31]
	v_sub_u32_e32 v5, 29, v5
	v_and_b32_e32 v16, 7, v22
	v_cndmask_b32_e32 v5, v7, v5, vcc
	v_cndmask_b32_e32 v3, v3, v16, vcc
	v_lshlrev_b32_e32 v7, 16, v28
	v_lshlrev_b32_e32 v3, 20, v3
	v_and_b32_e32 v7, 0x80000000, v7
	v_lshl_add_u32 v5, v5, 23, v17
	v_or3_b32 v3, v7, v5, v3
.LBB2_4972:                             ;   in Loop: Header=BB2_4850 Depth=3
	s_or_b64 exec, exec, s[38:39]
.LBB2_4973:                             ;   in Loop: Header=BB2_4850 Depth=3
	s_or_b64 exec, exec, s[42:43]
.LBB2_4974:                             ;   in Loop: Header=BB2_4850 Depth=3
	s_or_b64 exec, exec, s[40:41]
	v_mul_f32_e32 v5, v2, v3
	v_and_b32_e32 v28, 0x7f800000, v5
	v_cmp_ne_u64_e32 vcc, s[76:77], v[28:29]
                                        ; implicit-def: $vgpr34
	s_and_saveexec_b64 s[40:41], vcc
	s_xor_b64 s[42:43], exec, s[40:41]
	s_cbranch_execz .LBB2_4988
; %bb.4975:                             ;   in Loop: Header=BB2_4850 Depth=3
	v_and_b32_e32 v28, 0x7fffffff, v5
	v_cmp_gt_u64_e32 vcc, s[78:79], v[28:29]
	v_and_b32_sdwa v3, v5, s87 dst_sel:DWORD dst_unused:UNUSED_PAD src0_sel:BYTE_3 src1_sel:DWORD
                                        ; implicit-def: $vgpr34
	s_and_saveexec_b64 s[40:41], vcc
	s_xor_b64 s[38:39], exec, s[40:41]
	s_cbranch_execz .LBB2_4985
; %bb.4976:                             ;   in Loop: Header=BB2_4850 Depth=3
	v_mov_b32_e32 v34, 0
	v_cmp_ne_u32_e32 vcc, 0, v5
	s_and_saveexec_b64 s[48:49], vcc
	s_cbranch_execz .LBB2_4984
; %bb.4977:                             ;   in Loop: Header=BB2_4850 Depth=3
	v_and_b32_e32 v16, 0x7fffff, v5
	v_bfe_u32 v5, v5, 23, 8
	v_cmp_gt_u32_e64 s[40:41], s96, v5
	v_sub_u32_e32 v7, 0x79, v5
	v_cmp_eq_u32_e32 vcc, 0, v5
	v_cndmask_b32_e64 v7, 0, v7, s[40:41]
	v_or_b32_e32 v18, 0x800000, v16
	v_cndmask_b32_e32 v7, v7, v36, vcc
	v_cndmask_b32_e32 v28, v18, v16, vcc
	v_add_u32_e32 v16, 20, v7
	v_lshlrev_b64 v[22:23], v16, -1
	v_add_u32_e32 v16, 19, v7
	v_lshlrev_b64 v[30:31], v16, 1
	v_lshrrev_b64 v[46:47], v7, v[28:29]
	v_bfi_b32 v23, v23, 0, 0
	v_bfi_b32 v22, v22, 0, v28
	v_cmp_eq_u64_e64 s[40:41], v[22:23], v[30:31]
	v_mov_b32_e32 v56, v47
	v_mov_b32_e32 v55, v46
	s_and_saveexec_b64 s[50:51], s[40:41]
; %bb.4978:                             ;   in Loop: Header=BB2_4850 Depth=3
	v_bfe_u32 v16, v46, 20, 1
	v_add_co_u32_e64 v16, s[40:41], v46, v16
	v_add_co_u32_e64 v55, s[40:41], -1, v16
; %bb.4979:                             ;   in Loop: Header=BB2_4850 Depth=3
	s_or_b64 exec, exec, s[50:51]
	v_add_u32_e32 v5, 0xffffff81, v5
	v_cndmask_b32_e32 v5, v5, v37, vcc
	v_lshrrev_b32_e32 v16, 23, v46
	v_add3_u32 v16, v7, v5, v16
	v_add_u32_e32 v7, 6, v16
	v_and_b32_e32 v5, 0xfffff, v55
	v_add_u32_e32 v28, v5, v46
	v_cmp_ne_u32_e32 vcc, 0, v7
                                        ; implicit-def: $vgpr46_vgpr47
                                        ; implicit-def: $vgpr5
	s_and_saveexec_b64 s[40:41], vcc
	s_xor_b64 s[40:41], exec, s[40:41]
; %bb.4980:                             ;   in Loop: Header=BB2_4850 Depth=3
	v_cmp_lt_u64_e32 vcc, s[88:89], v[28:29]
	v_add_u32_e32 v5, 7, v16
	v_cndmask_b32_e32 v5, v7, v5, vcc
	v_cndmask_b32_e64 v7, 0, 1, vcc
	v_lshrrev_b64 v[46:47], v7, v[28:29]
; %bb.4981:                             ;   in Loop: Header=BB2_4850 Depth=3
	s_andn2_saveexec_b64 s[40:41], s[40:41]
; %bb.4982:                             ;   in Loop: Header=BB2_4850 Depth=3
	v_mov_b32_e32 v47, v29
	v_mov_b32_e32 v46, v28
	v_bfe_u32 v5, v28, 23, 1
; %bb.4983:                             ;   in Loop: Header=BB2_4850 Depth=3
	s_or_b64 exec, exec, s[40:41]
	v_lshrrev_b64 v[22:23], 20, v[46:47]
	v_cmp_gt_i32_e32 vcc, 16, v5
	v_cndmask_b32_e32 v23, 0, v23, vcc
	v_cndmask_b32_e32 v22, 7, v22, vcc
	v_cmp_eq_u32_e32 vcc, 0, v5
	v_min_i32_e32 v5, 15, v5
	v_cmp_eq_u64_e64 s[40:41], 0, v[22:23]
	v_lshlrev_b32_e32 v5, 3, v5
	v_and_b32_e32 v5, 0xf8, v5
	v_and_or_b32 v5, v22, 7, v5
	s_and_b64 s[40:41], vcc, s[40:41]
	v_cndmask_b32_e64 v5, v5, 0, s[40:41]
	v_or_b32_e32 v34, v5, v3
.LBB2_4984:                             ;   in Loop: Header=BB2_4850 Depth=3
	s_or_b64 exec, exec, s[48:49]
                                        ; implicit-def: $vgpr3
.LBB2_4985:                             ;   in Loop: Header=BB2_4850 Depth=3
	s_andn2_saveexec_b64 s[40:41], s[38:39]
; %bb.4986:                             ;   in Loop: Header=BB2_4850 Depth=3
	v_or_b32_e32 v34, 0x7e, v3
; %bb.4987:                             ;   in Loop: Header=BB2_4850 Depth=3
	s_or_b64 exec, exec, s[40:41]
                                        ; implicit-def: $vgpr5
.LBB2_4988:                             ;   in Loop: Header=BB2_4850 Depth=3
	s_andn2_saveexec_b64 s[40:41], s[42:43]
; %bb.4989:                             ;   in Loop: Header=BB2_4850 Depth=3
	v_or_b32_sdwa v34, v5, s85 dst_sel:DWORD dst_unused:UNUSED_PAD src0_sel:BYTE_3 src1_sel:DWORD
; %bb.4990:                             ;   in Loop: Header=BB2_4850 Depth=3
	s_or_b64 exec, exec, s[40:41]
	v_lshrrev_b32_e32 v28, 16, v9
	v_cmp_ne_u16_sdwa s[42:43], v28, v29 src0_sel:BYTE_0 src1_sel:DWORD
	v_mov_b32_e32 v3, 0
	s_and_saveexec_b64 s[40:41], s[42:43]
	s_cbranch_execz .LBB2_4996
; %bb.4991:                             ;   in Loop: Header=BB2_4850 Depth=3
	v_cmp_ne_u16_sdwa vcc, v28, s87 src0_sel:BYTE_0 src1_sel:DWORD
	v_bfrev_b32_e32 v3, 1
	s_and_saveexec_b64 s[42:43], vcc
	s_cbranch_execz .LBB2_4995
; %bb.4992:                             ;   in Loop: Header=BB2_4850 Depth=3
	v_bfe_u32 v5, v9, 16, 7
	v_cmp_ne_u32_e32 vcc, s85, v5
	v_mov_b32_e32 v3, 0x7f800001
	s_and_saveexec_b64 s[38:39], vcc
	s_cbranch_execz .LBB2_4994
; %bb.4993:                             ;   in Loop: Header=BB2_4850 Depth=3
	v_and_b32_e32 v3, 7, v28
	v_lshrrev_b32_e32 v7, 3, v5
	v_cmp_gt_u32_e32 vcc, 8, v5
	v_ffbh_u32_e32 v5, v3
	v_min_u32_e32 v5, 32, v5
	v_subrev_u32_e32 v16, 28, v5
	v_lshlrev_b64 v[22:23], v16, v[28:29]
	v_sub_u32_e32 v5, 29, v5
	v_and_b32_e32 v16, 7, v22
	v_cndmask_b32_e32 v5, v7, v5, vcc
	v_cndmask_b32_e32 v3, v3, v16, vcc
	v_lshlrev_b32_e32 v7, 24, v28
	v_lshlrev_b32_e32 v3, 20, v3
	v_and_b32_e32 v7, 0x80000000, v7
	v_lshl_add_u32 v5, v5, 23, v17
	v_or3_b32 v3, v7, v5, v3
.LBB2_4994:                             ;   in Loop: Header=BB2_4850 Depth=3
	s_or_b64 exec, exec, s[38:39]
.LBB2_4995:                             ;   in Loop: Header=BB2_4850 Depth=3
	s_or_b64 exec, exec, s[42:43]
.LBB2_4996:                             ;   in Loop: Header=BB2_4850 Depth=3
	s_or_b64 exec, exec, s[40:41]
	v_mul_f32_e32 v5, v2, v3
	v_and_b32_e32 v28, 0x7f800000, v5
	v_cmp_ne_u64_e32 vcc, s[76:77], v[28:29]
                                        ; implicit-def: $vgpr23
	s_and_saveexec_b64 s[40:41], vcc
	s_xor_b64 s[42:43], exec, s[40:41]
	s_cbranch_execz .LBB2_5010
; %bb.4997:                             ;   in Loop: Header=BB2_4850 Depth=3
	v_and_b32_e32 v28, 0x7fffffff, v5
	v_cmp_gt_u64_e32 vcc, s[78:79], v[28:29]
	v_and_b32_sdwa v3, v5, s87 dst_sel:DWORD dst_unused:UNUSED_PAD src0_sel:BYTE_3 src1_sel:DWORD
                                        ; implicit-def: $vgpr23
	s_and_saveexec_b64 s[40:41], vcc
	s_xor_b64 s[38:39], exec, s[40:41]
	s_cbranch_execz .LBB2_5007
; %bb.4998:                             ;   in Loop: Header=BB2_4850 Depth=3
	v_mov_b32_e32 v23, 0
	v_cmp_ne_u32_e32 vcc, 0, v5
	s_and_saveexec_b64 s[48:49], vcc
	s_cbranch_execz .LBB2_5006
; %bb.4999:                             ;   in Loop: Header=BB2_4850 Depth=3
	v_and_b32_e32 v16, 0x7fffff, v5
	v_bfe_u32 v5, v5, 23, 8
	v_cmp_gt_u32_e64 s[40:41], s96, v5
	v_sub_u32_e32 v7, 0x79, v5
	v_cmp_eq_u32_e32 vcc, 0, v5
	v_cndmask_b32_e64 v7, 0, v7, s[40:41]
	v_or_b32_e32 v18, 0x800000, v16
	v_cndmask_b32_e32 v7, v7, v36, vcc
	v_cndmask_b32_e32 v28, v18, v16, vcc
	v_add_u32_e32 v16, 20, v7
	v_lshlrev_b64 v[22:23], v16, -1
	v_add_u32_e32 v16, 19, v7
	v_lshlrev_b64 v[30:31], v16, 1
	v_lshrrev_b64 v[46:47], v7, v[28:29]
	v_bfi_b32 v23, v23, 0, 0
	v_bfi_b32 v22, v22, 0, v28
	v_cmp_eq_u64_e64 s[40:41], v[22:23], v[30:31]
	v_mov_b32_e32 v56, v47
	v_mov_b32_e32 v55, v46
	s_and_saveexec_b64 s[50:51], s[40:41]
; %bb.5000:                             ;   in Loop: Header=BB2_4850 Depth=3
	v_bfe_u32 v16, v46, 20, 1
	v_add_co_u32_e64 v16, s[40:41], v46, v16
	v_add_co_u32_e64 v55, s[40:41], -1, v16
; %bb.5001:                             ;   in Loop: Header=BB2_4850 Depth=3
	s_or_b64 exec, exec, s[50:51]
	v_add_u32_e32 v5, 0xffffff81, v5
	v_cndmask_b32_e32 v5, v5, v37, vcc
	v_lshrrev_b32_e32 v16, 23, v46
	v_add3_u32 v16, v7, v5, v16
	v_add_u32_e32 v7, 6, v16
	v_and_b32_e32 v5, 0xfffff, v55
	v_add_u32_e32 v28, v5, v46
	v_cmp_ne_u32_e32 vcc, 0, v7
                                        ; implicit-def: $vgpr46_vgpr47
                                        ; implicit-def: $vgpr5
	s_and_saveexec_b64 s[40:41], vcc
	s_xor_b64 s[40:41], exec, s[40:41]
; %bb.5002:                             ;   in Loop: Header=BB2_4850 Depth=3
	v_cmp_lt_u64_e32 vcc, s[88:89], v[28:29]
	v_add_u32_e32 v5, 7, v16
	v_cndmask_b32_e32 v5, v7, v5, vcc
	v_cndmask_b32_e64 v7, 0, 1, vcc
	v_lshrrev_b64 v[46:47], v7, v[28:29]
; %bb.5003:                             ;   in Loop: Header=BB2_4850 Depth=3
	s_andn2_saveexec_b64 s[40:41], s[40:41]
; %bb.5004:                             ;   in Loop: Header=BB2_4850 Depth=3
	v_mov_b32_e32 v47, v29
	v_mov_b32_e32 v46, v28
	v_bfe_u32 v5, v28, 23, 1
; %bb.5005:                             ;   in Loop: Header=BB2_4850 Depth=3
	s_or_b64 exec, exec, s[40:41]
	v_lshrrev_b64 v[22:23], 20, v[46:47]
	v_cmp_gt_i32_e32 vcc, 16, v5
	v_cndmask_b32_e32 v23, 0, v23, vcc
	v_cndmask_b32_e32 v22, 7, v22, vcc
	v_cmp_eq_u32_e32 vcc, 0, v5
	v_min_i32_e32 v5, 15, v5
	v_cmp_eq_u64_e64 s[40:41], 0, v[22:23]
	v_lshlrev_b32_e32 v5, 3, v5
	v_and_b32_e32 v5, 0xf8, v5
	v_and_or_b32 v5, v22, 7, v5
	s_and_b64 s[40:41], vcc, s[40:41]
	v_cndmask_b32_e64 v5, v5, 0, s[40:41]
	v_or_b32_e32 v23, v5, v3
.LBB2_5006:                             ;   in Loop: Header=BB2_4850 Depth=3
	s_or_b64 exec, exec, s[48:49]
                                        ; implicit-def: $vgpr3
.LBB2_5007:                             ;   in Loop: Header=BB2_4850 Depth=3
	s_andn2_saveexec_b64 s[40:41], s[38:39]
; %bb.5008:                             ;   in Loop: Header=BB2_4850 Depth=3
	v_or_b32_e32 v23, 0x7e, v3
; %bb.5009:                             ;   in Loop: Header=BB2_4850 Depth=3
	s_or_b64 exec, exec, s[40:41]
                                        ; implicit-def: $vgpr5
.LBB2_5010:                             ;   in Loop: Header=BB2_4850 Depth=3
	s_andn2_saveexec_b64 s[40:41], s[42:43]
; %bb.5011:                             ;   in Loop: Header=BB2_4850 Depth=3
	v_or_b32_sdwa v23, v5, s85 dst_sel:DWORD dst_unused:UNUSED_PAD src0_sel:BYTE_3 src1_sel:DWORD
; %bb.5012:                             ;   in Loop: Header=BB2_4850 Depth=3
	s_or_b64 exec, exec, s[40:41]
	v_cmp_lt_u64_e32 vcc, s[56:57], v[8:9]
	v_mov_b32_e32 v3, 0
	s_and_saveexec_b64 s[40:41], vcc
	s_cbranch_execz .LBB2_5018
; %bb.5013:                             ;   in Loop: Header=BB2_4850 Depth=3
	v_lshrrev_b32_e32 v8, 24, v9
	v_cmp_ne_u32_e32 vcc, s87, v8
	v_bfrev_b32_e32 v3, 1
	s_and_saveexec_b64 s[42:43], vcc
	s_cbranch_execz .LBB2_5017
; %bb.5014:                             ;   in Loop: Header=BB2_4850 Depth=3
	v_bfe_u32 v5, v9, 24, 7
	v_cmp_ne_u32_e32 vcc, s85, v5
	v_mov_b32_e32 v3, 0x7f800001
	s_and_saveexec_b64 s[38:39], vcc
	s_cbranch_execz .LBB2_5016
; %bb.5015:                             ;   in Loop: Header=BB2_4850 Depth=3
	v_and_b32_e32 v3, 7, v8
	v_lshrrev_b32_e32 v7, 3, v5
	v_cmp_gt_u32_e32 vcc, 8, v5
	v_ffbh_u32_e32 v5, v3
	v_min_u32_e32 v5, 32, v5
	v_subrev_u32_e32 v9, 28, v5
	v_lshlrev_b64 v[30:31], v9, v[8:9]
	v_sub_u32_e32 v5, 29, v5
	v_and_b32_e32 v9, 7, v30
	v_cndmask_b32_e32 v5, v7, v5, vcc
	v_cndmask_b32_e32 v3, v3, v9, vcc
	v_lshlrev_b32_e32 v7, 24, v8
	v_lshlrev_b32_e32 v3, 20, v3
	v_and_b32_e32 v7, 0x80000000, v7
	v_lshl_add_u32 v5, v5, 23, v17
	v_or3_b32 v3, v7, v5, v3
.LBB2_5016:                             ;   in Loop: Header=BB2_4850 Depth=3
	s_or_b64 exec, exec, s[38:39]
.LBB2_5017:                             ;   in Loop: Header=BB2_4850 Depth=3
	s_or_b64 exec, exec, s[42:43]
.LBB2_5018:                             ;   in Loop: Header=BB2_4850 Depth=3
	s_or_b64 exec, exec, s[40:41]
	v_mul_f32_e32 v5, v2, v3
	v_and_b32_e32 v28, 0x7f800000, v5
	v_cmp_ne_u64_e32 vcc, s[76:77], v[28:29]
                                        ; implicit-def: $vgpr33
	s_and_saveexec_b64 s[40:41], vcc
	s_xor_b64 s[42:43], exec, s[40:41]
	s_cbranch_execz .LBB2_5032
; %bb.5019:                             ;   in Loop: Header=BB2_4850 Depth=3
	v_and_b32_e32 v28, 0x7fffffff, v5
	v_cmp_gt_u64_e32 vcc, s[78:79], v[28:29]
	v_and_b32_sdwa v3, v5, s87 dst_sel:DWORD dst_unused:UNUSED_PAD src0_sel:BYTE_3 src1_sel:DWORD
                                        ; implicit-def: $vgpr33
	s_and_saveexec_b64 s[40:41], vcc
	s_xor_b64 s[38:39], exec, s[40:41]
	s_cbranch_execz .LBB2_5029
; %bb.5020:                             ;   in Loop: Header=BB2_4850 Depth=3
	v_mov_b32_e32 v33, 0
	v_cmp_ne_u32_e32 vcc, 0, v5
	s_and_saveexec_b64 s[48:49], vcc
	s_cbranch_execz .LBB2_5028
; %bb.5021:                             ;   in Loop: Header=BB2_4850 Depth=3
	v_and_b32_e32 v8, 0x7fffff, v5
	v_bfe_u32 v5, v5, 23, 8
	v_cmp_gt_u32_e64 s[40:41], s96, v5
	v_sub_u32_e32 v7, 0x79, v5
	v_cmp_eq_u32_e32 vcc, 0, v5
	v_cndmask_b32_e64 v7, 0, v7, s[40:41]
	v_or_b32_e32 v9, 0x800000, v8
	v_cndmask_b32_e32 v7, v7, v36, vcc
	v_cndmask_b32_e32 v28, v9, v8, vcc
	v_add_u32_e32 v8, 20, v7
	v_lshlrev_b64 v[8:9], v8, -1
	v_add_u32_e32 v16, 19, v7
	v_lshlrev_b64 v[30:31], v16, 1
	v_bfi_b32 v9, v9, 0, 0
	v_bfi_b32 v8, v8, 0, v28
	v_cmp_eq_u64_e64 s[40:41], v[8:9], v[30:31]
	v_lshrrev_b64 v[8:9], v7, v[28:29]
	v_mov_b32_e32 v47, v9
	v_mov_b32_e32 v46, v8
	s_and_saveexec_b64 s[50:51], s[40:41]
; %bb.5022:                             ;   in Loop: Header=BB2_4850 Depth=3
	v_bfe_u32 v9, v8, 20, 1
	v_add_co_u32_e64 v9, s[40:41], v8, v9
	v_add_co_u32_e64 v46, s[40:41], -1, v9
; %bb.5023:                             ;   in Loop: Header=BB2_4850 Depth=3
	s_or_b64 exec, exec, s[50:51]
	v_add_u32_e32 v5, 0xffffff81, v5
	v_cndmask_b32_e32 v5, v5, v37, vcc
	v_lshrrev_b32_e32 v9, 23, v8
	v_add3_u32 v16, v7, v5, v9
	v_add_u32_e32 v7, 6, v16
	v_and_b32_e32 v5, 0xfffff, v46
	v_add_u32_e32 v28, v5, v8
	v_cmp_ne_u32_e32 vcc, 0, v7
                                        ; implicit-def: $vgpr8_vgpr9
                                        ; implicit-def: $vgpr5
	s_and_saveexec_b64 s[40:41], vcc
	s_xor_b64 s[40:41], exec, s[40:41]
; %bb.5024:                             ;   in Loop: Header=BB2_4850 Depth=3
	v_cmp_lt_u64_e32 vcc, s[88:89], v[28:29]
	v_add_u32_e32 v5, 7, v16
	v_cndmask_b32_e32 v5, v7, v5, vcc
	v_cndmask_b32_e64 v7, 0, 1, vcc
	v_lshrrev_b64 v[8:9], v7, v[28:29]
; %bb.5025:                             ;   in Loop: Header=BB2_4850 Depth=3
	s_andn2_saveexec_b64 s[40:41], s[40:41]
; %bb.5026:                             ;   in Loop: Header=BB2_4850 Depth=3
	v_mov_b32_e32 v8, v28
	v_mov_b32_e32 v9, v29
	v_bfe_u32 v5, v28, 23, 1
; %bb.5027:                             ;   in Loop: Header=BB2_4850 Depth=3
	s_or_b64 exec, exec, s[40:41]
	v_lshrrev_b64 v[7:8], 20, v[8:9]
	v_cmp_gt_i32_e32 vcc, 16, v5
	v_cndmask_b32_e32 v8, 0, v8, vcc
	v_cndmask_b32_e32 v7, 7, v7, vcc
	v_cmp_eq_u32_e32 vcc, 0, v5
	v_min_i32_e32 v5, 15, v5
	v_cmp_eq_u64_e64 s[40:41], 0, v[7:8]
	v_lshlrev_b32_e32 v5, 3, v5
	v_and_b32_e32 v5, 0xf8, v5
	v_and_or_b32 v5, v7, 7, v5
	s_and_b64 s[40:41], vcc, s[40:41]
	v_cndmask_b32_e64 v5, v5, 0, s[40:41]
	v_or_b32_e32 v33, v5, v3
.LBB2_5028:                             ;   in Loop: Header=BB2_4850 Depth=3
	s_or_b64 exec, exec, s[48:49]
                                        ; implicit-def: $vgpr3
.LBB2_5029:                             ;   in Loop: Header=BB2_4850 Depth=3
	s_andn2_saveexec_b64 s[40:41], s[38:39]
; %bb.5030:                             ;   in Loop: Header=BB2_4850 Depth=3
	v_or_b32_e32 v33, 0x7e, v3
; %bb.5031:                             ;   in Loop: Header=BB2_4850 Depth=3
	s_or_b64 exec, exec, s[40:41]
                                        ; implicit-def: $vgpr5
.LBB2_5032:                             ;   in Loop: Header=BB2_4850 Depth=3
	s_andn2_saveexec_b64 s[40:41], s[42:43]
; %bb.5033:                             ;   in Loop: Header=BB2_4850 Depth=3
	v_or_b32_sdwa v33, v5, s85 dst_sel:DWORD dst_unused:UNUSED_PAD src0_sel:BYTE_3 src1_sel:DWORD
; %bb.5034:                             ;   in Loop: Header=BB2_4850 Depth=3
	s_or_b64 exec, exec, s[40:41]
	v_cmp_ne_u16_sdwa s[42:43], v10, v29 src0_sel:BYTE_0 src1_sel:DWORD
	v_mov_b32_e32 v3, 0
	s_and_saveexec_b64 s[40:41], s[42:43]
	s_cbranch_execz .LBB2_5040
; %bb.5035:                             ;   in Loop: Header=BB2_4850 Depth=3
	v_cmp_ne_u16_sdwa vcc, v10, s87 src0_sel:BYTE_0 src1_sel:DWORD
	v_bfrev_b32_e32 v3, 1
	s_and_saveexec_b64 s[42:43], vcc
	s_cbranch_execz .LBB2_5039
; %bb.5036:                             ;   in Loop: Header=BB2_4850 Depth=3
	v_and_b32_e32 v5, 0x7f, v10
	v_cmp_ne_u32_e32 vcc, s85, v5
	v_mov_b32_e32 v3, 0x7f800001
	s_and_saveexec_b64 s[38:39], vcc
	s_cbranch_execz .LBB2_5038
; %bb.5037:                             ;   in Loop: Header=BB2_4850 Depth=3
	v_and_b32_e32 v3, 7, v10
	v_ffbh_u32_e32 v3, v3
	v_min_u32_e32 v3, 32, v3
	v_lshrrev_b32_e32 v7, 3, v5
	v_cmp_gt_u32_e32 vcc, 8, v5
	v_subrev_u32_e32 v5, 28, v3
	v_sub_u32_e32 v3, 29, v3
	v_cndmask_b32_e32 v5, 0, v5, vcc
	v_cndmask_b32_e32 v3, v7, v3, vcc
	v_lshlrev_b64 v[7:8], v5, v[10:11]
	v_lshl_add_u32 v3, v3, 23, v17
	v_lshlrev_b32_e32 v5, 20, v7
	v_lshlrev_b32_e32 v7, 24, v10
	v_and_b32_e32 v5, 0x700000, v5
	v_and_b32_e32 v7, 0x80000000, v7
	v_or3_b32 v3, v7, v3, v5
.LBB2_5038:                             ;   in Loop: Header=BB2_4850 Depth=3
	s_or_b64 exec, exec, s[38:39]
.LBB2_5039:                             ;   in Loop: Header=BB2_4850 Depth=3
	s_or_b64 exec, exec, s[42:43]
.LBB2_5040:                             ;   in Loop: Header=BB2_4850 Depth=3
	s_or_b64 exec, exec, s[40:41]
	v_mul_f32_e32 v5, v2, v3
	v_and_b32_e32 v28, 0x7f800000, v5
	v_cmp_ne_u64_e32 vcc, s[76:77], v[28:29]
                                        ; implicit-def: $vgpr7
	s_and_saveexec_b64 s[40:41], vcc
	s_xor_b64 s[42:43], exec, s[40:41]
	s_cbranch_execz .LBB2_5054
; %bb.5041:                             ;   in Loop: Header=BB2_4850 Depth=3
	v_and_b32_e32 v28, 0x7fffffff, v5
	v_cmp_gt_u64_e32 vcc, s[78:79], v[28:29]
	v_and_b32_sdwa v3, v5, s87 dst_sel:DWORD dst_unused:UNUSED_PAD src0_sel:BYTE_3 src1_sel:DWORD
                                        ; implicit-def: $vgpr7
	s_and_saveexec_b64 s[40:41], vcc
	s_xor_b64 s[38:39], exec, s[40:41]
	s_cbranch_execz .LBB2_5051
; %bb.5042:                             ;   in Loop: Header=BB2_4850 Depth=3
	v_mov_b32_e32 v7, 0
	v_cmp_ne_u32_e32 vcc, 0, v5
	s_and_saveexec_b64 s[48:49], vcc
	s_cbranch_execz .LBB2_5050
; %bb.5043:                             ;   in Loop: Header=BB2_4850 Depth=3
	v_and_b32_e32 v8, 0x7fffff, v5
	v_bfe_u32 v5, v5, 23, 8
	v_cmp_gt_u32_e64 s[40:41], s96, v5
	v_sub_u32_e32 v7, 0x79, v5
	v_cmp_eq_u32_e32 vcc, 0, v5
	v_cndmask_b32_e64 v7, 0, v7, s[40:41]
	v_or_b32_e32 v9, 0x800000, v8
	v_cndmask_b32_e32 v7, v7, v36, vcc
	v_cndmask_b32_e32 v28, v9, v8, vcc
	v_add_u32_e32 v8, 20, v7
	v_lshlrev_b64 v[8:9], v8, -1
	v_add_u32_e32 v16, 19, v7
	v_lshlrev_b64 v[30:31], v16, 1
	v_bfi_b32 v9, v9, 0, 0
	v_bfi_b32 v8, v8, 0, v28
	v_cmp_eq_u64_e64 s[40:41], v[8:9], v[30:31]
	v_lshrrev_b64 v[8:9], v7, v[28:29]
	v_mov_b32_e32 v47, v9
	v_mov_b32_e32 v46, v8
	s_and_saveexec_b64 s[50:51], s[40:41]
; %bb.5044:                             ;   in Loop: Header=BB2_4850 Depth=3
	v_bfe_u32 v9, v8, 20, 1
	v_add_co_u32_e64 v9, s[40:41], v8, v9
	v_add_co_u32_e64 v46, s[40:41], -1, v9
; %bb.5045:                             ;   in Loop: Header=BB2_4850 Depth=3
	s_or_b64 exec, exec, s[50:51]
	v_add_u32_e32 v5, 0xffffff81, v5
	v_cndmask_b32_e32 v5, v5, v37, vcc
	v_lshrrev_b32_e32 v9, 23, v8
	v_add3_u32 v16, v7, v5, v9
	v_add_u32_e32 v7, 6, v16
	v_and_b32_e32 v5, 0xfffff, v46
	v_add_u32_e32 v28, v5, v8
	v_cmp_ne_u32_e32 vcc, 0, v7
                                        ; implicit-def: $vgpr8_vgpr9
                                        ; implicit-def: $vgpr5
	s_and_saveexec_b64 s[40:41], vcc
	s_xor_b64 s[40:41], exec, s[40:41]
; %bb.5046:                             ;   in Loop: Header=BB2_4850 Depth=3
	v_cmp_lt_u64_e32 vcc, s[88:89], v[28:29]
	v_add_u32_e32 v5, 7, v16
	v_cndmask_b32_e32 v5, v7, v5, vcc
	v_cndmask_b32_e64 v7, 0, 1, vcc
	v_lshrrev_b64 v[8:9], v7, v[28:29]
; %bb.5047:                             ;   in Loop: Header=BB2_4850 Depth=3
	s_andn2_saveexec_b64 s[40:41], s[40:41]
; %bb.5048:                             ;   in Loop: Header=BB2_4850 Depth=3
	v_mov_b32_e32 v8, v28
	v_mov_b32_e32 v9, v29
	v_bfe_u32 v5, v28, 23, 1
; %bb.5049:                             ;   in Loop: Header=BB2_4850 Depth=3
	s_or_b64 exec, exec, s[40:41]
	v_lshrrev_b64 v[7:8], 20, v[8:9]
	v_cmp_gt_i32_e32 vcc, 16, v5
	v_cndmask_b32_e32 v8, 0, v8, vcc
	v_cndmask_b32_e32 v7, 7, v7, vcc
	v_cmp_eq_u32_e32 vcc, 0, v5
	v_min_i32_e32 v5, 15, v5
	v_cmp_eq_u64_e64 s[40:41], 0, v[7:8]
	v_lshlrev_b32_e32 v5, 3, v5
	v_and_b32_e32 v5, 0xf8, v5
	v_and_or_b32 v5, v7, 7, v5
	s_and_b64 s[40:41], vcc, s[40:41]
	v_cndmask_b32_e64 v5, v5, 0, s[40:41]
	v_or_b32_e32 v7, v5, v3
.LBB2_5050:                             ;   in Loop: Header=BB2_4850 Depth=3
	s_or_b64 exec, exec, s[48:49]
                                        ; implicit-def: $vgpr3
.LBB2_5051:                             ;   in Loop: Header=BB2_4850 Depth=3
	s_andn2_saveexec_b64 s[40:41], s[38:39]
; %bb.5052:                             ;   in Loop: Header=BB2_4850 Depth=3
	v_or_b32_e32 v7, 0x7e, v3
; %bb.5053:                             ;   in Loop: Header=BB2_4850 Depth=3
	s_or_b64 exec, exec, s[40:41]
                                        ; implicit-def: $vgpr5
.LBB2_5054:                             ;   in Loop: Header=BB2_4850 Depth=3
	s_andn2_saveexec_b64 s[40:41], s[42:43]
; %bb.5055:                             ;   in Loop: Header=BB2_4850 Depth=3
	v_or_b32_sdwa v7, v5, s85 dst_sel:DWORD dst_unused:UNUSED_PAD src0_sel:BYTE_3 src1_sel:DWORD
; %bb.5056:                             ;   in Loop: Header=BB2_4850 Depth=3
	s_or_b64 exec, exec, s[40:41]
	v_lshrrev_b16_e32 v8, 8, v10
	v_cmp_ne_u16_e32 vcc, 0, v8
	v_mov_b32_e32 v3, 0
	s_and_saveexec_b64 s[40:41], vcc
	s_cbranch_execz .LBB2_5062
; %bb.5057:                             ;   in Loop: Header=BB2_4850 Depth=3
	v_cmp_ne_u16_e32 vcc, s87, v8
	v_bfrev_b32_e32 v3, 1
	s_and_saveexec_b64 s[42:43], vcc
	s_cbranch_execz .LBB2_5061
; %bb.5058:                             ;   in Loop: Header=BB2_4850 Depth=3
	v_and_b32_e32 v5, 0x7f, v8
	v_cmp_ne_u32_e32 vcc, s85, v5
	v_mov_b32_e32 v3, 0x7f800001
	s_and_saveexec_b64 s[38:39], vcc
	s_cbranch_execz .LBB2_5060
; %bb.5059:                             ;   in Loop: Header=BB2_4850 Depth=3
	v_and_b32_e32 v3, 7, v8
	v_lshrrev_b32_e32 v16, 3, v5
	v_cmp_gt_u32_e32 vcc, 8, v5
	v_ffbh_u32_e32 v5, v3
	v_min_u32_e32 v5, 32, v5
	v_subrev_u32_e32 v9, 28, v5
	v_lshlrev_b64 v[8:9], v9, v[8:9]
	v_sub_u32_e32 v5, 29, v5
	v_and_b32_e32 v8, 7, v8
	v_cndmask_b32_e32 v5, v16, v5, vcc
	v_cndmask_b32_e32 v3, v3, v8, vcc
	v_lshlrev_b32_e32 v8, 16, v10
	v_lshlrev_b32_e32 v3, 20, v3
	v_and_b32_e32 v8, 0x80000000, v8
	v_lshl_add_u32 v5, v5, 23, v17
	v_or3_b32 v3, v8, v5, v3
.LBB2_5060:                             ;   in Loop: Header=BB2_4850 Depth=3
	s_or_b64 exec, exec, s[38:39]
.LBB2_5061:                             ;   in Loop: Header=BB2_4850 Depth=3
	s_or_b64 exec, exec, s[42:43]
.LBB2_5062:                             ;   in Loop: Header=BB2_4850 Depth=3
	s_or_b64 exec, exec, s[40:41]
	v_mul_f32_e32 v5, v2, v3
	v_and_b32_e32 v28, 0x7f800000, v5
	v_cmp_ne_u64_e32 vcc, s[76:77], v[28:29]
                                        ; implicit-def: $vgpr24
	s_and_saveexec_b64 s[40:41], vcc
	s_xor_b64 s[42:43], exec, s[40:41]
	s_cbranch_execz .LBB2_5076
; %bb.5063:                             ;   in Loop: Header=BB2_4850 Depth=3
	v_and_b32_e32 v28, 0x7fffffff, v5
	v_cmp_gt_u64_e32 vcc, s[78:79], v[28:29]
	v_and_b32_sdwa v3, v5, s87 dst_sel:DWORD dst_unused:UNUSED_PAD src0_sel:BYTE_3 src1_sel:DWORD
                                        ; implicit-def: $vgpr24
	s_and_saveexec_b64 s[40:41], vcc
	s_xor_b64 s[38:39], exec, s[40:41]
	s_cbranch_execz .LBB2_5073
; %bb.5064:                             ;   in Loop: Header=BB2_4850 Depth=3
	v_mov_b32_e32 v24, 0
	v_cmp_ne_u32_e32 vcc, 0, v5
	s_and_saveexec_b64 s[48:49], vcc
	s_cbranch_execz .LBB2_5072
; %bb.5065:                             ;   in Loop: Header=BB2_4850 Depth=3
	v_and_b32_e32 v8, 0x7fffff, v5
	v_bfe_u32 v5, v5, 23, 8
	v_cmp_gt_u32_e64 s[40:41], s96, v5
	v_sub_u32_e32 v9, 0x79, v5
	v_cmp_eq_u32_e32 vcc, 0, v5
	v_cndmask_b32_e64 v9, 0, v9, s[40:41]
	v_or_b32_e32 v18, 0x800000, v8
	v_cndmask_b32_e32 v16, v9, v36, vcc
	v_cndmask_b32_e32 v28, v18, v8, vcc
	v_add_u32_e32 v8, 20, v16
	v_lshlrev_b64 v[8:9], v8, -1
	v_add_u32_e32 v18, 19, v16
	v_lshlrev_b64 v[30:31], v18, 1
	v_bfi_b32 v9, v9, 0, 0
	v_bfi_b32 v8, v8, 0, v28
	v_cmp_eq_u64_e64 s[40:41], v[8:9], v[30:31]
	v_lshrrev_b64 v[8:9], v16, v[28:29]
	v_mov_b32_e32 v47, v9
	v_mov_b32_e32 v46, v8
	s_and_saveexec_b64 s[50:51], s[40:41]
; %bb.5066:                             ;   in Loop: Header=BB2_4850 Depth=3
	v_bfe_u32 v9, v8, 20, 1
	v_add_co_u32_e64 v9, s[40:41], v8, v9
	v_add_co_u32_e64 v46, s[40:41], -1, v9
; %bb.5067:                             ;   in Loop: Header=BB2_4850 Depth=3
	s_or_b64 exec, exec, s[50:51]
	v_add_u32_e32 v5, 0xffffff81, v5
	v_cndmask_b32_e32 v5, v5, v37, vcc
	v_lshrrev_b32_e32 v9, 23, v8
	v_add3_u32 v18, v16, v5, v9
	v_add_u32_e32 v16, 6, v18
	v_and_b32_e32 v5, 0xfffff, v46
	v_add_u32_e32 v28, v5, v8
	v_cmp_ne_u32_e32 vcc, 0, v16
                                        ; implicit-def: $vgpr8_vgpr9
                                        ; implicit-def: $vgpr5
	s_and_saveexec_b64 s[40:41], vcc
	s_xor_b64 s[40:41], exec, s[40:41]
; %bb.5068:                             ;   in Loop: Header=BB2_4850 Depth=3
	v_cmp_lt_u64_e32 vcc, s[88:89], v[28:29]
	v_add_u32_e32 v5, 7, v18
	v_cndmask_b32_e64 v8, 0, 1, vcc
	v_cndmask_b32_e32 v5, v16, v5, vcc
	v_lshrrev_b64 v[8:9], v8, v[28:29]
; %bb.5069:                             ;   in Loop: Header=BB2_4850 Depth=3
	s_andn2_saveexec_b64 s[40:41], s[40:41]
; %bb.5070:                             ;   in Loop: Header=BB2_4850 Depth=3
	v_mov_b32_e32 v8, v28
	v_mov_b32_e32 v9, v29
	v_bfe_u32 v5, v28, 23, 1
; %bb.5071:                             ;   in Loop: Header=BB2_4850 Depth=3
	s_or_b64 exec, exec, s[40:41]
	v_lshrrev_b64 v[8:9], 20, v[8:9]
	v_cmp_gt_i32_e32 vcc, 16, v5
	v_cndmask_b32_e32 v9, 0, v9, vcc
	v_cndmask_b32_e32 v8, 7, v8, vcc
	v_cmp_eq_u32_e32 vcc, 0, v5
	v_min_i32_e32 v5, 15, v5
	v_cmp_eq_u64_e64 s[40:41], 0, v[8:9]
	v_lshlrev_b32_e32 v5, 3, v5
	v_and_b32_e32 v5, 0xf8, v5
	v_and_or_b32 v5, v8, 7, v5
	s_and_b64 s[40:41], vcc, s[40:41]
	v_cndmask_b32_e64 v5, v5, 0, s[40:41]
	v_or_b32_e32 v24, v5, v3
.LBB2_5072:                             ;   in Loop: Header=BB2_4850 Depth=3
	s_or_b64 exec, exec, s[48:49]
                                        ; implicit-def: $vgpr3
.LBB2_5073:                             ;   in Loop: Header=BB2_4850 Depth=3
	s_andn2_saveexec_b64 s[40:41], s[38:39]
; %bb.5074:                             ;   in Loop: Header=BB2_4850 Depth=3
	v_or_b32_e32 v24, 0x7e, v3
; %bb.5075:                             ;   in Loop: Header=BB2_4850 Depth=3
	s_or_b64 exec, exec, s[40:41]
                                        ; implicit-def: $vgpr5
.LBB2_5076:                             ;   in Loop: Header=BB2_4850 Depth=3
	s_andn2_saveexec_b64 s[40:41], s[42:43]
; %bb.5077:                             ;   in Loop: Header=BB2_4850 Depth=3
	v_or_b32_sdwa v24, v5, s85 dst_sel:DWORD dst_unused:UNUSED_PAD src0_sel:BYTE_3 src1_sel:DWORD
; %bb.5078:                             ;   in Loop: Header=BB2_4850 Depth=3
	s_or_b64 exec, exec, s[40:41]
	v_lshrrev_b32_e32 v8, 16, v10
	v_cmp_ne_u16_sdwa s[42:43], v8, v29 src0_sel:BYTE_0 src1_sel:DWORD
	v_mov_b32_e32 v3, 0
	s_and_saveexec_b64 s[40:41], s[42:43]
	s_cbranch_execz .LBB2_5084
; %bb.5079:                             ;   in Loop: Header=BB2_4850 Depth=3
	v_cmp_ne_u16_sdwa vcc, v8, s87 src0_sel:BYTE_0 src1_sel:DWORD
	v_bfrev_b32_e32 v3, 1
	s_and_saveexec_b64 s[42:43], vcc
	s_cbranch_execz .LBB2_5083
; %bb.5080:                             ;   in Loop: Header=BB2_4850 Depth=3
	v_bfe_u32 v5, v10, 16, 7
	v_cmp_ne_u32_e32 vcc, s85, v5
	v_mov_b32_e32 v3, 0x7f800001
	s_and_saveexec_b64 s[38:39], vcc
	s_cbranch_execz .LBB2_5082
; %bb.5081:                             ;   in Loop: Header=BB2_4850 Depth=3
	v_and_b32_e32 v3, 7, v8
	v_lshrrev_b32_e32 v9, 3, v5
	v_cmp_gt_u32_e32 vcc, 8, v5
	v_ffbh_u32_e32 v5, v3
	v_min_u32_e32 v5, 32, v5
	v_subrev_u32_e32 v16, 28, v5
	v_lshlrev_b64 v[30:31], v16, v[8:9]
	v_sub_u32_e32 v5, 29, v5
	v_and_b32_e32 v16, 7, v30
	v_cndmask_b32_e32 v5, v9, v5, vcc
	v_cndmask_b32_e32 v3, v3, v16, vcc
	v_lshlrev_b32_e32 v8, 24, v8
	v_lshlrev_b32_e32 v3, 20, v3
	v_and_b32_e32 v8, 0x80000000, v8
	v_lshl_add_u32 v5, v5, 23, v17
	v_or3_b32 v3, v8, v5, v3
.LBB2_5082:                             ;   in Loop: Header=BB2_4850 Depth=3
	s_or_b64 exec, exec, s[38:39]
.LBB2_5083:                             ;   in Loop: Header=BB2_4850 Depth=3
	s_or_b64 exec, exec, s[42:43]
.LBB2_5084:                             ;   in Loop: Header=BB2_4850 Depth=3
	s_or_b64 exec, exec, s[40:41]
	v_mul_f32_e32 v5, v2, v3
	v_and_b32_e32 v28, 0x7f800000, v5
	v_cmp_ne_u64_e32 vcc, s[76:77], v[28:29]
                                        ; implicit-def: $vgpr31
	s_and_saveexec_b64 s[40:41], vcc
	s_xor_b64 s[42:43], exec, s[40:41]
	s_cbranch_execz .LBB2_5098
; %bb.5085:                             ;   in Loop: Header=BB2_4850 Depth=3
	v_and_b32_e32 v28, 0x7fffffff, v5
	v_cmp_gt_u64_e32 vcc, s[78:79], v[28:29]
	v_and_b32_sdwa v3, v5, s87 dst_sel:DWORD dst_unused:UNUSED_PAD src0_sel:BYTE_3 src1_sel:DWORD
                                        ; implicit-def: $vgpr31
	s_and_saveexec_b64 s[40:41], vcc
	s_xor_b64 s[38:39], exec, s[40:41]
	s_cbranch_execz .LBB2_5095
; %bb.5086:                             ;   in Loop: Header=BB2_4850 Depth=3
	v_mov_b32_e32 v31, 0
	v_cmp_ne_u32_e32 vcc, 0, v5
	s_and_saveexec_b64 s[48:49], vcc
	s_cbranch_execz .LBB2_5094
; %bb.5087:                             ;   in Loop: Header=BB2_4850 Depth=3
	v_and_b32_e32 v8, 0x7fffff, v5
	v_bfe_u32 v5, v5, 23, 8
	v_cmp_gt_u32_e64 s[40:41], s96, v5
	v_sub_u32_e32 v9, 0x79, v5
	v_cmp_eq_u32_e32 vcc, 0, v5
	v_cndmask_b32_e64 v9, 0, v9, s[40:41]
	v_or_b32_e32 v18, 0x800000, v8
	v_cndmask_b32_e32 v16, v9, v36, vcc
	v_cndmask_b32_e32 v28, v18, v8, vcc
	v_add_u32_e32 v8, 20, v16
	v_lshlrev_b64 v[8:9], v8, -1
	v_add_u32_e32 v18, 19, v16
	v_lshlrev_b64 v[30:31], v18, 1
	v_bfi_b32 v9, v9, 0, 0
	v_bfi_b32 v8, v8, 0, v28
	v_cmp_eq_u64_e64 s[40:41], v[8:9], v[30:31]
	v_lshrrev_b64 v[8:9], v16, v[28:29]
	v_mov_b32_e32 v47, v9
	v_mov_b32_e32 v46, v8
	s_and_saveexec_b64 s[50:51], s[40:41]
; %bb.5088:                             ;   in Loop: Header=BB2_4850 Depth=3
	v_bfe_u32 v9, v8, 20, 1
	v_add_co_u32_e64 v9, s[40:41], v8, v9
	v_add_co_u32_e64 v46, s[40:41], -1, v9
; %bb.5089:                             ;   in Loop: Header=BB2_4850 Depth=3
	s_or_b64 exec, exec, s[50:51]
	v_add_u32_e32 v5, 0xffffff81, v5
	v_cndmask_b32_e32 v5, v5, v37, vcc
	v_lshrrev_b32_e32 v9, 23, v8
	v_add3_u32 v18, v16, v5, v9
	v_add_u32_e32 v16, 6, v18
	v_and_b32_e32 v5, 0xfffff, v46
	v_add_u32_e32 v28, v5, v8
	v_cmp_ne_u32_e32 vcc, 0, v16
                                        ; implicit-def: $vgpr8_vgpr9
                                        ; implicit-def: $vgpr5
	s_and_saveexec_b64 s[40:41], vcc
	s_xor_b64 s[40:41], exec, s[40:41]
; %bb.5090:                             ;   in Loop: Header=BB2_4850 Depth=3
	v_cmp_lt_u64_e32 vcc, s[88:89], v[28:29]
	v_add_u32_e32 v5, 7, v18
	v_cndmask_b32_e64 v8, 0, 1, vcc
	v_cndmask_b32_e32 v5, v16, v5, vcc
	v_lshrrev_b64 v[8:9], v8, v[28:29]
; %bb.5091:                             ;   in Loop: Header=BB2_4850 Depth=3
	s_andn2_saveexec_b64 s[40:41], s[40:41]
; %bb.5092:                             ;   in Loop: Header=BB2_4850 Depth=3
	v_mov_b32_e32 v8, v28
	v_mov_b32_e32 v9, v29
	v_bfe_u32 v5, v28, 23, 1
; %bb.5093:                             ;   in Loop: Header=BB2_4850 Depth=3
	s_or_b64 exec, exec, s[40:41]
	v_lshrrev_b64 v[8:9], 20, v[8:9]
	v_cmp_gt_i32_e32 vcc, 16, v5
	v_cndmask_b32_e32 v9, 0, v9, vcc
	v_cndmask_b32_e32 v8, 7, v8, vcc
	v_cmp_eq_u32_e32 vcc, 0, v5
	v_min_i32_e32 v5, 15, v5
	v_cmp_eq_u64_e64 s[40:41], 0, v[8:9]
	v_lshlrev_b32_e32 v5, 3, v5
	v_and_b32_e32 v5, 0xf8, v5
	v_and_or_b32 v5, v8, 7, v5
	s_and_b64 s[40:41], vcc, s[40:41]
	v_cndmask_b32_e64 v5, v5, 0, s[40:41]
	v_or_b32_e32 v31, v5, v3
.LBB2_5094:                             ;   in Loop: Header=BB2_4850 Depth=3
	s_or_b64 exec, exec, s[48:49]
                                        ; implicit-def: $vgpr3
.LBB2_5095:                             ;   in Loop: Header=BB2_4850 Depth=3
	s_andn2_saveexec_b64 s[40:41], s[38:39]
; %bb.5096:                             ;   in Loop: Header=BB2_4850 Depth=3
	v_or_b32_e32 v31, 0x7e, v3
; %bb.5097:                             ;   in Loop: Header=BB2_4850 Depth=3
	s_or_b64 exec, exec, s[40:41]
                                        ; implicit-def: $vgpr5
.LBB2_5098:                             ;   in Loop: Header=BB2_4850 Depth=3
	s_andn2_saveexec_b64 s[40:41], s[42:43]
; %bb.5099:                             ;   in Loop: Header=BB2_4850 Depth=3
	v_or_b32_sdwa v31, v5, s85 dst_sel:DWORD dst_unused:UNUSED_PAD src0_sel:BYTE_3 src1_sel:DWORD
; %bb.5100:                             ;   in Loop: Header=BB2_4850 Depth=3
	s_or_b64 exec, exec, s[40:41]
	v_cmp_lt_u32_e32 vcc, s57, v10
	v_mov_b32_e32 v3, 0
	s_and_saveexec_b64 s[40:41], vcc
	s_cbranch_execz .LBB2_5106
; %bb.5101:                             ;   in Loop: Header=BB2_4850 Depth=3
	v_lshrrev_b32_e32 v8, 24, v10
	v_cmp_ne_u32_e32 vcc, s87, v8
	v_bfrev_b32_e32 v3, 1
	s_and_saveexec_b64 s[42:43], vcc
	s_cbranch_execz .LBB2_5105
; %bb.5102:                             ;   in Loop: Header=BB2_4850 Depth=3
	v_bfe_u32 v5, v10, 24, 7
	v_cmp_ne_u32_e32 vcc, s85, v5
	v_mov_b32_e32 v3, 0x7f800001
	s_and_saveexec_b64 s[38:39], vcc
	s_cbranch_execz .LBB2_5104
; %bb.5103:                             ;   in Loop: Header=BB2_4850 Depth=3
	v_and_b32_e32 v3, 7, v8
	v_lshrrev_b32_e32 v9, 3, v5
	v_cmp_gt_u32_e32 vcc, 8, v5
	v_ffbh_u32_e32 v5, v3
	v_min_u32_e32 v5, 32, v5
	v_subrev_u32_e32 v16, 28, v5
	v_lshlrev_b64 v[53:54], v16, v[8:9]
	v_sub_u32_e32 v5, 29, v5
	v_and_b32_e32 v16, 7, v53
	v_cndmask_b32_e32 v5, v9, v5, vcc
	v_cndmask_b32_e32 v3, v3, v16, vcc
	v_lshlrev_b32_e32 v8, 24, v8
	v_lshlrev_b32_e32 v3, 20, v3
	v_and_b32_e32 v8, 0x80000000, v8
	v_lshl_add_u32 v5, v5, 23, v17
	v_or3_b32 v3, v8, v5, v3
.LBB2_5104:                             ;   in Loop: Header=BB2_4850 Depth=3
	s_or_b64 exec, exec, s[38:39]
.LBB2_5105:                             ;   in Loop: Header=BB2_4850 Depth=3
	s_or_b64 exec, exec, s[42:43]
.LBB2_5106:                             ;   in Loop: Header=BB2_4850 Depth=3
	s_or_b64 exec, exec, s[40:41]
	v_mul_f32_e32 v5, v2, v3
	v_and_b32_e32 v28, 0x7f800000, v5
	v_cmp_ne_u64_e32 vcc, s[76:77], v[28:29]
                                        ; implicit-def: $vgpr22
	s_and_saveexec_b64 s[40:41], vcc
	s_xor_b64 s[42:43], exec, s[40:41]
	s_cbranch_execz .LBB2_5120
; %bb.5107:                             ;   in Loop: Header=BB2_4850 Depth=3
	v_and_b32_e32 v28, 0x7fffffff, v5
	v_cmp_gt_u64_e32 vcc, s[78:79], v[28:29]
	v_and_b32_sdwa v3, v5, s87 dst_sel:DWORD dst_unused:UNUSED_PAD src0_sel:BYTE_3 src1_sel:DWORD
                                        ; implicit-def: $vgpr22
	s_and_saveexec_b64 s[40:41], vcc
	s_xor_b64 s[38:39], exec, s[40:41]
	s_cbranch_execz .LBB2_5117
; %bb.5108:                             ;   in Loop: Header=BB2_4850 Depth=3
	v_mov_b32_e32 v22, 0
	v_cmp_ne_u32_e32 vcc, 0, v5
	s_and_saveexec_b64 s[48:49], vcc
	s_cbranch_execz .LBB2_5116
; %bb.5109:                             ;   in Loop: Header=BB2_4850 Depth=3
	v_and_b32_e32 v8, 0x7fffff, v5
	v_bfe_u32 v5, v5, 23, 8
	v_cmp_gt_u32_e64 s[40:41], s96, v5
	v_sub_u32_e32 v9, 0x79, v5
	v_cmp_eq_u32_e32 vcc, 0, v5
	v_cndmask_b32_e64 v9, 0, v9, s[40:41]
	v_or_b32_e32 v18, 0x800000, v8
	v_cndmask_b32_e32 v16, v9, v36, vcc
	v_cndmask_b32_e32 v28, v18, v8, vcc
	v_add_u32_e32 v8, 20, v16
	v_lshlrev_b64 v[8:9], v8, -1
	v_add_u32_e32 v18, 19, v16
	v_lshlrev_b64 v[53:54], v18, 1
	v_bfi_b32 v9, v9, 0, 0
	v_bfi_b32 v8, v8, 0, v28
	v_cmp_eq_u64_e64 s[40:41], v[8:9], v[53:54]
	v_lshrrev_b64 v[8:9], v16, v[28:29]
	v_mov_b32_e32 v47, v9
	v_mov_b32_e32 v46, v8
	s_and_saveexec_b64 s[50:51], s[40:41]
; %bb.5110:                             ;   in Loop: Header=BB2_4850 Depth=3
	v_bfe_u32 v9, v8, 20, 1
	v_add_co_u32_e64 v9, s[40:41], v8, v9
	v_add_co_u32_e64 v46, s[40:41], -1, v9
; %bb.5111:                             ;   in Loop: Header=BB2_4850 Depth=3
	s_or_b64 exec, exec, s[50:51]
	v_add_u32_e32 v5, 0xffffff81, v5
	v_cndmask_b32_e32 v5, v5, v37, vcc
	v_lshrrev_b32_e32 v9, 23, v8
	v_add3_u32 v18, v16, v5, v9
	v_add_u32_e32 v16, 6, v18
	v_and_b32_e32 v5, 0xfffff, v46
	v_add_u32_e32 v28, v5, v8
	v_cmp_ne_u32_e32 vcc, 0, v16
                                        ; implicit-def: $vgpr8_vgpr9
                                        ; implicit-def: $vgpr5
	s_and_saveexec_b64 s[40:41], vcc
	s_xor_b64 s[40:41], exec, s[40:41]
; %bb.5112:                             ;   in Loop: Header=BB2_4850 Depth=3
	v_cmp_lt_u64_e32 vcc, s[88:89], v[28:29]
	v_add_u32_e32 v5, 7, v18
	v_cndmask_b32_e64 v8, 0, 1, vcc
	v_cndmask_b32_e32 v5, v16, v5, vcc
	v_lshrrev_b64 v[8:9], v8, v[28:29]
; %bb.5113:                             ;   in Loop: Header=BB2_4850 Depth=3
	s_andn2_saveexec_b64 s[40:41], s[40:41]
; %bb.5114:                             ;   in Loop: Header=BB2_4850 Depth=3
	v_mov_b32_e32 v8, v28
	v_mov_b32_e32 v9, v29
	v_bfe_u32 v5, v28, 23, 1
; %bb.5115:                             ;   in Loop: Header=BB2_4850 Depth=3
	s_or_b64 exec, exec, s[40:41]
	v_lshrrev_b64 v[8:9], 20, v[8:9]
	v_cmp_gt_i32_e32 vcc, 16, v5
	v_cndmask_b32_e32 v9, 0, v9, vcc
	v_cndmask_b32_e32 v8, 7, v8, vcc
	v_cmp_eq_u32_e32 vcc, 0, v5
	v_min_i32_e32 v5, 15, v5
	v_cmp_eq_u64_e64 s[40:41], 0, v[8:9]
	v_lshlrev_b32_e32 v5, 3, v5
	v_and_b32_e32 v5, 0xf8, v5
	v_and_or_b32 v5, v8, 7, v5
	s_and_b64 s[40:41], vcc, s[40:41]
	v_cndmask_b32_e64 v5, v5, 0, s[40:41]
	v_or_b32_e32 v22, v5, v3
.LBB2_5116:                             ;   in Loop: Header=BB2_4850 Depth=3
	s_or_b64 exec, exec, s[48:49]
                                        ; implicit-def: $vgpr3
.LBB2_5117:                             ;   in Loop: Header=BB2_4850 Depth=3
	s_andn2_saveexec_b64 s[40:41], s[38:39]
; %bb.5118:                             ;   in Loop: Header=BB2_4850 Depth=3
	v_or_b32_e32 v22, 0x7e, v3
; %bb.5119:                             ;   in Loop: Header=BB2_4850 Depth=3
	s_or_b64 exec, exec, s[40:41]
                                        ; implicit-def: $vgpr5
.LBB2_5120:                             ;   in Loop: Header=BB2_4850 Depth=3
	s_andn2_saveexec_b64 s[40:41], s[42:43]
; %bb.5121:                             ;   in Loop: Header=BB2_4850 Depth=3
	v_or_b32_sdwa v22, v5, s85 dst_sel:DWORD dst_unused:UNUSED_PAD src0_sel:BYTE_3 src1_sel:DWORD
; %bb.5122:                             ;   in Loop: Header=BB2_4850 Depth=3
	s_or_b64 exec, exec, s[40:41]
	v_mov_b32_e32 v28, v11
	v_cmp_ne_u16_sdwa s[42:43], v11, v29 src0_sel:BYTE_0 src1_sel:DWORD
	v_mov_b32_e32 v3, 0
	s_and_saveexec_b64 s[40:41], s[42:43]
	s_cbranch_execz .LBB2_5128
; %bb.5123:                             ;   in Loop: Header=BB2_4850 Depth=3
	v_cmp_ne_u16_sdwa vcc, v11, s87 src0_sel:BYTE_0 src1_sel:DWORD
	v_bfrev_b32_e32 v3, 1
	s_and_saveexec_b64 s[42:43], vcc
	s_cbranch_execz .LBB2_5127
; %bb.5124:                             ;   in Loop: Header=BB2_4850 Depth=3
	v_and_b32_e32 v5, 0x7f, v11
	v_cmp_ne_u32_e32 vcc, s85, v5
	v_mov_b32_e32 v3, 0x7f800001
	s_and_saveexec_b64 s[38:39], vcc
	s_cbranch_execz .LBB2_5126
; %bb.5125:                             ;   in Loop: Header=BB2_4850 Depth=3
	v_and_b32_e32 v3, 7, v11
	v_ffbh_u32_e32 v3, v3
	v_min_u32_e32 v3, 32, v3
	v_lshrrev_b32_e32 v8, 3, v5
	v_cmp_gt_u32_e32 vcc, 8, v5
	v_subrev_u32_e32 v5, 28, v3
	v_sub_u32_e32 v3, 29, v3
	v_cndmask_b32_e32 v5, 0, v5, vcc
	v_cndmask_b32_e32 v3, v8, v3, vcc
	v_lshlrev_b64 v[8:9], v5, v[28:29]
	v_lshl_add_u32 v3, v3, 23, v17
	v_lshlrev_b32_e32 v5, 20, v8
	v_lshlrev_b32_e32 v8, 24, v28
	v_and_b32_e32 v5, 0x700000, v5
	v_and_b32_e32 v8, 0x80000000, v8
	v_or3_b32 v3, v8, v3, v5
.LBB2_5126:                             ;   in Loop: Header=BB2_4850 Depth=3
	s_or_b64 exec, exec, s[38:39]
.LBB2_5127:                             ;   in Loop: Header=BB2_4850 Depth=3
	s_or_b64 exec, exec, s[42:43]
.LBB2_5128:                             ;   in Loop: Header=BB2_4850 Depth=3
	s_or_b64 exec, exec, s[40:41]
	v_mul_f32_e32 v5, v2, v3
	v_and_b32_e32 v8, 0x7f800000, v5
	v_mov_b32_e32 v9, v29
	v_cmp_ne_u64_e32 vcc, s[76:77], v[8:9]
                                        ; implicit-def: $vgpr18
	s_and_saveexec_b64 s[40:41], vcc
	s_xor_b64 s[42:43], exec, s[40:41]
	s_cbranch_execz .LBB2_5142
; %bb.5129:                             ;   in Loop: Header=BB2_4850 Depth=3
	v_and_b32_e32 v8, 0x7fffffff, v5
	v_mov_b32_e32 v9, v29
	v_cmp_gt_u64_e32 vcc, s[78:79], v[8:9]
	v_and_b32_sdwa v3, v5, s87 dst_sel:DWORD dst_unused:UNUSED_PAD src0_sel:BYTE_3 src1_sel:DWORD
                                        ; implicit-def: $vgpr18
	s_and_saveexec_b64 s[40:41], vcc
	s_xor_b64 s[38:39], exec, s[40:41]
	s_cbranch_execz .LBB2_5139
; %bb.5130:                             ;   in Loop: Header=BB2_4850 Depth=3
	v_mov_b32_e32 v18, 0
	v_cmp_ne_u32_e32 vcc, 0, v5
	s_and_saveexec_b64 s[48:49], vcc
	s_cbranch_execz .LBB2_5138
; %bb.5131:                             ;   in Loop: Header=BB2_4850 Depth=3
	v_and_b32_e32 v8, 0x7fffff, v5
	v_bfe_u32 v5, v5, 23, 8
	v_cmp_gt_u32_e64 s[40:41], s96, v5
	v_sub_u32_e32 v9, 0x79, v5
	v_cmp_eq_u32_e32 vcc, 0, v5
	v_cndmask_b32_e64 v9, 0, v9, s[40:41]
	v_or_b32_e32 v18, 0x800000, v8
	v_cndmask_b32_e32 v16, v9, v36, vcc
	v_cndmask_b32_e32 v8, v18, v8, vcc
	v_add_u32_e32 v18, 20, v16
	v_lshlrev_b64 v[53:54], v18, -1
	v_mov_b32_e32 v9, v29
	v_add_u32_e32 v18, 19, v16
	v_bfi_b32 v53, v53, 0, v8
	v_lshlrev_b64 v[46:47], v18, 1
	v_lshrrev_b64 v[8:9], v16, v[8:9]
	v_bfi_b32 v54, v54, 0, 0
	v_cmp_eq_u64_e64 s[40:41], v[53:54], v[46:47]
	v_mov_b32_e32 v47, v9
	v_mov_b32_e32 v46, v8
	s_and_saveexec_b64 s[50:51], s[40:41]
; %bb.5132:                             ;   in Loop: Header=BB2_4850 Depth=3
	v_bfe_u32 v9, v8, 20, 1
	v_add_co_u32_e64 v9, s[40:41], v8, v9
	v_add_co_u32_e64 v46, s[40:41], -1, v9
; %bb.5133:                             ;   in Loop: Header=BB2_4850 Depth=3
	s_or_b64 exec, exec, s[50:51]
	v_add_u32_e32 v5, 0xffffff81, v5
	v_cndmask_b32_e32 v5, v5, v37, vcc
	v_lshrrev_b32_e32 v9, 23, v8
	v_add3_u32 v18, v16, v5, v9
	v_add_u32_e32 v16, 6, v18
	v_and_b32_e32 v5, 0xfffff, v46
	v_add_u32_e32 v8, v5, v8
	v_mov_b32_e32 v9, v29
	v_cmp_ne_u32_e32 vcc, 0, v16
                                        ; implicit-def: $vgpr5
	s_and_saveexec_b64 s[40:41], vcc
	s_xor_b64 s[40:41], exec, s[40:41]
; %bb.5134:                             ;   in Loop: Header=BB2_4850 Depth=3
	v_cmp_lt_u64_e32 vcc, s[88:89], v[8:9]
	v_add_u32_e32 v5, 7, v18
	v_cndmask_b32_e32 v5, v16, v5, vcc
	v_cndmask_b32_e64 v16, 0, 1, vcc
	v_lshrrev_b64 v[8:9], v16, v[8:9]
; %bb.5135:                             ;   in Loop: Header=BB2_4850 Depth=3
	s_andn2_saveexec_b64 s[40:41], s[40:41]
; %bb.5136:                             ;   in Loop: Header=BB2_4850 Depth=3
	v_bfe_u32 v5, v8, 23, 1
; %bb.5137:                             ;   in Loop: Header=BB2_4850 Depth=3
	s_or_b64 exec, exec, s[40:41]
	v_lshrrev_b64 v[8:9], 20, v[8:9]
	v_cmp_gt_i32_e32 vcc, 16, v5
	v_cndmask_b32_e32 v9, 0, v9, vcc
	v_cndmask_b32_e32 v8, 7, v8, vcc
	v_cmp_eq_u32_e32 vcc, 0, v5
	v_min_i32_e32 v5, 15, v5
	v_cmp_eq_u64_e64 s[40:41], 0, v[8:9]
	v_lshlrev_b32_e32 v5, 3, v5
	v_and_b32_e32 v5, 0xf8, v5
	v_and_or_b32 v5, v8, 7, v5
	s_and_b64 s[40:41], vcc, s[40:41]
	v_cndmask_b32_e64 v5, v5, 0, s[40:41]
	v_or_b32_e32 v18, v5, v3
.LBB2_5138:                             ;   in Loop: Header=BB2_4850 Depth=3
	s_or_b64 exec, exec, s[48:49]
                                        ; implicit-def: $vgpr3
.LBB2_5139:                             ;   in Loop: Header=BB2_4850 Depth=3
	s_andn2_saveexec_b64 s[40:41], s[38:39]
; %bb.5140:                             ;   in Loop: Header=BB2_4850 Depth=3
	v_or_b32_e32 v18, 0x7e, v3
; %bb.5141:                             ;   in Loop: Header=BB2_4850 Depth=3
	s_or_b64 exec, exec, s[40:41]
                                        ; implicit-def: $vgpr5
.LBB2_5142:                             ;   in Loop: Header=BB2_4850 Depth=3
	s_andn2_saveexec_b64 s[40:41], s[42:43]
; %bb.5143:                             ;   in Loop: Header=BB2_4850 Depth=3
	v_or_b32_sdwa v18, v5, s85 dst_sel:DWORD dst_unused:UNUSED_PAD src0_sel:BYTE_3 src1_sel:DWORD
; %bb.5144:                             ;   in Loop: Header=BB2_4850 Depth=3
	s_or_b64 exec, exec, s[40:41]
	v_lshrrev_b16_e32 v8, 8, v28
	v_cmp_ne_u16_e32 vcc, 0, v8
	v_mov_b32_e32 v3, 0
	s_and_saveexec_b64 s[40:41], vcc
	s_cbranch_execz .LBB2_5150
; %bb.5145:                             ;   in Loop: Header=BB2_4850 Depth=3
	v_cmp_ne_u16_e32 vcc, s87, v8
	v_bfrev_b32_e32 v3, 1
	s_and_saveexec_b64 s[42:43], vcc
	s_cbranch_execz .LBB2_5149
; %bb.5146:                             ;   in Loop: Header=BB2_4850 Depth=3
	v_and_b32_e32 v5, 0x7f, v8
	v_cmp_ne_u32_e32 vcc, s85, v5
	v_mov_b32_e32 v3, 0x7f800001
	s_and_saveexec_b64 s[38:39], vcc
	s_cbranch_execz .LBB2_5148
; %bb.5147:                             ;   in Loop: Header=BB2_4850 Depth=3
	v_and_b32_e32 v3, 7, v8
	v_lshrrev_b32_e32 v16, 3, v5
	v_cmp_gt_u32_e32 vcc, 8, v5
	v_ffbh_u32_e32 v5, v3
	v_min_u32_e32 v5, 32, v5
	v_subrev_u32_e32 v9, 28, v5
	v_lshlrev_b64 v[8:9], v9, v[8:9]
	v_sub_u32_e32 v5, 29, v5
	v_and_b32_e32 v8, 7, v8
	v_cndmask_b32_e32 v5, v16, v5, vcc
	v_cndmask_b32_e32 v3, v3, v8, vcc
	v_lshlrev_b32_e32 v8, 16, v28
	v_lshlrev_b32_e32 v3, 20, v3
	v_and_b32_e32 v8, 0x80000000, v8
	v_lshl_add_u32 v5, v5, 23, v17
	v_or3_b32 v3, v8, v5, v3
.LBB2_5148:                             ;   in Loop: Header=BB2_4850 Depth=3
	s_or_b64 exec, exec, s[38:39]
.LBB2_5149:                             ;   in Loop: Header=BB2_4850 Depth=3
	s_or_b64 exec, exec, s[42:43]
.LBB2_5150:                             ;   in Loop: Header=BB2_4850 Depth=3
	s_or_b64 exec, exec, s[40:41]
	v_mul_f32_e32 v5, v2, v3
	v_and_b32_e32 v28, 0x7f800000, v5
	v_cmp_ne_u64_e32 vcc, s[76:77], v[28:29]
                                        ; implicit-def: $vgpr16
	s_and_saveexec_b64 s[40:41], vcc
	s_xor_b64 s[42:43], exec, s[40:41]
	s_cbranch_execz .LBB2_5164
; %bb.5151:                             ;   in Loop: Header=BB2_4850 Depth=3
	v_and_b32_e32 v28, 0x7fffffff, v5
	v_cmp_gt_u64_e32 vcc, s[78:79], v[28:29]
	v_and_b32_sdwa v3, v5, s87 dst_sel:DWORD dst_unused:UNUSED_PAD src0_sel:BYTE_3 src1_sel:DWORD
                                        ; implicit-def: $vgpr16
	s_and_saveexec_b64 s[40:41], vcc
	s_xor_b64 s[38:39], exec, s[40:41]
	s_cbranch_execz .LBB2_5161
; %bb.5152:                             ;   in Loop: Header=BB2_4850 Depth=3
	v_mov_b32_e32 v16, 0
	v_cmp_ne_u32_e32 vcc, 0, v5
	s_and_saveexec_b64 s[48:49], vcc
	s_cbranch_execz .LBB2_5160
; %bb.5153:                             ;   in Loop: Header=BB2_4850 Depth=3
	v_and_b32_e32 v8, 0x7fffff, v5
	v_bfe_u32 v5, v5, 23, 8
	v_cmp_gt_u32_e64 s[40:41], s96, v5
	v_sub_u32_e32 v9, 0x79, v5
	v_cmp_eq_u32_e32 vcc, 0, v5
	v_cndmask_b32_e64 v9, 0, v9, s[40:41]
	v_or_b32_e32 v28, 0x800000, v8
	v_cndmask_b32_e32 v16, v9, v36, vcc
	v_cndmask_b32_e32 v28, v28, v8, vcc
	v_add_u32_e32 v8, 20, v16
	v_lshlrev_b64 v[8:9], v8, -1
	v_add_u32_e32 v30, 19, v16
	v_lshlrev_b64 v[53:54], v30, 1
	v_bfi_b32 v9, v9, 0, 0
	v_bfi_b32 v8, v8, 0, v28
	v_cmp_eq_u64_e64 s[40:41], v[8:9], v[53:54]
	v_lshrrev_b64 v[8:9], v16, v[28:29]
	v_mov_b32_e32 v47, v9
	v_mov_b32_e32 v46, v8
	s_and_saveexec_b64 s[50:51], s[40:41]
; %bb.5154:                             ;   in Loop: Header=BB2_4850 Depth=3
	v_bfe_u32 v9, v8, 20, 1
	v_add_co_u32_e64 v9, s[40:41], v8, v9
	v_add_co_u32_e64 v46, s[40:41], -1, v9
; %bb.5155:                             ;   in Loop: Header=BB2_4850 Depth=3
	s_or_b64 exec, exec, s[50:51]
	v_add_u32_e32 v5, 0xffffff81, v5
	v_cndmask_b32_e32 v5, v5, v37, vcc
	v_lshrrev_b32_e32 v9, 23, v8
	v_add3_u32 v30, v16, v5, v9
	v_add_u32_e32 v16, 6, v30
	v_and_b32_e32 v5, 0xfffff, v46
	v_add_u32_e32 v28, v5, v8
	v_cmp_ne_u32_e32 vcc, 0, v16
                                        ; implicit-def: $vgpr8_vgpr9
                                        ; implicit-def: $vgpr5
	s_and_saveexec_b64 s[40:41], vcc
	s_xor_b64 s[40:41], exec, s[40:41]
; %bb.5156:                             ;   in Loop: Header=BB2_4850 Depth=3
	v_cmp_lt_u64_e32 vcc, s[88:89], v[28:29]
	v_add_u32_e32 v5, 7, v30
	v_cndmask_b32_e64 v8, 0, 1, vcc
	v_cndmask_b32_e32 v5, v16, v5, vcc
	v_lshrrev_b64 v[8:9], v8, v[28:29]
; %bb.5157:                             ;   in Loop: Header=BB2_4850 Depth=3
	s_andn2_saveexec_b64 s[40:41], s[40:41]
; %bb.5158:                             ;   in Loop: Header=BB2_4850 Depth=3
	v_mov_b32_e32 v8, v28
	v_mov_b32_e32 v9, v29
	v_bfe_u32 v5, v28, 23, 1
; %bb.5159:                             ;   in Loop: Header=BB2_4850 Depth=3
	s_or_b64 exec, exec, s[40:41]
	v_lshrrev_b64 v[8:9], 20, v[8:9]
	v_cmp_gt_i32_e32 vcc, 16, v5
	v_cndmask_b32_e32 v9, 0, v9, vcc
	v_cndmask_b32_e32 v8, 7, v8, vcc
	v_cmp_eq_u32_e32 vcc, 0, v5
	v_min_i32_e32 v5, 15, v5
	v_cmp_eq_u64_e64 s[40:41], 0, v[8:9]
	v_lshlrev_b32_e32 v5, 3, v5
	v_and_b32_e32 v5, 0xf8, v5
	v_and_or_b32 v5, v8, 7, v5
	s_and_b64 s[40:41], vcc, s[40:41]
	v_cndmask_b32_e64 v5, v5, 0, s[40:41]
	v_or_b32_e32 v16, v5, v3
.LBB2_5160:                             ;   in Loop: Header=BB2_4850 Depth=3
	s_or_b64 exec, exec, s[48:49]
                                        ; implicit-def: $vgpr3
.LBB2_5161:                             ;   in Loop: Header=BB2_4850 Depth=3
	s_andn2_saveexec_b64 s[40:41], s[38:39]
; %bb.5162:                             ;   in Loop: Header=BB2_4850 Depth=3
	v_or_b32_e32 v16, 0x7e, v3
; %bb.5163:                             ;   in Loop: Header=BB2_4850 Depth=3
	s_or_b64 exec, exec, s[40:41]
                                        ; implicit-def: $vgpr5
.LBB2_5164:                             ;   in Loop: Header=BB2_4850 Depth=3
	s_andn2_saveexec_b64 s[40:41], s[42:43]
; %bb.5165:                             ;   in Loop: Header=BB2_4850 Depth=3
	v_or_b32_sdwa v16, v5, s85 dst_sel:DWORD dst_unused:UNUSED_PAD src0_sel:BYTE_3 src1_sel:DWORD
; %bb.5166:                             ;   in Loop: Header=BB2_4850 Depth=3
	s_or_b64 exec, exec, s[40:41]
	v_lshrrev_b32_e32 v8, 16, v11
	v_cmp_ne_u16_sdwa s[42:43], v8, v29 src0_sel:BYTE_0 src1_sel:DWORD
	v_mov_b32_e32 v3, 0
	s_and_saveexec_b64 s[40:41], s[42:43]
	s_cbranch_execz .LBB2_5172
; %bb.5167:                             ;   in Loop: Header=BB2_4850 Depth=3
	v_cmp_ne_u16_sdwa vcc, v8, s87 src0_sel:BYTE_0 src1_sel:DWORD
	v_bfrev_b32_e32 v3, 1
	s_and_saveexec_b64 s[42:43], vcc
	s_cbranch_execz .LBB2_5171
; %bb.5168:                             ;   in Loop: Header=BB2_4850 Depth=3
	v_bfe_u32 v5, v11, 16, 7
	v_cmp_ne_u32_e32 vcc, s85, v5
	v_mov_b32_e32 v3, 0x7f800001
	s_and_saveexec_b64 s[38:39], vcc
	s_cbranch_execz .LBB2_5170
; %bb.5169:                             ;   in Loop: Header=BB2_4850 Depth=3
	v_and_b32_e32 v3, 7, v8
	v_lshrrev_b32_e32 v9, 3, v5
	v_cmp_gt_u32_e32 vcc, 8, v5
	v_ffbh_u32_e32 v5, v3
	v_min_u32_e32 v5, 32, v5
	v_subrev_u32_e32 v28, 28, v5
	v_lshlrev_b64 v[53:54], v28, v[8:9]
	v_sub_u32_e32 v5, 29, v5
	v_and_b32_e32 v28, 7, v53
	v_cndmask_b32_e32 v5, v9, v5, vcc
	v_cndmask_b32_e32 v3, v3, v28, vcc
	v_lshlrev_b32_e32 v8, 24, v8
	v_lshlrev_b32_e32 v3, 20, v3
	v_and_b32_e32 v8, 0x80000000, v8
	v_lshl_add_u32 v5, v5, 23, v17
	v_or3_b32 v3, v8, v5, v3
.LBB2_5170:                             ;   in Loop: Header=BB2_4850 Depth=3
	s_or_b64 exec, exec, s[38:39]
.LBB2_5171:                             ;   in Loop: Header=BB2_4850 Depth=3
	s_or_b64 exec, exec, s[42:43]
.LBB2_5172:                             ;   in Loop: Header=BB2_4850 Depth=3
	s_or_b64 exec, exec, s[40:41]
	v_mul_f32_e32 v8, v2, v3
	v_and_b32_e32 v28, 0x7f800000, v8
	v_cmp_ne_u64_e32 vcc, s[76:77], v[28:29]
                                        ; implicit-def: $vgpr5
	s_and_saveexec_b64 s[40:41], vcc
	s_xor_b64 s[42:43], exec, s[40:41]
	s_cbranch_execz .LBB2_5186
; %bb.5173:                             ;   in Loop: Header=BB2_4850 Depth=3
	v_and_b32_e32 v28, 0x7fffffff, v8
	v_cmp_gt_u64_e32 vcc, s[78:79], v[28:29]
	v_and_b32_sdwa v3, v8, s87 dst_sel:DWORD dst_unused:UNUSED_PAD src0_sel:BYTE_3 src1_sel:DWORD
                                        ; implicit-def: $vgpr5
	s_and_saveexec_b64 s[40:41], vcc
	s_xor_b64 s[38:39], exec, s[40:41]
	s_cbranch_execz .LBB2_5183
; %bb.5174:                             ;   in Loop: Header=BB2_4850 Depth=3
	v_mov_b32_e32 v5, 0
	v_cmp_ne_u32_e32 vcc, 0, v8
	s_and_saveexec_b64 s[48:49], vcc
	s_cbranch_execz .LBB2_5182
; %bb.5175:                             ;   in Loop: Header=BB2_4850 Depth=3
	v_bfe_u32 v5, v8, 23, 8
	v_and_b32_e32 v9, 0x7fffff, v8
	v_cmp_gt_u32_e64 s[40:41], s96, v5
	v_sub_u32_e32 v8, 0x79, v5
	v_cmp_eq_u32_e32 vcc, 0, v5
	v_cndmask_b32_e64 v8, 0, v8, s[40:41]
	v_cndmask_b32_e32 v30, v8, v36, vcc
	v_or_b32_e32 v28, 0x800000, v9
	v_add_u32_e32 v8, 20, v30
	v_cndmask_b32_e32 v28, v28, v9, vcc
	v_lshlrev_b64 v[8:9], v8, -1
	v_add_u32_e32 v53, 19, v30
	v_lshlrev_b64 v[53:54], v53, 1
	v_bfi_b32 v9, v9, 0, 0
	v_bfi_b32 v8, v8, 0, v28
	v_cmp_eq_u64_e64 s[40:41], v[8:9], v[53:54]
	v_lshrrev_b64 v[8:9], v30, v[28:29]
	v_mov_b32_e32 v47, v9
	v_mov_b32_e32 v46, v8
	s_and_saveexec_b64 s[50:51], s[40:41]
; %bb.5176:                             ;   in Loop: Header=BB2_4850 Depth=3
	v_bfe_u32 v9, v8, 20, 1
	v_add_co_u32_e64 v9, s[40:41], v8, v9
	v_add_co_u32_e64 v46, s[40:41], -1, v9
; %bb.5177:                             ;   in Loop: Header=BB2_4850 Depth=3
	s_or_b64 exec, exec, s[50:51]
	v_add_u32_e32 v5, 0xffffff81, v5
	v_cndmask_b32_e32 v5, v5, v37, vcc
	v_lshrrev_b32_e32 v9, 23, v8
	v_add3_u32 v55, v30, v5, v9
	v_add_u32_e32 v30, 6, v55
	v_and_b32_e32 v5, 0xfffff, v46
	v_add_u32_e32 v28, v5, v8
	v_cmp_ne_u32_e32 vcc, 0, v30
                                        ; implicit-def: $vgpr8_vgpr9
                                        ; implicit-def: $vgpr5
	s_and_saveexec_b64 s[40:41], vcc
	s_xor_b64 s[40:41], exec, s[40:41]
; %bb.5178:                             ;   in Loop: Header=BB2_4850 Depth=3
	v_cmp_lt_u64_e32 vcc, s[88:89], v[28:29]
	v_add_u32_e32 v5, 7, v55
	v_cndmask_b32_e64 v8, 0, 1, vcc
	v_cndmask_b32_e32 v5, v30, v5, vcc
	v_lshrrev_b64 v[8:9], v8, v[28:29]
; %bb.5179:                             ;   in Loop: Header=BB2_4850 Depth=3
	s_andn2_saveexec_b64 s[40:41], s[40:41]
; %bb.5180:                             ;   in Loop: Header=BB2_4850 Depth=3
	v_mov_b32_e32 v8, v28
	v_mov_b32_e32 v9, v29
	v_bfe_u32 v5, v28, 23, 1
; %bb.5181:                             ;   in Loop: Header=BB2_4850 Depth=3
	s_or_b64 exec, exec, s[40:41]
	v_lshrrev_b64 v[8:9], 20, v[8:9]
	v_cmp_gt_i32_e32 vcc, 16, v5
	v_cndmask_b32_e32 v9, 0, v9, vcc
	v_cndmask_b32_e32 v8, 7, v8, vcc
	v_cmp_eq_u32_e32 vcc, 0, v5
	v_min_i32_e32 v5, 15, v5
	v_cmp_eq_u64_e64 s[40:41], 0, v[8:9]
	v_lshlrev_b32_e32 v5, 3, v5
	v_and_b32_e32 v5, 0xf8, v5
	v_and_or_b32 v5, v8, 7, v5
	s_and_b64 s[40:41], vcc, s[40:41]
	v_cndmask_b32_e64 v5, v5, 0, s[40:41]
	v_or_b32_e32 v5, v5, v3
.LBB2_5182:                             ;   in Loop: Header=BB2_4850 Depth=3
	s_or_b64 exec, exec, s[48:49]
                                        ; implicit-def: $vgpr3
.LBB2_5183:                             ;   in Loop: Header=BB2_4850 Depth=3
	s_andn2_saveexec_b64 s[40:41], s[38:39]
; %bb.5184:                             ;   in Loop: Header=BB2_4850 Depth=3
	v_or_b32_e32 v5, 0x7e, v3
; %bb.5185:                             ;   in Loop: Header=BB2_4850 Depth=3
	s_or_b64 exec, exec, s[40:41]
                                        ; implicit-def: $vgpr8
.LBB2_5186:                             ;   in Loop: Header=BB2_4850 Depth=3
	s_andn2_saveexec_b64 s[40:41], s[42:43]
; %bb.5187:                             ;   in Loop: Header=BB2_4850 Depth=3
	v_or_b32_sdwa v5, v8, s85 dst_sel:DWORD dst_unused:UNUSED_PAD src0_sel:BYTE_3 src1_sel:DWORD
; %bb.5188:                             ;   in Loop: Header=BB2_4850 Depth=3
	s_or_b64 exec, exec, s[40:41]
	v_cmp_lt_u64_e32 vcc, s[56:57], v[10:11]
	v_mov_b32_e32 v3, 0
	s_and_saveexec_b64 s[40:41], vcc
	s_cbranch_execz .LBB2_5194
; %bb.5189:                             ;   in Loop: Header=BB2_4850 Depth=3
	v_lshrrev_b32_e32 v8, 24, v11
	v_cmp_ne_u32_e32 vcc, s87, v8
	v_bfrev_b32_e32 v3, 1
	s_and_saveexec_b64 s[42:43], vcc
	s_cbranch_execz .LBB2_5193
; %bb.5190:                             ;   in Loop: Header=BB2_4850 Depth=3
	v_bfe_u32 v9, v11, 24, 7
	v_cmp_ne_u32_e32 vcc, s85, v9
	v_mov_b32_e32 v3, 0x7f800001
	s_and_saveexec_b64 s[38:39], vcc
	s_cbranch_execz .LBB2_5192
; %bb.5191:                             ;   in Loop: Header=BB2_4850 Depth=3
	v_and_b32_e32 v3, 7, v8
	v_lshrrev_b32_e32 v11, 3, v9
	v_cmp_gt_u32_e32 vcc, 8, v9
	v_ffbh_u32_e32 v9, v3
	v_min_u32_e32 v28, 32, v9
	v_subrev_u32_e32 v9, 28, v28
	v_lshlrev_b64 v[9:10], v9, v[8:9]
	v_sub_u32_e32 v10, 29, v28
	v_and_b32_e32 v9, 7, v9
	v_cndmask_b32_e32 v10, v11, v10, vcc
	v_cndmask_b32_e32 v3, v3, v9, vcc
	v_lshlrev_b32_e32 v8, 24, v8
	v_lshlrev_b32_e32 v3, 20, v3
	v_and_b32_e32 v8, 0x80000000, v8
	v_lshl_add_u32 v9, v10, 23, v17
	v_or3_b32 v3, v8, v9, v3
.LBB2_5192:                             ;   in Loop: Header=BB2_4850 Depth=3
	s_or_b64 exec, exec, s[38:39]
.LBB2_5193:                             ;   in Loop: Header=BB2_4850 Depth=3
	s_or_b64 exec, exec, s[42:43]
.LBB2_5194:                             ;   in Loop: Header=BB2_4850 Depth=3
	s_or_b64 exec, exec, s[40:41]
	v_mul_f32_e32 v8, v2, v3
	v_and_b32_e32 v28, 0x7f800000, v8
	v_cmp_ne_u64_e32 vcc, s[76:77], v[28:29]
                                        ; implicit-def: $vgpr3
	s_and_saveexec_b64 s[40:41], vcc
	s_xor_b64 s[42:43], exec, s[40:41]
	s_cbranch_execz .LBB2_5208
; %bb.5195:                             ;   in Loop: Header=BB2_4850 Depth=3
	v_and_b32_e32 v28, 0x7fffffff, v8
	v_cmp_gt_u64_e32 vcc, s[78:79], v[28:29]
	v_and_b32_sdwa v2, v8, s87 dst_sel:DWORD dst_unused:UNUSED_PAD src0_sel:BYTE_3 src1_sel:DWORD
                                        ; implicit-def: $vgpr3
	s_and_saveexec_b64 s[40:41], vcc
	s_xor_b64 s[38:39], exec, s[40:41]
	s_cbranch_execz .LBB2_5205
; %bb.5196:                             ;   in Loop: Header=BB2_4850 Depth=3
	v_mov_b32_e32 v3, 0
	v_cmp_ne_u32_e32 vcc, 0, v8
	s_and_saveexec_b64 s[48:49], vcc
	s_cbranch_execz .LBB2_5204
; %bb.5197:                             ;   in Loop: Header=BB2_4850 Depth=3
	v_bfe_u32 v3, v8, 23, 8
	v_and_b32_e32 v9, 0x7fffff, v8
	v_cmp_gt_u32_e64 s[40:41], s96, v3
	v_sub_u32_e32 v8, 0x79, v3
	v_cmp_eq_u32_e32 vcc, 0, v3
	v_cndmask_b32_e64 v8, 0, v8, s[40:41]
	v_cndmask_b32_e32 v11, v8, v36, vcc
	v_or_b32_e32 v10, 0x800000, v9
	v_add_u32_e32 v8, 20, v11
	v_cndmask_b32_e32 v28, v10, v9, vcc
	v_lshlrev_b64 v[8:9], v8, -1
	v_add_u32_e32 v10, 19, v11
	v_lshlrev_b64 v[53:54], v10, 1
	v_bfi_b32 v9, v9, 0, 0
	v_bfi_b32 v8, v8, 0, v28
	v_cmp_eq_u64_e64 s[40:41], v[8:9], v[53:54]
	v_lshrrev_b64 v[8:9], v11, v[28:29]
	v_mov_b32_e32 v10, v9
	v_mov_b32_e32 v9, v8
	s_and_saveexec_b64 s[50:51], s[40:41]
; %bb.5198:                             ;   in Loop: Header=BB2_4850 Depth=3
	v_bfe_u32 v9, v8, 20, 1
	v_add_co_u32_e64 v9, s[40:41], v8, v9
	v_add_co_u32_e64 v9, s[40:41], -1, v9
; %bb.5199:                             ;   in Loop: Header=BB2_4850 Depth=3
	s_or_b64 exec, exec, s[50:51]
	v_add_u32_e32 v3, 0xffffff81, v3
	v_cndmask_b32_e32 v3, v3, v37, vcc
	v_lshrrev_b32_e32 v10, 23, v8
	v_add3_u32 v11, v11, v3, v10
	v_add_u32_e32 v10, 6, v11
	v_and_b32_e32 v3, 0xfffff, v9
	v_add_u32_e32 v28, v3, v8
	v_cmp_ne_u32_e32 vcc, 0, v10
                                        ; implicit-def: $vgpr8_vgpr9
                                        ; implicit-def: $vgpr3
	s_and_saveexec_b64 s[40:41], vcc
	s_xor_b64 s[40:41], exec, s[40:41]
; %bb.5200:                             ;   in Loop: Header=BB2_4850 Depth=3
	v_cmp_lt_u64_e32 vcc, s[88:89], v[28:29]
	v_add_u32_e32 v3, 7, v11
	v_cndmask_b32_e64 v8, 0, 1, vcc
	v_cndmask_b32_e32 v3, v10, v3, vcc
	v_lshrrev_b64 v[8:9], v8, v[28:29]
; %bb.5201:                             ;   in Loop: Header=BB2_4850 Depth=3
	s_andn2_saveexec_b64 s[40:41], s[40:41]
; %bb.5202:                             ;   in Loop: Header=BB2_4850 Depth=3
	v_mov_b32_e32 v8, v28
	v_mov_b32_e32 v9, v29
	v_bfe_u32 v3, v28, 23, 1
; %bb.5203:                             ;   in Loop: Header=BB2_4850 Depth=3
	s_or_b64 exec, exec, s[40:41]
	v_lshrrev_b64 v[8:9], 20, v[8:9]
	v_cmp_gt_i32_e32 vcc, 16, v3
	v_cndmask_b32_e32 v9, 0, v9, vcc
	v_cndmask_b32_e32 v8, 7, v8, vcc
	v_cmp_eq_u32_e32 vcc, 0, v3
	v_min_i32_e32 v3, 15, v3
	v_cmp_eq_u64_e64 s[40:41], 0, v[8:9]
	v_lshlrev_b32_e32 v3, 3, v3
	v_and_b32_e32 v3, 0xf8, v3
	v_and_or_b32 v3, v8, 7, v3
	s_and_b64 s[40:41], vcc, s[40:41]
	v_cndmask_b32_e64 v3, v3, 0, s[40:41]
	v_or_b32_e32 v3, v3, v2
.LBB2_5204:                             ;   in Loop: Header=BB2_4850 Depth=3
	s_or_b64 exec, exec, s[48:49]
                                        ; implicit-def: $vgpr2
.LBB2_5205:                             ;   in Loop: Header=BB2_4850 Depth=3
	s_andn2_saveexec_b64 s[40:41], s[38:39]
; %bb.5206:                             ;   in Loop: Header=BB2_4850 Depth=3
	v_or_b32_e32 v3, 0x7e, v2
; %bb.5207:                             ;   in Loop: Header=BB2_4850 Depth=3
	s_or_b64 exec, exec, s[40:41]
                                        ; implicit-def: $vgpr8
.LBB2_5208:                             ;   in Loop: Header=BB2_4850 Depth=3
	s_andn2_saveexec_b64 s[40:41], s[42:43]
; %bb.5209:                             ;   in Loop: Header=BB2_4850 Depth=3
	v_or_b32_sdwa v3, v8, s85 dst_sel:DWORD dst_unused:UNUSED_PAD src0_sel:BYTE_3 src1_sel:DWORD
; %bb.5210:                             ;   in Loop: Header=BB2_4850 Depth=3
	s_or_b64 exec, exec, s[40:41]
	v_lshl_or_b32 v2, v6, 8, v1
	v_lshlrev_b32_e32 v6, 16, v25
	v_lshlrev_b32_e32 v8, 24, v35
	v_or3_b32 v28, v6, v8, v2
	global_load_dwordx4 v[8:11], v[44:45], off glc slc
	v_cmp_ne_u32_e32 vcc, 0, v1
	v_mov_b32_e32 v6, 0
	s_and_saveexec_b64 s[40:41], vcc
	s_cbranch_execz .LBB2_5216
; %bb.5211:                             ;   in Loop: Header=BB2_4850 Depth=3
	v_cmp_ne_u32_e32 vcc, s87, v1
	v_bfrev_b32_e32 v6, 1
	s_and_saveexec_b64 s[42:43], vcc
	s_cbranch_execz .LBB2_5215
; %bb.5212:                             ;   in Loop: Header=BB2_4850 Depth=3
	v_and_b32_e32 v25, 0x7f, v1
	v_cmp_ne_u32_e32 vcc, s85, v25
	v_mov_b32_e32 v6, 0x7f800001
	s_and_saveexec_b64 s[38:39], vcc
	s_cbranch_execz .LBB2_5214
; %bb.5213:                             ;   in Loop: Header=BB2_4850 Depth=3
	v_and_b32_e32 v1, 7, v1
	v_ffbh_u32_e32 v1, v1
	v_min_u32_e32 v1, 32, v1
	v_lshrrev_b32_e32 v6, 3, v25
	v_cmp_gt_u32_e32 vcc, 8, v25
	v_subrev_u32_e32 v25, 28, v1
	v_sub_u32_e32 v1, 29, v1
	v_cndmask_b32_e32 v1, v6, v1, vcc
	v_cndmask_b32_e32 v6, 0, v25, vcc
	v_lshlrev_b64 v[53:54], v6, v[28:29]
	v_lshlrev_b32_e32 v25, 24, v28
	v_lshlrev_b32_e32 v6, 20, v53
	v_and_b32_e32 v6, 0x700000, v6
	v_and_b32_e32 v25, 0x80000000, v25
	v_lshl_add_u32 v1, v1, 23, v17
	v_or3_b32 v6, v25, v1, v6
.LBB2_5214:                             ;   in Loop: Header=BB2_4850 Depth=3
	s_or_b64 exec, exec, s[38:39]
.LBB2_5215:                             ;   in Loop: Header=BB2_4850 Depth=3
	s_or_b64 exec, exec, s[42:43]
.LBB2_5216:                             ;   in Loop: Header=BB2_4850 Depth=3
	s_or_b64 exec, exec, s[40:41]
	s_waitcnt vmcnt(0)
	v_cmp_gt_i16_sdwa s[42:43], v8, s85 src0_sel:BYTE_0 src1_sel:DWORD
	s_mov_b64 s[40:41], 0
	s_and_saveexec_b64 vcc, s[42:43]
	s_xor_b64 s[42:43], exec, vcc
	s_cbranch_execz .LBB2_5641
; %bb.5217:                             ;   in Loop: Header=BB2_4850 Depth=3
	v_cmp_eq_u16_sdwa s[38:39], v8, s87 src0_sel:BYTE_0 src1_sel:DWORD
	s_mov_b64 s[40:41], -1
	s_and_saveexec_b64 vcc, s[38:39]
; %bb.5218:                             ;   in Loop: Header=BB2_4850 Depth=3
	s_xor_b64 s[40:41], exec, -1
; %bb.5219:                             ;   in Loop: Header=BB2_4850 Depth=3
	s_or_b64 exec, exec, vcc
	s_and_b64 s[40:41], s[40:41], exec
	s_or_saveexec_b64 s[42:43], s[42:43]
	v_bfrev_b32_e32 v1, 1
	s_xor_b64 exec, exec, s[42:43]
	s_cbranch_execnz .LBB2_5642
.LBB2_5220:                             ;   in Loop: Header=BB2_4850 Depth=3
	s_or_b64 exec, exec, s[42:43]
	s_and_saveexec_b64 s[42:43], s[40:41]
	s_cbranch_execz .LBB2_5222
.LBB2_5221:                             ;   in Loop: Header=BB2_4850 Depth=3
	v_and_b32_e32 v1, 7, v8
	v_ffbh_u32_e32 v1, v1
	v_and_b32_e32 v25, 0x7f, v8
	v_min_u32_e32 v1, 32, v1
	v_bfe_u32 v30, v8, 3, 4
	v_subrev_u32_e32 v35, 28, v1
	v_sub_u32_e32 v1, 29, v1
	v_cmp_gt_u32_e32 vcc, 8, v25
	v_cndmask_b32_e32 v1, v30, v1, vcc
	v_cndmask_b32_e32 v30, 0, v35, vcc
	v_lshlrev_b64 v[53:54], v30, v[8:9]
	v_lshlrev_b32_e32 v35, 24, v8
	v_lshlrev_b32_e32 v30, 20, v53
	v_and_b32_e32 v30, 0x700000, v30
	v_and_b32_e32 v35, 0x80000000, v35
	v_lshl_add_u32 v1, v1, 23, v17
	v_or3_b32 v1, v35, v1, v30
	v_cmp_ne_u32_e32 vcc, s85, v25
	v_cndmask_b32_e32 v1, v4, v1, vcc
.LBB2_5222:                             ;   in Loop: Header=BB2_4850 Depth=3
	s_or_b64 exec, exec, s[42:43]
	v_add_f32_e32 v25, v6, v1
	v_and_b32_e32 v53, 0x7f800000, v25
	v_mov_b32_e32 v54, v29
	v_cmp_ne_u64_e32 vcc, s[76:77], v[53:54]
                                        ; implicit-def: $vgpr1
	s_and_saveexec_b64 s[40:41], vcc
	s_xor_b64 s[42:43], exec, s[40:41]
	s_cbranch_execz .LBB2_5236
; %bb.5223:                             ;   in Loop: Header=BB2_4850 Depth=3
	v_and_b32_e32 v53, 0x7fffffff, v25
	v_mov_b32_e32 v54, v29
	v_cmp_gt_u64_e32 vcc, s[78:79], v[53:54]
	v_and_b32_sdwa v6, v25, s87 dst_sel:DWORD dst_unused:UNUSED_PAD src0_sel:BYTE_3 src1_sel:DWORD
                                        ; implicit-def: $vgpr1
	s_and_saveexec_b64 s[40:41], vcc
	s_xor_b64 s[38:39], exec, s[40:41]
	s_cbranch_execz .LBB2_5233
; %bb.5224:                             ;   in Loop: Header=BB2_4850 Depth=3
	v_mov_b32_e32 v1, 0
	v_cmp_ne_u32_e32 vcc, 0, v25
	s_and_saveexec_b64 s[48:49], vcc
	s_cbranch_execz .LBB2_5232
; %bb.5225:                             ;   in Loop: Header=BB2_4850 Depth=3
	v_bfe_u32 v1, v25, 23, 8
	v_and_b32_e32 v30, 0x7fffff, v25
	v_cmp_gt_u32_e64 s[40:41], s96, v1
	v_sub_u32_e32 v25, 0x79, v1
	v_cmp_eq_u32_e32 vcc, 0, v1
	v_cndmask_b32_e64 v25, 0, v25, s[40:41]
	v_or_b32_e32 v35, 0x800000, v30
	v_cndmask_b32_e32 v25, v25, v36, vcc
	v_cndmask_b32_e32 v53, v35, v30, vcc
	v_add_u32_e32 v30, 20, v25
	v_lshlrev_b64 v[46:47], v30, -1
	v_add_u32_e32 v30, 19, v25
	v_lshlrev_b64 v[55:56], v30, 1
	v_mov_b32_e32 v54, v29
	v_bfi_b32 v47, v47, 0, 0
	v_bfi_b32 v46, v46, 0, v53
	v_cmp_eq_u64_e64 s[40:41], v[46:47], v[55:56]
	v_lshrrev_b64 v[46:47], v25, v[53:54]
	v_mov_b32_e32 v56, v47
	v_mov_b32_e32 v55, v46
	s_and_saveexec_b64 s[50:51], s[40:41]
; %bb.5226:                             ;   in Loop: Header=BB2_4850 Depth=3
	v_bfe_u32 v30, v46, 20, 1
	v_add_co_u32_e64 v30, s[40:41], v46, v30
	v_add_co_u32_e64 v55, s[40:41], -1, v30
; %bb.5227:                             ;   in Loop: Header=BB2_4850 Depth=3
	s_or_b64 exec, exec, s[50:51]
	v_add_u32_e32 v1, 0xffffff81, v1
	v_cndmask_b32_e32 v1, v1, v37, vcc
	v_lshrrev_b32_e32 v30, 23, v46
	v_add3_u32 v30, v25, v1, v30
	v_add_u32_e32 v25, 6, v30
	v_and_b32_e32 v1, 0xfffff, v55
	v_add_u32_e32 v46, v1, v46
	v_mov_b32_e32 v47, v29
	v_cmp_ne_u32_e32 vcc, 0, v25
                                        ; implicit-def: $vgpr1
	s_and_saveexec_b64 s[40:41], vcc
	s_xor_b64 s[40:41], exec, s[40:41]
; %bb.5228:                             ;   in Loop: Header=BB2_4850 Depth=3
	v_cmp_lt_u64_e32 vcc, s[88:89], v[46:47]
	v_add_u32_e32 v1, 7, v30
	v_cndmask_b32_e32 v1, v25, v1, vcc
	v_cndmask_b32_e64 v25, 0, 1, vcc
	v_lshrrev_b64 v[46:47], v25, v[46:47]
; %bb.5229:                             ;   in Loop: Header=BB2_4850 Depth=3
	s_andn2_saveexec_b64 s[40:41], s[40:41]
; %bb.5230:                             ;   in Loop: Header=BB2_4850 Depth=3
	v_bfe_u32 v1, v46, 23, 1
; %bb.5231:                             ;   in Loop: Header=BB2_4850 Depth=3
	s_or_b64 exec, exec, s[40:41]
	v_lshrrev_b64 v[53:54], 20, v[46:47]
	v_cmp_gt_i32_e32 vcc, 16, v1
	v_cndmask_b32_e32 v54, 0, v54, vcc
	v_cndmask_b32_e32 v53, 7, v53, vcc
	v_cmp_eq_u32_e32 vcc, 0, v1
	v_min_i32_e32 v1, 15, v1
	v_cmp_eq_u64_e64 s[40:41], 0, v[53:54]
	v_lshlrev_b32_e32 v1, 3, v1
	v_and_b32_e32 v1, 0xf8, v1
	v_and_or_b32 v1, v53, 7, v1
	s_and_b64 s[40:41], vcc, s[40:41]
	v_cndmask_b32_e64 v1, v1, 0, s[40:41]
	v_or_b32_e32 v1, v1, v6
.LBB2_5232:                             ;   in Loop: Header=BB2_4850 Depth=3
	s_or_b64 exec, exec, s[48:49]
                                        ; implicit-def: $vgpr6
.LBB2_5233:                             ;   in Loop: Header=BB2_4850 Depth=3
	s_andn2_saveexec_b64 s[40:41], s[38:39]
; %bb.5234:                             ;   in Loop: Header=BB2_4850 Depth=3
	v_or_b32_e32 v1, 0x7e, v6
; %bb.5235:                             ;   in Loop: Header=BB2_4850 Depth=3
	s_or_b64 exec, exec, s[40:41]
                                        ; implicit-def: $vgpr25
.LBB2_5236:                             ;   in Loop: Header=BB2_4850 Depth=3
	s_andn2_saveexec_b64 s[40:41], s[42:43]
; %bb.5237:                             ;   in Loop: Header=BB2_4850 Depth=3
	v_or_b32_sdwa v1, v25, s85 dst_sel:DWORD dst_unused:UNUSED_PAD src0_sel:BYTE_3 src1_sel:DWORD
; %bb.5238:                             ;   in Loop: Header=BB2_4850 Depth=3
	s_or_b64 exec, exec, s[40:41]
	v_lshrrev_b16_e32 v30, 8, v2
	v_cmp_ne_u16_e32 vcc, 0, v30
	v_mov_b32_e32 v6, 0
	s_and_saveexec_b64 s[40:41], vcc
	s_cbranch_execz .LBB2_5244
; %bb.5239:                             ;   in Loop: Header=BB2_4850 Depth=3
	v_cmp_ne_u16_e32 vcc, s87, v30
	v_bfrev_b32_e32 v6, 1
	s_and_saveexec_b64 s[42:43], vcc
	s_cbranch_execz .LBB2_5243
; %bb.5240:                             ;   in Loop: Header=BB2_4850 Depth=3
	v_and_b32_e32 v25, 0x7f, v30
	v_cmp_ne_u32_e32 vcc, s85, v25
	v_mov_b32_e32 v6, 0x7f800001
	s_and_saveexec_b64 s[38:39], vcc
	s_cbranch_execz .LBB2_5242
; %bb.5241:                             ;   in Loop: Header=BB2_4850 Depth=3
	v_and_b32_e32 v6, 7, v30
	v_lshrrev_b32_e32 v35, 3, v25
	v_cmp_gt_u32_e32 vcc, 8, v25
	v_ffbh_u32_e32 v25, v6
	v_min_u32_e32 v25, 32, v25
	v_subrev_u32_e32 v53, 28, v25
	v_lshlrev_b64 v[53:54], v53, v[30:31]
	v_sub_u32_e32 v25, 29, v25
	v_and_b32_e32 v30, 7, v53
	v_cndmask_b32_e32 v25, v35, v25, vcc
	v_cndmask_b32_e32 v6, v6, v30, vcc
	v_lshlrev_b32_e32 v2, 16, v2
	v_lshlrev_b32_e32 v6, 20, v6
	v_and_b32_e32 v2, 0x80000000, v2
	v_lshl_add_u32 v25, v25, 23, v17
	v_or3_b32 v6, v2, v25, v6
.LBB2_5242:                             ;   in Loop: Header=BB2_4850 Depth=3
	s_or_b64 exec, exec, s[38:39]
.LBB2_5243:                             ;   in Loop: Header=BB2_4850 Depth=3
	s_or_b64 exec, exec, s[42:43]
.LBB2_5244:                             ;   in Loop: Header=BB2_4850 Depth=3
	s_or_b64 exec, exec, s[40:41]
	v_lshrrev_b16_e32 v46, 8, v8
	v_cmp_lt_i16_e32 vcc, s85, v46
	s_mov_b64 s[40:41], 0
	s_and_saveexec_b64 s[42:43], vcc
	s_xor_b64 s[42:43], exec, s[42:43]
	s_cbranch_execz .LBB2_5643
; %bb.5245:                             ;   in Loop: Header=BB2_4850 Depth=3
	v_cmp_eq_u16_e32 vcc, s87, v46
	s_mov_b64 s[40:41], -1
	s_and_saveexec_b64 s[38:39], vcc
; %bb.5246:                             ;   in Loop: Header=BB2_4850 Depth=3
	s_xor_b64 s[40:41], exec, -1
; %bb.5247:                             ;   in Loop: Header=BB2_4850 Depth=3
	s_or_b64 exec, exec, s[38:39]
	s_and_b64 s[40:41], s[40:41], exec
	s_or_saveexec_b64 s[42:43], s[42:43]
	v_bfrev_b32_e32 v2, 1
	s_xor_b64 exec, exec, s[42:43]
	s_cbranch_execnz .LBB2_5644
.LBB2_5248:                             ;   in Loop: Header=BB2_4850 Depth=3
	s_or_b64 exec, exec, s[42:43]
	s_and_saveexec_b64 s[42:43], s[40:41]
	s_cbranch_execz .LBB2_5250
.LBB2_5249:                             ;   in Loop: Header=BB2_4850 Depth=3
	v_and_b32_e32 v2, 7, v46
	v_ffbh_u32_e32 v35, v2
	v_min_u32_e32 v35, 32, v35
	v_mov_b32_e32 v47, v29
	v_subrev_u32_e32 v53, 28, v35
	v_lshlrev_b64 v[53:54], v53, v[46:47]
	v_and_b32_e32 v25, 0x7f, v46
	v_bfe_u32 v30, v46, 3, 4
	v_sub_u32_e32 v35, 29, v35
	v_and_b32_e32 v53, 7, v53
	v_cmp_gt_u32_e32 vcc, 8, v25
	v_cndmask_b32_e32 v30, v30, v35, vcc
	v_cndmask_b32_e32 v2, v2, v53, vcc
	v_lshlrev_b32_e32 v35, 24, v46
	v_lshlrev_b32_e32 v2, 20, v2
	v_and_b32_e32 v35, 0x80000000, v35
	v_lshl_add_u32 v30, v30, 23, v17
	v_or3_b32 v2, v35, v30, v2
	v_cmp_ne_u32_e32 vcc, s85, v25
	v_cndmask_b32_e32 v2, v4, v2, vcc
.LBB2_5250:                             ;   in Loop: Header=BB2_4850 Depth=3
	s_or_b64 exec, exec, s[42:43]
	v_add_f32_e32 v25, v6, v2
	v_and_b32_e32 v53, 0x7f800000, v25
	v_mov_b32_e32 v54, v29
	v_cmp_ne_u64_e32 vcc, s[76:77], v[53:54]
                                        ; implicit-def: $vgpr6
	s_and_saveexec_b64 s[40:41], vcc
	s_xor_b64 s[42:43], exec, s[40:41]
	s_cbranch_execz .LBB2_5264
; %bb.5251:                             ;   in Loop: Header=BB2_4850 Depth=3
	v_and_b32_e32 v53, 0x7fffffff, v25
	v_mov_b32_e32 v54, v29
	v_cmp_gt_u64_e32 vcc, s[78:79], v[53:54]
	v_and_b32_sdwa v2, v25, s87 dst_sel:DWORD dst_unused:UNUSED_PAD src0_sel:BYTE_3 src1_sel:DWORD
                                        ; implicit-def: $vgpr6
	s_and_saveexec_b64 s[40:41], vcc
	s_xor_b64 s[38:39], exec, s[40:41]
	s_cbranch_execz .LBB2_5261
; %bb.5252:                             ;   in Loop: Header=BB2_4850 Depth=3
	v_mov_b32_e32 v6, 0
	v_cmp_ne_u32_e32 vcc, 0, v25
	s_and_saveexec_b64 s[48:49], vcc
	s_cbranch_execz .LBB2_5260
; %bb.5253:                             ;   in Loop: Header=BB2_4850 Depth=3
	v_bfe_u32 v6, v25, 23, 8
	v_and_b32_e32 v30, 0x7fffff, v25
	v_cmp_gt_u32_e64 s[40:41], s96, v6
	v_sub_u32_e32 v25, 0x79, v6
	v_cmp_eq_u32_e32 vcc, 0, v6
	v_cndmask_b32_e64 v25, 0, v25, s[40:41]
	v_or_b32_e32 v35, 0x800000, v30
	v_cndmask_b32_e32 v25, v25, v36, vcc
	v_cndmask_b32_e32 v53, v35, v30, vcc
	v_add_u32_e32 v30, 20, v25
	v_lshlrev_b64 v[46:47], v30, -1
	v_add_u32_e32 v30, 19, v25
	v_lshlrev_b64 v[55:56], v30, 1
	v_mov_b32_e32 v54, v29
	v_bfi_b32 v47, v47, 0, 0
	v_bfi_b32 v46, v46, 0, v53
	v_cmp_eq_u64_e64 s[40:41], v[46:47], v[55:56]
	v_lshrrev_b64 v[46:47], v25, v[53:54]
	v_mov_b32_e32 v56, v47
	v_mov_b32_e32 v55, v46
	s_and_saveexec_b64 s[50:51], s[40:41]
; %bb.5254:                             ;   in Loop: Header=BB2_4850 Depth=3
	v_bfe_u32 v30, v46, 20, 1
	v_add_co_u32_e64 v30, s[40:41], v46, v30
	v_add_co_u32_e64 v55, s[40:41], -1, v30
; %bb.5255:                             ;   in Loop: Header=BB2_4850 Depth=3
	s_or_b64 exec, exec, s[50:51]
	v_add_u32_e32 v6, 0xffffff81, v6
	v_cndmask_b32_e32 v6, v6, v37, vcc
	v_lshrrev_b32_e32 v30, 23, v46
	v_add3_u32 v30, v25, v6, v30
	v_add_u32_e32 v25, 6, v30
	v_and_b32_e32 v6, 0xfffff, v55
	v_add_u32_e32 v46, v6, v46
	v_mov_b32_e32 v47, v29
	v_cmp_ne_u32_e32 vcc, 0, v25
                                        ; implicit-def: $vgpr6
	s_and_saveexec_b64 s[40:41], vcc
	s_xor_b64 s[40:41], exec, s[40:41]
; %bb.5256:                             ;   in Loop: Header=BB2_4850 Depth=3
	v_cmp_lt_u64_e32 vcc, s[88:89], v[46:47]
	v_add_u32_e32 v6, 7, v30
	v_cndmask_b32_e32 v6, v25, v6, vcc
	v_cndmask_b32_e64 v25, 0, 1, vcc
	v_lshrrev_b64 v[46:47], v25, v[46:47]
; %bb.5257:                             ;   in Loop: Header=BB2_4850 Depth=3
	s_andn2_saveexec_b64 s[40:41], s[40:41]
; %bb.5258:                             ;   in Loop: Header=BB2_4850 Depth=3
	v_bfe_u32 v6, v46, 23, 1
; %bb.5259:                             ;   in Loop: Header=BB2_4850 Depth=3
	s_or_b64 exec, exec, s[40:41]
	v_lshrrev_b64 v[53:54], 20, v[46:47]
	v_cmp_gt_i32_e32 vcc, 16, v6
	v_cndmask_b32_e32 v54, 0, v54, vcc
	v_cndmask_b32_e32 v53, 7, v53, vcc
	v_cmp_eq_u32_e32 vcc, 0, v6
	v_min_i32_e32 v6, 15, v6
	v_cmp_eq_u64_e64 s[40:41], 0, v[53:54]
	v_lshlrev_b32_e32 v6, 3, v6
	v_and_b32_e32 v6, 0xf8, v6
	v_and_or_b32 v6, v53, 7, v6
	s_and_b64 s[40:41], vcc, s[40:41]
	v_cndmask_b32_e64 v6, v6, 0, s[40:41]
	v_or_b32_e32 v6, v6, v2
.LBB2_5260:                             ;   in Loop: Header=BB2_4850 Depth=3
	s_or_b64 exec, exec, s[48:49]
                                        ; implicit-def: $vgpr2
.LBB2_5261:                             ;   in Loop: Header=BB2_4850 Depth=3
	s_andn2_saveexec_b64 s[40:41], s[38:39]
; %bb.5262:                             ;   in Loop: Header=BB2_4850 Depth=3
	v_or_b32_e32 v6, 0x7e, v2
; %bb.5263:                             ;   in Loop: Header=BB2_4850 Depth=3
	s_or_b64 exec, exec, s[40:41]
                                        ; implicit-def: $vgpr25
.LBB2_5264:                             ;   in Loop: Header=BB2_4850 Depth=3
	s_andn2_saveexec_b64 s[40:41], s[42:43]
; %bb.5265:                             ;   in Loop: Header=BB2_4850 Depth=3
	v_or_b32_sdwa v6, v25, s85 dst_sel:DWORD dst_unused:UNUSED_PAD src0_sel:BYTE_3 src1_sel:DWORD
; %bb.5266:                             ;   in Loop: Header=BB2_4850 Depth=3
	s_or_b64 exec, exec, s[40:41]
	v_and_b32_sdwa v25, v28, s86 dst_sel:DWORD dst_unused:UNUSED_PAD src0_sel:WORD_1 src1_sel:DWORD
	v_lshrrev_b32_e32 v30, 16, v28
	v_cmp_ne_u16_e32 vcc, 0, v25
	v_mov_b32_e32 v2, 0
	s_and_saveexec_b64 s[40:41], vcc
	s_cbranch_execz .LBB2_5272
; %bb.5267:                             ;   in Loop: Header=BB2_4850 Depth=3
	v_cmp_ne_u16_e32 vcc, s87, v25
	v_bfrev_b32_e32 v2, 1
	s_and_saveexec_b64 s[42:43], vcc
	s_cbranch_execz .LBB2_5271
; %bb.5268:                             ;   in Loop: Header=BB2_4850 Depth=3
	v_bfe_u32 v25, v28, 16, 7
	v_cmp_ne_u32_e32 vcc, s85, v25
	v_mov_b32_e32 v2, 0x7f800001
	s_and_saveexec_b64 s[38:39], vcc
	s_cbranch_execz .LBB2_5270
; %bb.5269:                             ;   in Loop: Header=BB2_4850 Depth=3
	v_and_b32_e32 v2, 7, v30
	v_lshrrev_b32_e32 v35, 3, v25
	v_cmp_gt_u32_e32 vcc, 8, v25
	v_ffbh_u32_e32 v25, v2
	v_min_u32_e32 v25, 32, v25
	v_subrev_u32_e32 v53, 28, v25
	v_lshlrev_b64 v[53:54], v53, v[30:31]
	v_sub_u32_e32 v25, 29, v25
	v_and_b32_e32 v30, 7, v53
	v_cndmask_b32_e32 v2, v2, v30, vcc
	v_mov_b32_e32 v30, 24
	v_cndmask_b32_e32 v25, v35, v25, vcc
	v_lshlrev_b32_sdwa v30, v30, v28 dst_sel:DWORD dst_unused:UNUSED_PAD src0_sel:DWORD src1_sel:WORD_1
	v_lshlrev_b32_e32 v2, 20, v2
	v_and_b32_e32 v30, 0x80000000, v30
	v_lshl_add_u32 v25, v25, 23, v17
	v_or3_b32 v2, v30, v25, v2
.LBB2_5270:                             ;   in Loop: Header=BB2_4850 Depth=3
	s_or_b64 exec, exec, s[38:39]
.LBB2_5271:                             ;   in Loop: Header=BB2_4850 Depth=3
	s_or_b64 exec, exec, s[42:43]
.LBB2_5272:                             ;   in Loop: Header=BB2_4850 Depth=3
	s_or_b64 exec, exec, s[40:41]
	v_lshrrev_b32_e32 v30, 16, v8
	v_cmp_gt_i16_sdwa s[42:43], v30, s85 src0_sel:BYTE_0 src1_sel:DWORD
	s_mov_b64 s[40:41], 0
	s_and_saveexec_b64 vcc, s[42:43]
	s_xor_b64 s[42:43], exec, vcc
	s_cbranch_execz .LBB2_5645
; %bb.5273:                             ;   in Loop: Header=BB2_4850 Depth=3
	v_cmp_eq_u16_sdwa s[38:39], v30, s87 src0_sel:BYTE_0 src1_sel:DWORD
	s_mov_b64 s[40:41], -1
	s_and_saveexec_b64 vcc, s[38:39]
; %bb.5274:                             ;   in Loop: Header=BB2_4850 Depth=3
	s_xor_b64 s[40:41], exec, -1
; %bb.5275:                             ;   in Loop: Header=BB2_4850 Depth=3
	s_or_b64 exec, exec, vcc
	s_and_b64 s[40:41], s[40:41], exec
	s_or_saveexec_b64 s[42:43], s[42:43]
	v_bfrev_b32_e32 v25, 1
	s_xor_b64 exec, exec, s[42:43]
	s_cbranch_execnz .LBB2_5646
.LBB2_5276:                             ;   in Loop: Header=BB2_4850 Depth=3
	s_or_b64 exec, exec, s[42:43]
	s_and_saveexec_b64 s[42:43], s[40:41]
	s_cbranch_execz .LBB2_5278
.LBB2_5277:                             ;   in Loop: Header=BB2_4850 Depth=3
	v_and_b32_e32 v25, 7, v30
	v_ffbh_u32_e32 v53, v25
	v_min_u32_e32 v46, 32, v53
	v_subrev_u32_e32 v53, 28, v46
	v_lshlrev_b64 v[53:54], v53, v[30:31]
	v_and_b32_e32 v35, 0x7f, v30
	v_bfe_u32 v55, v30, 3, 4
	v_sub_u32_e32 v54, 29, v46
	v_and_b32_e32 v53, 7, v53
	v_cmp_gt_u32_e32 vcc, 8, v35
	v_cndmask_b32_e32 v54, v55, v54, vcc
	v_cndmask_b32_e32 v25, v25, v53, vcc
	v_lshlrev_b32_e32 v30, 24, v30
	v_lshlrev_b32_e32 v25, 20, v25
	v_and_b32_e32 v30, 0x80000000, v30
	v_lshl_add_u32 v53, v54, 23, v17
	v_or3_b32 v25, v30, v53, v25
	v_cmp_ne_u32_e32 vcc, s85, v35
	v_cndmask_b32_e32 v25, v4, v25, vcc
.LBB2_5278:                             ;   in Loop: Header=BB2_4850 Depth=3
	s_or_b64 exec, exec, s[42:43]
	v_add_f32_e32 v30, v2, v25
	v_and_b32_e32 v53, 0x7f800000, v30
	v_mov_b32_e32 v54, v29
	v_cmp_ne_u64_e32 vcc, s[76:77], v[53:54]
                                        ; implicit-def: $vgpr2
	s_and_saveexec_b64 s[40:41], vcc
	s_xor_b64 s[42:43], exec, s[40:41]
	s_cbranch_execz .LBB2_5292
; %bb.5279:                             ;   in Loop: Header=BB2_4850 Depth=3
	v_and_b32_e32 v53, 0x7fffffff, v30
	v_mov_b32_e32 v54, v29
	v_cmp_gt_u64_e32 vcc, s[78:79], v[53:54]
	v_and_b32_sdwa v25, v30, s87 dst_sel:DWORD dst_unused:UNUSED_PAD src0_sel:BYTE_3 src1_sel:DWORD
                                        ; implicit-def: $vgpr2
	s_and_saveexec_b64 s[40:41], vcc
	s_xor_b64 s[38:39], exec, s[40:41]
	s_cbranch_execz .LBB2_5289
; %bb.5280:                             ;   in Loop: Header=BB2_4850 Depth=3
	v_mov_b32_e32 v2, 0
	v_cmp_ne_u32_e32 vcc, 0, v30
	s_and_saveexec_b64 s[48:49], vcc
	s_cbranch_execz .LBB2_5288
; %bb.5281:                             ;   in Loop: Header=BB2_4850 Depth=3
	v_bfe_u32 v2, v30, 23, 8
	v_and_b32_e32 v35, 0x7fffff, v30
	v_cmp_gt_u32_e64 s[40:41], s96, v2
	v_sub_u32_e32 v30, 0x79, v2
	v_cmp_eq_u32_e32 vcc, 0, v2
	v_cndmask_b32_e64 v30, 0, v30, s[40:41]
	v_or_b32_e32 v53, 0x800000, v35
	v_cndmask_b32_e32 v30, v30, v36, vcc
	v_cndmask_b32_e32 v53, v53, v35, vcc
	v_add_u32_e32 v35, 20, v30
	v_lshlrev_b64 v[46:47], v35, -1
	v_add_u32_e32 v35, 19, v30
	v_lshlrev_b64 v[55:56], v35, 1
	v_mov_b32_e32 v54, v29
	v_bfi_b32 v47, v47, 0, 0
	v_bfi_b32 v46, v46, 0, v53
	v_cmp_eq_u64_e64 s[40:41], v[46:47], v[55:56]
	v_lshrrev_b64 v[46:47], v30, v[53:54]
	v_mov_b32_e32 v56, v47
	v_mov_b32_e32 v55, v46
	s_and_saveexec_b64 s[50:51], s[40:41]
; %bb.5282:                             ;   in Loop: Header=BB2_4850 Depth=3
	v_bfe_u32 v35, v46, 20, 1
	v_add_co_u32_e64 v35, s[40:41], v46, v35
	v_add_co_u32_e64 v55, s[40:41], -1, v35
; %bb.5283:                             ;   in Loop: Header=BB2_4850 Depth=3
	s_or_b64 exec, exec, s[50:51]
	v_add_u32_e32 v2, 0xffffff81, v2
	v_cndmask_b32_e32 v2, v2, v37, vcc
	v_lshrrev_b32_e32 v35, 23, v46
	v_add3_u32 v35, v30, v2, v35
	v_add_u32_e32 v30, 6, v35
	v_and_b32_e32 v2, 0xfffff, v55
	v_add_u32_e32 v46, v2, v46
	v_mov_b32_e32 v47, v29
	v_cmp_ne_u32_e32 vcc, 0, v30
                                        ; implicit-def: $vgpr2
	s_and_saveexec_b64 s[40:41], vcc
	s_xor_b64 s[40:41], exec, s[40:41]
; %bb.5284:                             ;   in Loop: Header=BB2_4850 Depth=3
	v_cmp_lt_u64_e32 vcc, s[88:89], v[46:47]
	v_add_u32_e32 v2, 7, v35
	v_cndmask_b32_e32 v2, v30, v2, vcc
	v_cndmask_b32_e64 v30, 0, 1, vcc
	v_lshrrev_b64 v[46:47], v30, v[46:47]
; %bb.5285:                             ;   in Loop: Header=BB2_4850 Depth=3
	s_andn2_saveexec_b64 s[40:41], s[40:41]
; %bb.5286:                             ;   in Loop: Header=BB2_4850 Depth=3
	v_bfe_u32 v2, v46, 23, 1
; %bb.5287:                             ;   in Loop: Header=BB2_4850 Depth=3
	s_or_b64 exec, exec, s[40:41]
	v_lshrrev_b64 v[53:54], 20, v[46:47]
	v_cmp_gt_i32_e32 vcc, 16, v2
	v_cndmask_b32_e32 v54, 0, v54, vcc
	v_cndmask_b32_e32 v53, 7, v53, vcc
	v_cmp_eq_u32_e32 vcc, 0, v2
	v_min_i32_e32 v2, 15, v2
	v_cmp_eq_u64_e64 s[40:41], 0, v[53:54]
	v_lshlrev_b32_e32 v2, 3, v2
	v_and_b32_e32 v2, 0xf8, v2
	v_and_or_b32 v2, v53, 7, v2
	s_and_b64 s[40:41], vcc, s[40:41]
	v_cndmask_b32_e64 v2, v2, 0, s[40:41]
	v_or_b32_e32 v2, v2, v25
.LBB2_5288:                             ;   in Loop: Header=BB2_4850 Depth=3
	s_or_b64 exec, exec, s[48:49]
                                        ; implicit-def: $vgpr25
.LBB2_5289:                             ;   in Loop: Header=BB2_4850 Depth=3
	s_andn2_saveexec_b64 s[40:41], s[38:39]
; %bb.5290:                             ;   in Loop: Header=BB2_4850 Depth=3
	v_or_b32_e32 v2, 0x7e, v25
; %bb.5291:                             ;   in Loop: Header=BB2_4850 Depth=3
	s_or_b64 exec, exec, s[40:41]
                                        ; implicit-def: $vgpr30
.LBB2_5292:                             ;   in Loop: Header=BB2_4850 Depth=3
	s_andn2_saveexec_b64 s[40:41], s[42:43]
; %bb.5293:                             ;   in Loop: Header=BB2_4850 Depth=3
	v_or_b32_sdwa v2, v30, s85 dst_sel:DWORD dst_unused:UNUSED_PAD src0_sel:BYTE_3 src1_sel:DWORD
; %bb.5294:                             ;   in Loop: Header=BB2_4850 Depth=3
	s_or_b64 exec, exec, s[40:41]
	v_cmp_lt_u32_e32 vcc, s57, v28
	v_mov_b32_e32 v25, 0
	s_and_saveexec_b64 s[40:41], vcc
	s_cbranch_execz .LBB2_5300
; %bb.5295:                             ;   in Loop: Header=BB2_4850 Depth=3
	v_lshrrev_b32_e32 v30, 24, v28
	v_cmp_ne_u32_e32 vcc, s87, v30
	v_bfrev_b32_e32 v25, 1
	s_and_saveexec_b64 s[42:43], vcc
	s_cbranch_execz .LBB2_5299
; %bb.5296:                             ;   in Loop: Header=BB2_4850 Depth=3
	v_bfe_u32 v28, v28, 24, 7
	v_cmp_ne_u32_e32 vcc, s85, v28
	v_mov_b32_e32 v25, 0x7f800001
	s_and_saveexec_b64 s[38:39], vcc
	s_cbranch_execz .LBB2_5298
; %bb.5297:                             ;   in Loop: Header=BB2_4850 Depth=3
	v_and_b32_e32 v25, 7, v30
	v_lshrrev_b32_e32 v35, 3, v28
	v_cmp_gt_u32_e32 vcc, 8, v28
	v_ffbh_u32_e32 v28, v25
	v_min_u32_e32 v28, 32, v28
	v_subrev_u32_e32 v53, 28, v28
	v_lshlrev_b64 v[53:54], v53, v[30:31]
	v_sub_u32_e32 v28, 29, v28
	v_and_b32_e32 v53, 7, v53
	v_cndmask_b32_e32 v28, v35, v28, vcc
	v_cndmask_b32_e32 v25, v25, v53, vcc
	v_lshlrev_b32_e32 v30, 24, v30
	v_lshlrev_b32_e32 v25, 20, v25
	v_and_b32_e32 v30, 0x80000000, v30
	v_lshl_add_u32 v28, v28, 23, v17
	v_or3_b32 v25, v30, v28, v25
.LBB2_5298:                             ;   in Loop: Header=BB2_4850 Depth=3
	s_or_b64 exec, exec, s[38:39]
.LBB2_5299:                             ;   in Loop: Header=BB2_4850 Depth=3
	s_or_b64 exec, exec, s[42:43]
.LBB2_5300:                             ;   in Loop: Header=BB2_4850 Depth=3
	s_or_b64 exec, exec, s[40:41]
	v_bfe_u32 v30, v8, 24, 3
	v_ffbh_u32_e32 v53, v30
	v_min_u32_e32 v46, 32, v53
	v_lshrrev_b32_e32 v28, 24, v8
	v_subrev_u32_e32 v53, 28, v46
	v_lshlrev_b64 v[53:54], v53, v[28:29]
	v_bfe_u32 v35, v8, 24, 7
	v_bfe_u32 v55, v28, 3, 4
	v_sub_u32_e32 v54, 29, v46
	v_and_b32_e32 v53, 7, v53
	v_cmp_gt_u32_e32 vcc, 8, v35
	v_cndmask_b32_e32 v54, v55, v54, vcc
	v_cndmask_b32_e32 v30, v30, v53, vcc
	v_lshlrev_b32_e32 v30, 20, v30
	v_and_b32_e32 v53, 0x80000000, v8
	v_lshl_add_u32 v54, v54, 23, v17
	v_or3_b32 v30, v53, v54, v30
	v_cmp_ne_u32_e32 vcc, s85, v35
	v_cndmask_b32_e32 v30, v4, v30, vcc
	v_cmp_ne_u32_e32 vcc, s87, v28
	v_bfrev_b32_e32 v28, 1
	v_cndmask_b32_e32 v28, v28, v30, vcc
	v_cmp_lt_u32_e32 vcc, s57, v8
	v_cndmask_b32_e32 v28, 0, v28, vcc
	v_add_f32_e32 v35, v28, v25
	v_and_b32_e32 v28, 0x7f800000, v35
	v_cmp_ne_u64_e32 vcc, s[76:77], v[28:29]
                                        ; implicit-def: $vgpr25
	s_and_saveexec_b64 s[40:41], vcc
	s_xor_b64 s[42:43], exec, s[40:41]
	s_cbranch_execz .LBB2_5314
; %bb.5301:                             ;   in Loop: Header=BB2_4850 Depth=3
	v_and_b32_e32 v28, 0x7fffffff, v35
	v_cmp_gt_u64_e32 vcc, s[78:79], v[28:29]
	v_and_b32_sdwa v30, v35, s87 dst_sel:DWORD dst_unused:UNUSED_PAD src0_sel:BYTE_3 src1_sel:DWORD
                                        ; implicit-def: $vgpr25
	s_and_saveexec_b64 s[40:41], vcc
	s_xor_b64 s[38:39], exec, s[40:41]
	s_cbranch_execz .LBB2_5311
; %bb.5302:                             ;   in Loop: Header=BB2_4850 Depth=3
	v_mov_b32_e32 v25, 0
	v_cmp_ne_u32_e32 vcc, 0, v35
	s_and_saveexec_b64 s[48:49], vcc
	s_cbranch_execz .LBB2_5310
; %bb.5303:                             ;   in Loop: Header=BB2_4850 Depth=3
	v_bfe_u32 v25, v35, 23, 8
	v_and_b32_e32 v28, 0x7fffff, v35
	v_cmp_gt_u32_e64 s[40:41], s96, v25
	v_sub_u32_e32 v35, 0x79, v25
	v_cmp_eq_u32_e32 vcc, 0, v25
	v_cndmask_b32_e64 v35, 0, v35, s[40:41]
	v_or_b32_e32 v53, 0x800000, v28
	v_cndmask_b32_e32 v35, v35, v36, vcc
	v_cndmask_b32_e32 v28, v53, v28, vcc
	v_add_u32_e32 v53, 20, v35
	v_lshlrev_b64 v[53:54], v53, -1
	v_add_u32_e32 v55, 19, v35
	v_lshlrev_b64 v[46:47], v55, 1
	v_bfi_b32 v54, v54, 0, 0
	v_bfi_b32 v53, v53, 0, v28
	v_cmp_eq_u64_e64 s[40:41], v[53:54], v[46:47]
	v_lshrrev_b64 v[46:47], v35, v[28:29]
	v_mov_b32_e32 v56, v47
	v_mov_b32_e32 v55, v46
	s_and_saveexec_b64 s[50:51], s[40:41]
; %bb.5304:                             ;   in Loop: Header=BB2_4850 Depth=3
	v_bfe_u32 v28, v46, 20, 1
	v_add_co_u32_e64 v28, s[40:41], v46, v28
	v_add_co_u32_e64 v55, s[40:41], -1, v28
; %bb.5305:                             ;   in Loop: Header=BB2_4850 Depth=3
	s_or_b64 exec, exec, s[50:51]
	v_add_u32_e32 v25, 0xffffff81, v25
	v_cndmask_b32_e32 v25, v25, v37, vcc
	v_lshrrev_b32_e32 v28, 23, v46
	v_add3_u32 v56, v35, v25, v28
	v_add_u32_e32 v35, 6, v56
	v_and_b32_e32 v25, 0xfffff, v55
	v_add_u32_e32 v28, v25, v46
	v_cmp_ne_u32_e32 vcc, 0, v35
                                        ; implicit-def: $vgpr46_vgpr47
                                        ; implicit-def: $vgpr25
	s_and_saveexec_b64 s[40:41], vcc
	s_xor_b64 s[40:41], exec, s[40:41]
; %bb.5306:                             ;   in Loop: Header=BB2_4850 Depth=3
	v_cmp_lt_u64_e32 vcc, s[88:89], v[28:29]
	v_add_u32_e32 v25, 7, v56
	v_cndmask_b32_e32 v25, v35, v25, vcc
	v_cndmask_b32_e64 v35, 0, 1, vcc
	v_lshrrev_b64 v[46:47], v35, v[28:29]
; %bb.5307:                             ;   in Loop: Header=BB2_4850 Depth=3
	s_andn2_saveexec_b64 s[40:41], s[40:41]
; %bb.5308:                             ;   in Loop: Header=BB2_4850 Depth=3
	v_mov_b32_e32 v47, v29
	v_mov_b32_e32 v46, v28
	v_bfe_u32 v25, v28, 23, 1
; %bb.5309:                             ;   in Loop: Header=BB2_4850 Depth=3
	s_or_b64 exec, exec, s[40:41]
	v_lshrrev_b64 v[53:54], 20, v[46:47]
	v_cmp_gt_i32_e32 vcc, 16, v25
	v_cndmask_b32_e32 v54, 0, v54, vcc
	v_cndmask_b32_e32 v53, 7, v53, vcc
	v_cmp_eq_u32_e32 vcc, 0, v25
	v_min_i32_e32 v25, 15, v25
	v_cmp_eq_u64_e64 s[40:41], 0, v[53:54]
	v_lshlrev_b32_e32 v25, 3, v25
	v_and_b32_e32 v25, 0xf8, v25
	v_and_or_b32 v25, v53, 7, v25
	s_and_b64 s[40:41], vcc, s[40:41]
	v_cndmask_b32_e64 v25, v25, 0, s[40:41]
	v_or_b32_e32 v25, v25, v30
.LBB2_5310:                             ;   in Loop: Header=BB2_4850 Depth=3
	s_or_b64 exec, exec, s[48:49]
                                        ; implicit-def: $vgpr30
.LBB2_5311:                             ;   in Loop: Header=BB2_4850 Depth=3
	s_andn2_saveexec_b64 s[40:41], s[38:39]
; %bb.5312:                             ;   in Loop: Header=BB2_4850 Depth=3
	v_or_b32_e32 v25, 0x7e, v30
; %bb.5313:                             ;   in Loop: Header=BB2_4850 Depth=3
	s_or_b64 exec, exec, s[40:41]
                                        ; implicit-def: $vgpr35
.LBB2_5314:                             ;   in Loop: Header=BB2_4850 Depth=3
	s_andn2_saveexec_b64 s[40:41], s[42:43]
; %bb.5315:                             ;   in Loop: Header=BB2_4850 Depth=3
	v_or_b32_sdwa v25, v35, s85 dst_sel:DWORD dst_unused:UNUSED_PAD src0_sel:BYTE_3 src1_sel:DWORD
; %bb.5316:                             ;   in Loop: Header=BB2_4850 Depth=3
	s_or_b64 exec, exec, s[40:41]
	v_lshl_or_b32 v34, v34, 8, v19
	v_lshlrev_b32_e32 v23, 16, v23
	v_lshlrev_b32_e32 v28, 24, v33
	v_or3_b32 v28, v23, v28, v34
	v_cmp_ne_u32_e32 vcc, 0, v19
	v_mov_b32_e32 v23, 0
	s_and_saveexec_b64 s[40:41], vcc
	s_cbranch_execz .LBB2_5322
; %bb.5317:                             ;   in Loop: Header=BB2_4850 Depth=3
	v_cmp_ne_u32_e32 vcc, s87, v19
	v_bfrev_b32_e32 v23, 1
	s_and_saveexec_b64 s[42:43], vcc
	s_cbranch_execz .LBB2_5321
; %bb.5318:                             ;   in Loop: Header=BB2_4850 Depth=3
	v_and_b32_e32 v30, 0x7f, v19
	v_cmp_ne_u32_e32 vcc, s85, v30
	v_mov_b32_e32 v23, 0x7f800001
	s_and_saveexec_b64 s[38:39], vcc
	s_cbranch_execz .LBB2_5320
; %bb.5319:                             ;   in Loop: Header=BB2_4850 Depth=3
	v_and_b32_e32 v19, 7, v19
	v_ffbh_u32_e32 v19, v19
	v_min_u32_e32 v19, 32, v19
	v_lshrrev_b32_e32 v23, 3, v30
	v_cmp_gt_u32_e32 vcc, 8, v30
	v_subrev_u32_e32 v30, 28, v19
	v_sub_u32_e32 v19, 29, v19
	v_cndmask_b32_e32 v19, v23, v19, vcc
	v_cndmask_b32_e32 v23, 0, v30, vcc
	v_lshlrev_b64 v[53:54], v23, v[28:29]
	v_lshlrev_b32_e32 v30, 24, v28
	v_lshlrev_b32_e32 v23, 20, v53
	v_and_b32_e32 v23, 0x700000, v23
	v_and_b32_e32 v30, 0x80000000, v30
	v_lshl_add_u32 v19, v19, 23, v17
	v_or3_b32 v23, v30, v19, v23
.LBB2_5320:                             ;   in Loop: Header=BB2_4850 Depth=3
	s_or_b64 exec, exec, s[38:39]
.LBB2_5321:                             ;   in Loop: Header=BB2_4850 Depth=3
	s_or_b64 exec, exec, s[42:43]
.LBB2_5322:                             ;   in Loop: Header=BB2_4850 Depth=3
	s_or_b64 exec, exec, s[40:41]
	v_cmp_gt_i16_sdwa s[42:43], v9, s85 src0_sel:BYTE_0 src1_sel:DWORD
	s_mov_b64 s[40:41], 0
	s_and_saveexec_b64 vcc, s[42:43]
	s_xor_b64 s[42:43], exec, vcc
	s_cbranch_execz .LBB2_5326
; %bb.5323:                             ;   in Loop: Header=BB2_4850 Depth=3
	v_cmp_eq_u16_sdwa s[38:39], v9, s87 src0_sel:BYTE_0 src1_sel:DWORD
	s_mov_b64 s[40:41], -1
	s_and_saveexec_b64 vcc, s[38:39]
; %bb.5324:                             ;   in Loop: Header=BB2_4850 Depth=3
	s_xor_b64 s[40:41], exec, -1
; %bb.5325:                             ;   in Loop: Header=BB2_4850 Depth=3
	s_or_b64 exec, exec, vcc
	s_and_b64 s[40:41], s[40:41], exec
.LBB2_5326:                             ;   in Loop: Header=BB2_4850 Depth=3
	s_or_saveexec_b64 s[42:43], s[42:43]
	v_bfrev_b32_e32 v19, 1
	s_xor_b64 exec, exec, s[42:43]
; %bb.5327:                             ;   in Loop: Header=BB2_4850 Depth=3
	v_cmp_ne_u16_sdwa vcc, v9, v29 src0_sel:BYTE_0 src1_sel:DWORD
	s_andn2_b64 s[40:41], s[40:41], exec
	s_and_b64 vcc, vcc, exec
	v_mov_b32_e32 v19, 0
	s_or_b64 s[40:41], s[40:41], vcc
; %bb.5328:                             ;   in Loop: Header=BB2_4850 Depth=3
	s_or_b64 exec, exec, s[42:43]
	v_mov_b32_e32 v46, v9
	v_mov_b32_e32 v47, v29
	s_and_saveexec_b64 s[42:43], s[40:41]
	s_cbranch_execz .LBB2_5330
; %bb.5329:                             ;   in Loop: Header=BB2_4850 Depth=3
	v_and_b32_e32 v19, 7, v9
	v_ffbh_u32_e32 v19, v19
	v_and_b32_e32 v30, 0x7f, v9
	v_min_u32_e32 v19, 32, v19
	v_bfe_u32 v33, v9, 3, 4
	v_subrev_u32_e32 v35, 28, v19
	v_sub_u32_e32 v19, 29, v19
	v_cmp_gt_u32_e32 vcc, 8, v30
	v_cndmask_b32_e32 v19, v33, v19, vcc
	v_cndmask_b32_e32 v33, 0, v35, vcc
	v_lshlrev_b64 v[53:54], v33, v[46:47]
	v_lshlrev_b32_e32 v35, 24, v46
	v_lshlrev_b32_e32 v33, 20, v53
	v_and_b32_e32 v33, 0x700000, v33
	v_and_b32_e32 v35, 0x80000000, v35
	v_lshl_add_u32 v19, v19, 23, v17
	v_or3_b32 v19, v35, v19, v33
	v_cmp_ne_u32_e32 vcc, s85, v30
	v_cndmask_b32_e32 v19, v4, v19, vcc
.LBB2_5330:                             ;   in Loop: Header=BB2_4850 Depth=3
	s_or_b64 exec, exec, s[42:43]
	v_add_f32_e32 v30, v23, v19
	v_and_b32_e32 v53, 0x7f800000, v30
	v_mov_b32_e32 v54, v29
	v_cmp_ne_u64_e32 vcc, s[76:77], v[53:54]
                                        ; implicit-def: $vgpr19
	s_and_saveexec_b64 s[40:41], vcc
	s_xor_b64 s[42:43], exec, s[40:41]
	s_cbranch_execz .LBB2_5344
; %bb.5331:                             ;   in Loop: Header=BB2_4850 Depth=3
	v_and_b32_e32 v53, 0x7fffffff, v30
	v_mov_b32_e32 v54, v29
	v_cmp_gt_u64_e32 vcc, s[78:79], v[53:54]
	v_and_b32_sdwa v23, v30, s87 dst_sel:DWORD dst_unused:UNUSED_PAD src0_sel:BYTE_3 src1_sel:DWORD
                                        ; implicit-def: $vgpr19
	s_and_saveexec_b64 s[40:41], vcc
	s_xor_b64 s[38:39], exec, s[40:41]
	s_cbranch_execz .LBB2_5341
; %bb.5332:                             ;   in Loop: Header=BB2_4850 Depth=3
	v_mov_b32_e32 v19, 0
	v_cmp_ne_u32_e32 vcc, 0, v30
	s_and_saveexec_b64 s[48:49], vcc
	s_cbranch_execz .LBB2_5340
; %bb.5333:                             ;   in Loop: Header=BB2_4850 Depth=3
	v_bfe_u32 v19, v30, 23, 8
	v_and_b32_e32 v33, 0x7fffff, v30
	v_cmp_gt_u32_e64 s[40:41], s96, v19
	v_sub_u32_e32 v30, 0x79, v19
	v_cmp_eq_u32_e32 vcc, 0, v19
	v_cndmask_b32_e64 v30, 0, v30, s[40:41]
	v_or_b32_e32 v35, 0x800000, v33
	v_cndmask_b32_e32 v30, v30, v36, vcc
	v_cndmask_b32_e32 v53, v35, v33, vcc
	v_add_u32_e32 v33, 20, v30
	v_lshlrev_b64 v[55:56], v33, -1
	v_add_u32_e32 v33, 19, v30
	v_lshlrev_b64 v[57:58], v33, 1
	v_mov_b32_e32 v54, v29
	v_bfi_b32 v56, v56, 0, 0
	v_bfi_b32 v55, v55, 0, v53
	v_cmp_eq_u64_e64 s[40:41], v[55:56], v[57:58]
	v_lshrrev_b64 v[55:56], v30, v[53:54]
	v_mov_b32_e32 v57, v56
	v_mov_b32_e32 v56, v55
	s_and_saveexec_b64 s[50:51], s[40:41]
; %bb.5334:                             ;   in Loop: Header=BB2_4850 Depth=3
	v_bfe_u32 v33, v55, 20, 1
	v_add_co_u32_e64 v33, s[40:41], v55, v33
	v_add_co_u32_e64 v56, s[40:41], -1, v33
; %bb.5335:                             ;   in Loop: Header=BB2_4850 Depth=3
	s_or_b64 exec, exec, s[50:51]
	v_add_u32_e32 v19, 0xffffff81, v19
	v_cndmask_b32_e32 v19, v19, v37, vcc
	v_lshrrev_b32_e32 v33, 23, v55
	v_add3_u32 v33, v30, v19, v33
	v_add_u32_e32 v30, 6, v33
	v_and_b32_e32 v19, 0xfffff, v56
	v_add_u32_e32 v55, v19, v55
	v_mov_b32_e32 v56, v29
	v_cmp_ne_u32_e32 vcc, 0, v30
                                        ; implicit-def: $vgpr19
	s_and_saveexec_b64 s[40:41], vcc
	s_xor_b64 s[40:41], exec, s[40:41]
; %bb.5336:                             ;   in Loop: Header=BB2_4850 Depth=3
	v_cmp_lt_u64_e32 vcc, s[88:89], v[55:56]
	v_add_u32_e32 v19, 7, v33
	v_cndmask_b32_e32 v19, v30, v19, vcc
	v_cndmask_b32_e64 v30, 0, 1, vcc
	v_lshrrev_b64 v[55:56], v30, v[55:56]
; %bb.5337:                             ;   in Loop: Header=BB2_4850 Depth=3
	s_or_saveexec_b64 s[40:41], s[40:41]
	buffer_load_dword v58, off, s[0:3], s33 offset:172 ; 4-byte Folded Reload
	s_xor_b64 exec, exec, s[40:41]
; %bb.5338:                             ;   in Loop: Header=BB2_4850 Depth=3
	v_bfe_u32 v19, v55, 23, 1
; %bb.5339:                             ;   in Loop: Header=BB2_4850 Depth=3
	s_or_b64 exec, exec, s[40:41]
	v_lshrrev_b64 v[53:54], 20, v[55:56]
	v_cmp_gt_i32_e32 vcc, 16, v19
	v_cndmask_b32_e32 v54, 0, v54, vcc
	v_cndmask_b32_e32 v53, 7, v53, vcc
	v_cmp_eq_u32_e32 vcc, 0, v19
	v_min_i32_e32 v19, 15, v19
	v_cmp_eq_u64_e64 s[40:41], 0, v[53:54]
	v_lshlrev_b32_e32 v19, 3, v19
	v_and_b32_e32 v19, 0xf8, v19
	v_and_or_b32 v19, v53, 7, v19
	s_and_b64 s[40:41], vcc, s[40:41]
	v_cndmask_b32_e64 v19, v19, 0, s[40:41]
	v_or_b32_e32 v19, v19, v23
.LBB2_5340:                             ;   in Loop: Header=BB2_4850 Depth=3
	s_or_b64 exec, exec, s[48:49]
                                        ; implicit-def: $vgpr23
.LBB2_5341:                             ;   in Loop: Header=BB2_4850 Depth=3
	s_andn2_saveexec_b64 s[40:41], s[38:39]
; %bb.5342:                             ;   in Loop: Header=BB2_4850 Depth=3
	v_or_b32_e32 v19, 0x7e, v23
; %bb.5343:                             ;   in Loop: Header=BB2_4850 Depth=3
	s_or_b64 exec, exec, s[40:41]
                                        ; implicit-def: $vgpr30
.LBB2_5344:                             ;   in Loop: Header=BB2_4850 Depth=3
	s_andn2_saveexec_b64 s[40:41], s[42:43]
; %bb.5345:                             ;   in Loop: Header=BB2_4850 Depth=3
	v_or_b32_sdwa v19, v30, s85 dst_sel:DWORD dst_unused:UNUSED_PAD src0_sel:BYTE_3 src1_sel:DWORD
; %bb.5346:                             ;   in Loop: Header=BB2_4850 Depth=3
	s_or_b64 exec, exec, s[40:41]
	v_lshrrev_b16_e32 v30, 8, v34
	v_cmp_ne_u16_e32 vcc, 0, v30
	v_mov_b32_e32 v23, 0
	s_and_saveexec_b64 s[40:41], vcc
	s_cbranch_execz .LBB2_5352
; %bb.5347:                             ;   in Loop: Header=BB2_4850 Depth=3
	v_cmp_ne_u16_e32 vcc, s87, v30
	v_bfrev_b32_e32 v23, 1
	s_and_saveexec_b64 s[42:43], vcc
	s_cbranch_execz .LBB2_5351
; %bb.5348:                             ;   in Loop: Header=BB2_4850 Depth=3
	v_and_b32_e32 v33, 0x7f, v30
	v_cmp_ne_u32_e32 vcc, s85, v33
	v_mov_b32_e32 v23, 0x7f800001
	s_and_saveexec_b64 s[38:39], vcc
	s_cbranch_execz .LBB2_5350
; %bb.5349:                             ;   in Loop: Header=BB2_4850 Depth=3
	v_and_b32_e32 v23, 7, v30
	v_lshrrev_b32_e32 v35, 3, v33
	v_cmp_gt_u32_e32 vcc, 8, v33
	v_ffbh_u32_e32 v33, v23
	v_min_u32_e32 v33, 32, v33
	v_subrev_u32_e32 v53, 28, v33
	v_lshlrev_b64 v[53:54], v53, v[30:31]
	v_sub_u32_e32 v30, 29, v33
	v_and_b32_e32 v33, 7, v53
	v_cndmask_b32_e32 v30, v35, v30, vcc
	v_cndmask_b32_e32 v23, v23, v33, vcc
	v_lshlrev_b32_e32 v33, 16, v34
	v_lshlrev_b32_e32 v23, 20, v23
	v_and_b32_e32 v33, 0x80000000, v33
	v_lshl_add_u32 v30, v30, 23, v17
	v_or3_b32 v23, v33, v30, v23
.LBB2_5350:                             ;   in Loop: Header=BB2_4850 Depth=3
	s_or_b64 exec, exec, s[38:39]
.LBB2_5351:                             ;   in Loop: Header=BB2_4850 Depth=3
	s_or_b64 exec, exec, s[42:43]
.LBB2_5352:                             ;   in Loop: Header=BB2_4850 Depth=3
	s_or_b64 exec, exec, s[40:41]
	v_lshrrev_b16_e32 v46, 8, v46
	v_cmp_lt_i16_e32 vcc, s85, v46
	s_mov_b64 s[40:41], 0
	s_and_saveexec_b64 s[42:43], vcc
	s_xor_b64 s[42:43], exec, s[42:43]
	s_cbranch_execz .LBB2_5647
; %bb.5353:                             ;   in Loop: Header=BB2_4850 Depth=3
	v_cmp_eq_u16_e32 vcc, s87, v46
	s_mov_b64 s[40:41], -1
	s_and_saveexec_b64 s[38:39], vcc
; %bb.5354:                             ;   in Loop: Header=BB2_4850 Depth=3
	s_xor_b64 s[40:41], exec, -1
; %bb.5355:                             ;   in Loop: Header=BB2_4850 Depth=3
	s_or_b64 exec, exec, s[38:39]
	s_and_b64 s[40:41], s[40:41], exec
	s_or_saveexec_b64 s[42:43], s[42:43]
	v_bfrev_b32_e32 v30, 1
	s_xor_b64 exec, exec, s[42:43]
	s_cbranch_execnz .LBB2_5648
.LBB2_5356:                             ;   in Loop: Header=BB2_4850 Depth=3
	s_or_b64 exec, exec, s[42:43]
	s_and_saveexec_b64 s[42:43], s[40:41]
	s_cbranch_execz .LBB2_5358
.LBB2_5357:                             ;   in Loop: Header=BB2_4850 Depth=3
	v_and_b32_e32 v30, 7, v46
	v_ffbh_u32_e32 v33, v30
	v_min_u32_e32 v54, 32, v33
	v_mov_b32_e32 v47, v29
	v_subrev_u32_e32 v33, 28, v54
	v_lshlrev_b64 v[33:34], v33, v[46:47]
	v_and_b32_e32 v35, 0x7f, v46
	v_bfe_u32 v53, v46, 3, 4
	v_sub_u32_e32 v34, 29, v54
	v_and_b32_e32 v33, 7, v33
	v_cmp_gt_u32_e32 vcc, 8, v35
	v_cndmask_b32_e32 v34, v53, v34, vcc
	v_cndmask_b32_e32 v30, v30, v33, vcc
	v_lshlrev_b32_e32 v33, 24, v46
	v_lshlrev_b32_e32 v30, 20, v30
	v_and_b32_e32 v33, 0x80000000, v33
	v_lshl_add_u32 v34, v34, 23, v17
	v_or3_b32 v30, v33, v34, v30
	v_cmp_ne_u32_e32 vcc, s85, v35
	v_cndmask_b32_e32 v30, v4, v30, vcc
.LBB2_5358:                             ;   in Loop: Header=BB2_4850 Depth=3
	s_or_b64 exec, exec, s[42:43]
	v_add_f32_e32 v33, v23, v30
	v_and_b32_e32 v34, 0x7f800000, v33
	v_mov_b32_e32 v35, v29
	v_cmp_ne_u64_e32 vcc, s[76:77], v[34:35]
                                        ; implicit-def: $vgpr23
	s_and_saveexec_b64 s[40:41], vcc
	s_xor_b64 s[42:43], exec, s[40:41]
	s_cbranch_execz .LBB2_5372
; %bb.5359:                             ;   in Loop: Header=BB2_4850 Depth=3
	v_and_b32_e32 v34, 0x7fffffff, v33
	v_mov_b32_e32 v35, v29
	v_cmp_gt_u64_e32 vcc, s[78:79], v[34:35]
	v_and_b32_sdwa v30, v33, s87 dst_sel:DWORD dst_unused:UNUSED_PAD src0_sel:BYTE_3 src1_sel:DWORD
                                        ; implicit-def: $vgpr23
	s_and_saveexec_b64 s[40:41], vcc
	s_xor_b64 s[38:39], exec, s[40:41]
	s_cbranch_execz .LBB2_5369
; %bb.5360:                             ;   in Loop: Header=BB2_4850 Depth=3
	v_mov_b32_e32 v23, 0
	v_cmp_ne_u32_e32 vcc, 0, v33
	s_and_saveexec_b64 s[48:49], vcc
	s_cbranch_execz .LBB2_5368
; %bb.5361:                             ;   in Loop: Header=BB2_4850 Depth=3
	v_bfe_u32 v23, v33, 23, 8
	v_and_b32_e32 v34, 0x7fffff, v33
	v_cmp_gt_u32_e64 s[40:41], s96, v23
	v_sub_u32_e32 v33, 0x79, v23
	v_cmp_eq_u32_e32 vcc, 0, v23
	v_cndmask_b32_e64 v33, 0, v33, s[40:41]
	v_cndmask_b32_e32 v33, v33, v36, vcc
	v_add_u32_e32 v53, 20, v33
	v_or_b32_e32 v35, 0x800000, v34
	v_lshlrev_b64 v[53:54], v53, -1
	v_add_u32_e32 v55, 19, v33
	v_cndmask_b32_e32 v34, v35, v34, vcc
	v_lshlrev_b64 v[46:47], v55, 1
	v_mov_b32_e32 v35, v29
	v_bfi_b32 v54, v54, 0, 0
	v_bfi_b32 v53, v53, 0, v34
	v_cmp_eq_u64_e64 s[40:41], v[53:54], v[46:47]
	v_lshrrev_b64 v[46:47], v33, v[34:35]
	v_mov_b32_e32 v56, v47
	v_mov_b32_e32 v55, v46
	s_and_saveexec_b64 s[50:51], s[40:41]
; %bb.5362:                             ;   in Loop: Header=BB2_4850 Depth=3
	v_bfe_u32 v34, v46, 20, 1
	v_add_co_u32_e64 v34, s[40:41], v46, v34
	v_add_co_u32_e64 v55, s[40:41], -1, v34
; %bb.5363:                             ;   in Loop: Header=BB2_4850 Depth=3
	s_or_b64 exec, exec, s[50:51]
	v_add_u32_e32 v23, 0xffffff81, v23
	v_cndmask_b32_e32 v23, v23, v37, vcc
	v_lshrrev_b32_e32 v34, 23, v46
	v_add3_u32 v34, v33, v23, v34
	v_add_u32_e32 v33, 6, v34
	v_and_b32_e32 v23, 0xfffff, v55
	v_add_u32_e32 v46, v23, v46
	v_mov_b32_e32 v47, v29
	v_cmp_ne_u32_e32 vcc, 0, v33
                                        ; implicit-def: $vgpr23
	s_and_saveexec_b64 s[40:41], vcc
	s_xor_b64 s[40:41], exec, s[40:41]
; %bb.5364:                             ;   in Loop: Header=BB2_4850 Depth=3
	v_cmp_lt_u64_e32 vcc, s[88:89], v[46:47]
	v_add_u32_e32 v23, 7, v34
	v_cndmask_b32_e32 v23, v33, v23, vcc
	v_cndmask_b32_e64 v33, 0, 1, vcc
	v_lshrrev_b64 v[46:47], v33, v[46:47]
; %bb.5365:                             ;   in Loop: Header=BB2_4850 Depth=3
	s_andn2_saveexec_b64 s[40:41], s[40:41]
; %bb.5366:                             ;   in Loop: Header=BB2_4850 Depth=3
	v_bfe_u32 v23, v46, 23, 1
; %bb.5367:                             ;   in Loop: Header=BB2_4850 Depth=3
	s_or_b64 exec, exec, s[40:41]
	v_lshrrev_b64 v[33:34], 20, v[46:47]
	v_cmp_gt_i32_e32 vcc, 16, v23
	v_cndmask_b32_e32 v34, 0, v34, vcc
	v_cndmask_b32_e32 v33, 7, v33, vcc
	v_cmp_eq_u32_e32 vcc, 0, v23
	v_min_i32_e32 v23, 15, v23
	v_cmp_eq_u64_e64 s[40:41], 0, v[33:34]
	v_lshlrev_b32_e32 v23, 3, v23
	v_and_b32_e32 v23, 0xf8, v23
	v_and_or_b32 v23, v33, 7, v23
	s_and_b64 s[40:41], vcc, s[40:41]
	v_cndmask_b32_e64 v23, v23, 0, s[40:41]
	v_or_b32_e32 v23, v23, v30
.LBB2_5368:                             ;   in Loop: Header=BB2_4850 Depth=3
	s_or_b64 exec, exec, s[48:49]
                                        ; implicit-def: $vgpr30
.LBB2_5369:                             ;   in Loop: Header=BB2_4850 Depth=3
	s_andn2_saveexec_b64 s[40:41], s[38:39]
; %bb.5370:                             ;   in Loop: Header=BB2_4850 Depth=3
	v_or_b32_e32 v23, 0x7e, v30
; %bb.5371:                             ;   in Loop: Header=BB2_4850 Depth=3
	s_or_b64 exec, exec, s[40:41]
                                        ; implicit-def: $vgpr33
.LBB2_5372:                             ;   in Loop: Header=BB2_4850 Depth=3
	s_andn2_saveexec_b64 s[40:41], s[42:43]
; %bb.5373:                             ;   in Loop: Header=BB2_4850 Depth=3
	v_or_b32_sdwa v23, v33, s85 dst_sel:DWORD dst_unused:UNUSED_PAD src0_sel:BYTE_3 src1_sel:DWORD
; %bb.5374:                             ;   in Loop: Header=BB2_4850 Depth=3
	s_or_b64 exec, exec, s[40:41]
	v_lshrrev_b32_e32 v30, 16, v28
	v_cmp_ne_u16_sdwa s[42:43], v30, v29 src0_sel:BYTE_0 src1_sel:DWORD
	v_mov_b32_e32 v33, 0
	s_and_saveexec_b64 s[40:41], s[42:43]
	s_cbranch_execz .LBB2_5380
; %bb.5375:                             ;   in Loop: Header=BB2_4850 Depth=3
	v_cmp_ne_u16_sdwa vcc, v30, s87 src0_sel:BYTE_0 src1_sel:DWORD
	v_bfrev_b32_e32 v33, 1
	s_and_saveexec_b64 s[42:43], vcc
	s_cbranch_execz .LBB2_5379
; %bb.5376:                             ;   in Loop: Header=BB2_4850 Depth=3
	v_bfe_u32 v34, v28, 16, 7
	v_cmp_ne_u32_e32 vcc, s85, v34
	v_mov_b32_e32 v33, 0x7f800001
	s_and_saveexec_b64 s[38:39], vcc
	s_cbranch_execz .LBB2_5378
; %bb.5377:                             ;   in Loop: Header=BB2_4850 Depth=3
	v_and_b32_e32 v35, 7, v30
	v_ffbh_u32_e32 v33, v35
	v_min_u32_e32 v54, 32, v33
	v_subrev_u32_e32 v33, 28, v54
	v_lshrrev_b32_e32 v53, 3, v34
	v_cmp_gt_u32_e32 vcc, 8, v34
	v_lshlrev_b64 v[33:34], v33, v[30:31]
	v_sub_u32_e32 v34, 29, v54
	v_and_b32_e32 v33, 7, v33
	v_cndmask_b32_e32 v34, v53, v34, vcc
	v_cndmask_b32_e32 v33, v35, v33, vcc
	v_lshlrev_b32_e32 v30, 24, v30
	v_lshlrev_b32_e32 v33, 20, v33
	v_and_b32_e32 v30, 0x80000000, v30
	v_lshl_add_u32 v34, v34, 23, v17
	v_or3_b32 v33, v30, v34, v33
.LBB2_5378:                             ;   in Loop: Header=BB2_4850 Depth=3
	s_or_b64 exec, exec, s[38:39]
.LBB2_5379:                             ;   in Loop: Header=BB2_4850 Depth=3
	s_or_b64 exec, exec, s[42:43]
.LBB2_5380:                             ;   in Loop: Header=BB2_4850 Depth=3
	s_or_b64 exec, exec, s[40:41]
	v_lshrrev_b32_e32 v30, 16, v9
	v_cmp_gt_i16_sdwa s[42:43], v30, s85 src0_sel:BYTE_0 src1_sel:DWORD
	s_mov_b64 s[40:41], 0
	s_and_saveexec_b64 vcc, s[42:43]
	s_xor_b64 s[42:43], exec, vcc
	s_cbranch_execz .LBB2_5649
; %bb.5381:                             ;   in Loop: Header=BB2_4850 Depth=3
	v_cmp_eq_u16_sdwa s[38:39], v30, s87 src0_sel:BYTE_0 src1_sel:DWORD
	s_mov_b64 s[40:41], -1
	s_and_saveexec_b64 vcc, s[38:39]
; %bb.5382:                             ;   in Loop: Header=BB2_4850 Depth=3
	s_xor_b64 s[40:41], exec, -1
; %bb.5383:                             ;   in Loop: Header=BB2_4850 Depth=3
	s_or_b64 exec, exec, vcc
	s_and_b64 s[40:41], s[40:41], exec
	s_or_saveexec_b64 s[42:43], s[42:43]
	v_bfrev_b32_e32 v34, 1
	s_xor_b64 exec, exec, s[42:43]
	s_cbranch_execnz .LBB2_5650
.LBB2_5384:                             ;   in Loop: Header=BB2_4850 Depth=3
	s_or_b64 exec, exec, s[42:43]
	s_and_saveexec_b64 s[42:43], s[40:41]
	s_cbranch_execz .LBB2_5386
.LBB2_5385:                             ;   in Loop: Header=BB2_4850 Depth=3
	v_and_b32_e32 v53, 7, v30
	v_ffbh_u32_e32 v34, v53
	v_min_u32_e32 v46, 32, v34
	v_subrev_u32_e32 v34, 28, v46
	v_lshlrev_b64 v[34:35], v34, v[30:31]
	v_and_b32_e32 v54, 0x7f, v30
	v_bfe_u32 v55, v30, 3, 4
	v_sub_u32_e32 v35, 29, v46
	v_and_b32_e32 v34, 7, v34
	v_cmp_gt_u32_e32 vcc, 8, v54
	v_cndmask_b32_e32 v35, v55, v35, vcc
	v_cndmask_b32_e32 v34, v53, v34, vcc
	v_lshlrev_b32_e32 v30, 24, v30
	v_lshlrev_b32_e32 v34, 20, v34
	v_and_b32_e32 v30, 0x80000000, v30
	v_lshl_add_u32 v35, v35, 23, v17
	v_or3_b32 v30, v30, v35, v34
	v_cmp_ne_u32_e32 vcc, s85, v54
	v_cndmask_b32_e32 v34, v4, v30, vcc
.LBB2_5386:                             ;   in Loop: Header=BB2_4850 Depth=3
	s_or_b64 exec, exec, s[42:43]
	v_add_f32_e32 v34, v33, v34
	v_and_b32_e32 v53, 0x7f800000, v34
	v_mov_b32_e32 v54, v29
	v_cmp_ne_u64_e32 vcc, s[76:77], v[53:54]
                                        ; implicit-def: $vgpr33
	s_and_saveexec_b64 s[40:41], vcc
	s_xor_b64 s[42:43], exec, s[40:41]
	s_cbranch_execz .LBB2_5400
; %bb.5387:                             ;   in Loop: Header=BB2_4850 Depth=3
	v_and_b32_e32 v53, 0x7fffffff, v34
	v_mov_b32_e32 v54, v29
	v_cmp_gt_u64_e32 vcc, s[78:79], v[53:54]
	v_and_b32_sdwa v30, v34, s87 dst_sel:DWORD dst_unused:UNUSED_PAD src0_sel:BYTE_3 src1_sel:DWORD
                                        ; implicit-def: $vgpr33
	s_and_saveexec_b64 s[40:41], vcc
	s_xor_b64 s[38:39], exec, s[40:41]
	s_cbranch_execz .LBB2_5397
; %bb.5388:                             ;   in Loop: Header=BB2_4850 Depth=3
	v_mov_b32_e32 v33, 0
	v_cmp_ne_u32_e32 vcc, 0, v34
	s_and_saveexec_b64 s[48:49], vcc
	s_cbranch_execz .LBB2_5396
; %bb.5389:                             ;   in Loop: Header=BB2_4850 Depth=3
	v_bfe_u32 v33, v34, 23, 8
	v_and_b32_e32 v35, 0x7fffff, v34
	v_cmp_gt_u32_e64 s[40:41], s96, v33
	v_sub_u32_e32 v34, 0x79, v33
	v_cmp_eq_u32_e32 vcc, 0, v33
	v_cndmask_b32_e64 v34, 0, v34, s[40:41]
	v_or_b32_e32 v53, 0x800000, v35
	v_cndmask_b32_e32 v34, v34, v36, vcc
	v_cndmask_b32_e32 v53, v53, v35, vcc
	v_add_u32_e32 v35, 20, v34
	v_lshlrev_b64 v[46:47], v35, -1
	v_add_u32_e32 v35, 19, v34
	v_lshlrev_b64 v[55:56], v35, 1
	v_mov_b32_e32 v54, v29
	v_bfi_b32 v47, v47, 0, 0
	v_bfi_b32 v46, v46, 0, v53
	v_cmp_eq_u64_e64 s[40:41], v[46:47], v[55:56]
	v_lshrrev_b64 v[46:47], v34, v[53:54]
	v_mov_b32_e32 v56, v47
	v_mov_b32_e32 v55, v46
	s_and_saveexec_b64 s[50:51], s[40:41]
; %bb.5390:                             ;   in Loop: Header=BB2_4850 Depth=3
	v_bfe_u32 v35, v46, 20, 1
	v_add_co_u32_e64 v35, s[40:41], v46, v35
	v_add_co_u32_e64 v55, s[40:41], -1, v35
; %bb.5391:                             ;   in Loop: Header=BB2_4850 Depth=3
	s_or_b64 exec, exec, s[50:51]
	v_add_u32_e32 v33, 0xffffff81, v33
	v_cndmask_b32_e32 v33, v33, v37, vcc
	v_lshrrev_b32_e32 v35, 23, v46
	v_add3_u32 v35, v34, v33, v35
	v_add_u32_e32 v34, 6, v35
	v_and_b32_e32 v33, 0xfffff, v55
	v_add_u32_e32 v46, v33, v46
	v_mov_b32_e32 v47, v29
	v_cmp_ne_u32_e32 vcc, 0, v34
                                        ; implicit-def: $vgpr33
	s_and_saveexec_b64 s[40:41], vcc
	s_xor_b64 s[40:41], exec, s[40:41]
; %bb.5392:                             ;   in Loop: Header=BB2_4850 Depth=3
	v_cmp_lt_u64_e32 vcc, s[88:89], v[46:47]
	v_add_u32_e32 v33, 7, v35
	v_cndmask_b32_e32 v33, v34, v33, vcc
	v_cndmask_b32_e64 v34, 0, 1, vcc
	v_lshrrev_b64 v[46:47], v34, v[46:47]
; %bb.5393:                             ;   in Loop: Header=BB2_4850 Depth=3
	s_andn2_saveexec_b64 s[40:41], s[40:41]
; %bb.5394:                             ;   in Loop: Header=BB2_4850 Depth=3
	v_bfe_u32 v33, v46, 23, 1
; %bb.5395:                             ;   in Loop: Header=BB2_4850 Depth=3
	s_or_b64 exec, exec, s[40:41]
	v_lshrrev_b64 v[34:35], 20, v[46:47]
	v_cmp_gt_i32_e32 vcc, 16, v33
	v_cndmask_b32_e32 v35, 0, v35, vcc
	v_cndmask_b32_e32 v34, 7, v34, vcc
	v_cmp_eq_u32_e32 vcc, 0, v33
	v_min_i32_e32 v33, 15, v33
	v_cmp_eq_u64_e64 s[40:41], 0, v[34:35]
	v_lshlrev_b32_e32 v33, 3, v33
	v_and_b32_e32 v33, 0xf8, v33
	v_and_or_b32 v33, v34, 7, v33
	s_and_b64 s[40:41], vcc, s[40:41]
	v_cndmask_b32_e64 v33, v33, 0, s[40:41]
	v_or_b32_e32 v33, v33, v30
.LBB2_5396:                             ;   in Loop: Header=BB2_4850 Depth=3
	s_or_b64 exec, exec, s[48:49]
                                        ; implicit-def: $vgpr30
.LBB2_5397:                             ;   in Loop: Header=BB2_4850 Depth=3
	s_andn2_saveexec_b64 s[40:41], s[38:39]
; %bb.5398:                             ;   in Loop: Header=BB2_4850 Depth=3
	v_or_b32_e32 v33, 0x7e, v30
; %bb.5399:                             ;   in Loop: Header=BB2_4850 Depth=3
	s_or_b64 exec, exec, s[40:41]
                                        ; implicit-def: $vgpr34
.LBB2_5400:                             ;   in Loop: Header=BB2_4850 Depth=3
	s_andn2_saveexec_b64 s[40:41], s[42:43]
; %bb.5401:                             ;   in Loop: Header=BB2_4850 Depth=3
	v_or_b32_sdwa v33, v34, s85 dst_sel:DWORD dst_unused:UNUSED_PAD src0_sel:BYTE_3 src1_sel:DWORD
; %bb.5402:                             ;   in Loop: Header=BB2_4850 Depth=3
	s_or_b64 exec, exec, s[40:41]
	v_cmp_lt_u32_e32 vcc, s57, v28
	v_mov_b32_e32 v34, 0
	s_and_saveexec_b64 s[40:41], vcc
	s_cbranch_execz .LBB2_5408
; %bb.5403:                             ;   in Loop: Header=BB2_4850 Depth=3
	v_lshrrev_b32_e32 v30, 24, v28
	v_cmp_ne_u32_sdwa vcc, v28, s87 src0_sel:BYTE_3 src1_sel:DWORD
	v_bfrev_b32_e32 v34, 1
	s_and_saveexec_b64 s[42:43], vcc
	s_cbranch_execz .LBB2_5407
; %bb.5404:                             ;   in Loop: Header=BB2_4850 Depth=3
	v_bfe_u32 v35, v28, 24, 7
	v_cmp_ne_u32_e32 vcc, s85, v35
	v_mov_b32_e32 v34, 0x7f800001
	s_and_saveexec_b64 s[38:39], vcc
	s_cbranch_execz .LBB2_5406
; %bb.5405:                             ;   in Loop: Header=BB2_4850 Depth=3
	v_and_b32_e32 v53, 7, v30
	v_ffbh_u32_e32 v34, v53
	v_min_u32_e32 v55, 32, v34
	v_subrev_u32_e32 v34, 28, v55
	v_lshrrev_b32_e32 v54, 3, v35
	v_cmp_gt_u32_e32 vcc, 8, v35
	v_lshlrev_b64 v[34:35], v34, v[30:31]
	v_sub_u32_e32 v30, 29, v55
	v_and_b32_e32 v34, 7, v34
	v_mov_b32_e32 v35, 24
	v_cndmask_b32_e32 v30, v54, v30, vcc
	v_cndmask_b32_e32 v34, v53, v34, vcc
	v_lshlrev_b32_sdwa v28, v35, v28 dst_sel:DWORD dst_unused:UNUSED_PAD src0_sel:DWORD src1_sel:BYTE_3
	v_lshlrev_b32_e32 v34, 20, v34
	v_and_b32_e32 v28, 0x80000000, v28
	v_lshl_add_u32 v30, v30, 23, v17
	v_or3_b32 v34, v28, v30, v34
.LBB2_5406:                             ;   in Loop: Header=BB2_4850 Depth=3
	s_or_b64 exec, exec, s[38:39]
.LBB2_5407:                             ;   in Loop: Header=BB2_4850 Depth=3
	s_or_b64 exec, exec, s[42:43]
.LBB2_5408:                             ;   in Loop: Header=BB2_4850 Depth=3
	s_or_b64 exec, exec, s[40:41]
	v_bfe_u32 v30, v9, 24, 3
	v_ffbh_u32_e32 v53, v30
	v_min_u32_e32 v46, 32, v53
	v_lshrrev_b32_e32 v28, 24, v9
	v_subrev_u32_e32 v53, 28, v46
	v_lshlrev_b64 v[53:54], v53, v[28:29]
	v_bfe_u32 v35, v9, 24, 7
	v_bfe_u32 v55, v28, 3, 4
	v_sub_u32_e32 v54, 29, v46
	v_and_b32_e32 v53, 7, v53
	v_cmp_gt_u32_e32 vcc, 8, v35
	v_cndmask_b32_e32 v54, v55, v54, vcc
	v_cndmask_b32_e32 v30, v30, v53, vcc
	v_lshlrev_b32_e32 v30, 20, v30
	v_and_b32_e32 v53, 0x80000000, v9
	v_lshl_add_u32 v54, v54, 23, v17
	v_or3_b32 v30, v53, v54, v30
	v_cmp_ne_u32_e32 vcc, s85, v35
	v_cndmask_b32_e32 v30, v4, v30, vcc
	v_cmp_ne_u32_e32 vcc, s87, v28
	v_bfrev_b32_e32 v28, 1
	v_cndmask_b32_e32 v28, v28, v30, vcc
	v_cmp_lt_u64_e32 vcc, s[56:57], v[8:9]
                                        ; implicit-def: $vgpr30
	v_cndmask_b32_e32 v8, 0, v28, vcc
	v_add_f32_e32 v8, v8, v34
	v_and_b32_e32 v28, 0x7f800000, v8
	v_cmp_ne_u64_e32 vcc, s[76:77], v[28:29]
	s_and_saveexec_b64 s[40:41], vcc
	s_xor_b64 s[42:43], exec, s[40:41]
	s_cbranch_execz .LBB2_5422
; %bb.5409:                             ;   in Loop: Header=BB2_4850 Depth=3
	v_and_b32_e32 v28, 0x7fffffff, v8
	v_cmp_gt_u64_e32 vcc, s[78:79], v[28:29]
	v_and_b32_sdwa v34, v8, s87 dst_sel:DWORD dst_unused:UNUSED_PAD src0_sel:BYTE_3 src1_sel:DWORD
                                        ; implicit-def: $vgpr30
	s_and_saveexec_b64 s[40:41], vcc
	s_xor_b64 s[38:39], exec, s[40:41]
	s_cbranch_execz .LBB2_5419
; %bb.5410:                             ;   in Loop: Header=BB2_4850 Depth=3
	v_mov_b32_e32 v30, 0
	v_cmp_ne_u32_e32 vcc, 0, v8
	s_and_saveexec_b64 s[48:49], vcc
	s_cbranch_execz .LBB2_5418
; %bb.5411:                             ;   in Loop: Header=BB2_4850 Depth=3
	v_bfe_u32 v30, v8, 23, 8
	v_and_b32_e32 v9, 0x7fffff, v8
	v_cmp_gt_u32_e64 s[40:41], s96, v30
	v_sub_u32_e32 v8, 0x79, v30
	v_cmp_eq_u32_e32 vcc, 0, v30
	v_cndmask_b32_e64 v8, 0, v8, s[40:41]
	v_cndmask_b32_e32 v35, v8, v36, vcc
	v_or_b32_e32 v28, 0x800000, v9
	v_add_u32_e32 v8, 20, v35
	v_cndmask_b32_e32 v28, v28, v9, vcc
	v_lshlrev_b64 v[8:9], v8, -1
	v_add_u32_e32 v53, 19, v35
	v_lshlrev_b64 v[53:54], v53, 1
	v_bfi_b32 v9, v9, 0, 0
	v_bfi_b32 v8, v8, 0, v28
	v_cmp_eq_u64_e64 s[40:41], v[8:9], v[53:54]
	v_lshrrev_b64 v[8:9], v35, v[28:29]
	v_mov_b32_e32 v47, v9
	v_mov_b32_e32 v46, v8
	s_and_saveexec_b64 s[50:51], s[40:41]
; %bb.5412:                             ;   in Loop: Header=BB2_4850 Depth=3
	v_bfe_u32 v9, v8, 20, 1
	v_add_co_u32_e64 v9, s[40:41], v8, v9
	v_add_co_u32_e64 v46, s[40:41], -1, v9
; %bb.5413:                             ;   in Loop: Header=BB2_4850 Depth=3
	s_or_b64 exec, exec, s[50:51]
	v_add_u32_e32 v9, 0xffffff81, v30
	v_cndmask_b32_e32 v9, v9, v37, vcc
	v_lshrrev_b32_e32 v28, 23, v8
	v_add3_u32 v55, v35, v9, v28
	v_add_u32_e32 v35, 6, v55
	v_and_b32_e32 v9, 0xfffff, v46
	v_add_u32_e32 v28, v9, v8
	v_cmp_ne_u32_e32 vcc, 0, v35
                                        ; implicit-def: $vgpr8_vgpr9
                                        ; implicit-def: $vgpr30
	s_and_saveexec_b64 s[40:41], vcc
	s_xor_b64 s[40:41], exec, s[40:41]
; %bb.5414:                             ;   in Loop: Header=BB2_4850 Depth=3
	v_cmp_lt_u64_e32 vcc, s[88:89], v[28:29]
	v_add_u32_e32 v8, 7, v55
	v_cndmask_b32_e32 v30, v35, v8, vcc
	v_cndmask_b32_e64 v8, 0, 1, vcc
	v_lshrrev_b64 v[8:9], v8, v[28:29]
; %bb.5415:                             ;   in Loop: Header=BB2_4850 Depth=3
	s_andn2_saveexec_b64 s[40:41], s[40:41]
; %bb.5416:                             ;   in Loop: Header=BB2_4850 Depth=3
	v_mov_b32_e32 v8, v28
	v_mov_b32_e32 v9, v29
	v_bfe_u32 v30, v28, 23, 1
; %bb.5417:                             ;   in Loop: Header=BB2_4850 Depth=3
	s_or_b64 exec, exec, s[40:41]
	v_lshrrev_b64 v[8:9], 20, v[8:9]
	v_cmp_gt_i32_e32 vcc, 16, v30
	v_cndmask_b32_e32 v9, 0, v9, vcc
	v_cndmask_b32_e32 v8, 7, v8, vcc
	v_cmp_eq_u64_e64 s[40:41], 0, v[8:9]
	v_min_i32_e32 v9, 15, v30
	v_lshlrev_b32_e32 v9, 3, v9
	v_cmp_eq_u32_e32 vcc, 0, v30
	v_and_b32_e32 v9, 0xf8, v9
	v_and_or_b32 v8, v8, 7, v9
	s_and_b64 s[40:41], vcc, s[40:41]
	v_cndmask_b32_e64 v8, v8, 0, s[40:41]
	v_or_b32_e32 v30, v8, v34
.LBB2_5418:                             ;   in Loop: Header=BB2_4850 Depth=3
	s_or_b64 exec, exec, s[48:49]
                                        ; implicit-def: $vgpr34
.LBB2_5419:                             ;   in Loop: Header=BB2_4850 Depth=3
	s_andn2_saveexec_b64 s[40:41], s[38:39]
; %bb.5420:                             ;   in Loop: Header=BB2_4850 Depth=3
	v_or_b32_e32 v30, 0x7e, v34
; %bb.5421:                             ;   in Loop: Header=BB2_4850 Depth=3
	s_or_b64 exec, exec, s[40:41]
                                        ; implicit-def: $vgpr8
.LBB2_5422:                             ;   in Loop: Header=BB2_4850 Depth=3
	s_andn2_saveexec_b64 s[40:41], s[42:43]
; %bb.5423:                             ;   in Loop: Header=BB2_4850 Depth=3
	v_or_b32_sdwa v30, v8, s85 dst_sel:DWORD dst_unused:UNUSED_PAD src0_sel:BYTE_3 src1_sel:DWORD
; %bb.5424:                             ;   in Loop: Header=BB2_4850 Depth=3
	s_or_b64 exec, exec, s[40:41]
	v_lshl_or_b32 v24, v24, 8, v7
	v_lshlrev_b32_e32 v8, 16, v31
	v_lshlrev_b32_e32 v9, 24, v22
	v_or3_b32 v28, v8, v9, v24
	v_cmp_ne_u32_e32 vcc, 0, v7
	v_mov_b32_e32 v8, 0
	s_and_saveexec_b64 s[40:41], vcc
	s_cbranch_execz .LBB2_5430
; %bb.5425:                             ;   in Loop: Header=BB2_4850 Depth=3
	v_cmp_ne_u32_e32 vcc, s87, v7
	v_bfrev_b32_e32 v8, 1
	s_and_saveexec_b64 s[42:43], vcc
	s_cbranch_execz .LBB2_5429
; %bb.5426:                             ;   in Loop: Header=BB2_4850 Depth=3
	v_and_b32_e32 v9, 0x7f, v7
	v_cmp_ne_u32_e32 vcc, s85, v9
	v_mov_b32_e32 v8, 0x7f800001
	s_and_saveexec_b64 s[38:39], vcc
	s_cbranch_execz .LBB2_5428
; %bb.5427:                             ;   in Loop: Header=BB2_4850 Depth=3
	v_and_b32_e32 v7, 7, v7
	v_ffbh_u32_e32 v7, v7
	v_min_u32_e32 v7, 32, v7
	v_lshrrev_b32_e32 v8, 3, v9
	v_cmp_gt_u32_e32 vcc, 8, v9
	v_subrev_u32_e32 v9, 28, v7
	v_sub_u32_e32 v7, 29, v7
	v_cndmask_b32_e32 v22, v8, v7, vcc
	v_cndmask_b32_e32 v7, 0, v9, vcc
	v_lshlrev_b64 v[7:8], v7, v[28:29]
	v_lshlrev_b32_e32 v8, 24, v28
	v_lshlrev_b32_e32 v7, 20, v7
	v_and_b32_e32 v7, 0x700000, v7
	v_and_b32_e32 v8, 0x80000000, v8
	v_lshl_add_u32 v9, v22, 23, v17
	v_or3_b32 v8, v8, v9, v7
.LBB2_5428:                             ;   in Loop: Header=BB2_4850 Depth=3
	s_or_b64 exec, exec, s[38:39]
.LBB2_5429:                             ;   in Loop: Header=BB2_4850 Depth=3
	s_or_b64 exec, exec, s[42:43]
.LBB2_5430:                             ;   in Loop: Header=BB2_4850 Depth=3
	s_or_b64 exec, exec, s[40:41]
	v_cmp_gt_i16_sdwa s[42:43], v10, s85 src0_sel:BYTE_0 src1_sel:DWORD
	s_mov_b64 s[40:41], 0
	s_and_saveexec_b64 vcc, s[42:43]
	s_xor_b64 s[42:43], exec, vcc
	s_cbranch_execz .LBB2_5651
; %bb.5431:                             ;   in Loop: Header=BB2_4850 Depth=3
	v_cmp_eq_u16_sdwa s[38:39], v10, s87 src0_sel:BYTE_0 src1_sel:DWORD
	s_mov_b64 s[40:41], -1
	s_and_saveexec_b64 vcc, s[38:39]
; %bb.5432:                             ;   in Loop: Header=BB2_4850 Depth=3
	s_xor_b64 s[40:41], exec, -1
; %bb.5433:                             ;   in Loop: Header=BB2_4850 Depth=3
	s_or_b64 exec, exec, vcc
	s_and_b64 s[40:41], s[40:41], exec
	s_or_saveexec_b64 s[42:43], s[42:43]
	v_bfrev_b32_e32 v7, 1
	s_xor_b64 exec, exec, s[42:43]
	s_cbranch_execnz .LBB2_5652
.LBB2_5434:                             ;   in Loop: Header=BB2_4850 Depth=3
	s_or_b64 exec, exec, s[42:43]
	s_and_saveexec_b64 s[42:43], s[40:41]
	s_cbranch_execz .LBB2_5436
.LBB2_5435:                             ;   in Loop: Header=BB2_4850 Depth=3
	v_and_b32_e32 v7, 7, v10
	v_ffbh_u32_e32 v7, v7
	v_and_b32_e32 v9, 0x7f, v10
	v_min_u32_e32 v7, 32, v7
	v_bfe_u32 v22, v10, 3, 4
	v_subrev_u32_e32 v31, 28, v7
	v_sub_u32_e32 v7, 29, v7
	v_cmp_gt_u32_e32 vcc, 8, v9
	v_cndmask_b32_e32 v7, v22, v7, vcc
	v_cndmask_b32_e32 v22, 0, v31, vcc
	v_lshlrev_b64 v[34:35], v22, v[10:11]
	v_lshlrev_b32_e32 v31, 24, v10
	v_lshlrev_b32_e32 v22, 20, v34
	v_and_b32_e32 v22, 0x700000, v22
	v_and_b32_e32 v31, 0x80000000, v31
	v_lshl_add_u32 v7, v7, 23, v17
	v_or3_b32 v7, v31, v7, v22
	v_cmp_ne_u32_e32 vcc, s85, v9
	v_cndmask_b32_e32 v7, v4, v7, vcc
.LBB2_5436:                             ;   in Loop: Header=BB2_4850 Depth=3
	s_or_b64 exec, exec, s[42:43]
	v_add_f32_e32 v8, v8, v7
	v_and_b32_e32 v34, 0x7f800000, v8
	v_mov_b32_e32 v35, v29
	v_cmp_ne_u64_e32 vcc, s[76:77], v[34:35]
                                        ; implicit-def: $vgpr7
	s_and_saveexec_b64 s[40:41], vcc
	s_xor_b64 s[42:43], exec, s[40:41]
	s_cbranch_execz .LBB2_5450
; %bb.5437:                             ;   in Loop: Header=BB2_4850 Depth=3
	v_and_b32_e32 v34, 0x7fffffff, v8
	v_mov_b32_e32 v35, v29
	v_cmp_gt_u64_e32 vcc, s[78:79], v[34:35]
	v_and_b32_sdwa v22, v8, s87 dst_sel:DWORD dst_unused:UNUSED_PAD src0_sel:BYTE_3 src1_sel:DWORD
                                        ; implicit-def: $vgpr7
	s_and_saveexec_b64 s[40:41], vcc
	s_xor_b64 s[38:39], exec, s[40:41]
	s_cbranch_execz .LBB2_5447
; %bb.5438:                             ;   in Loop: Header=BB2_4850 Depth=3
	v_mov_b32_e32 v7, 0
	v_cmp_ne_u32_e32 vcc, 0, v8
	s_and_saveexec_b64 s[48:49], vcc
	s_cbranch_execz .LBB2_5446
; %bb.5439:                             ;   in Loop: Header=BB2_4850 Depth=3
	v_bfe_u32 v7, v8, 23, 8
	v_and_b32_e32 v9, 0x7fffff, v8
	v_cmp_gt_u32_e64 s[40:41], s96, v7
	v_sub_u32_e32 v8, 0x79, v7
	v_cmp_eq_u32_e32 vcc, 0, v7
	v_cndmask_b32_e64 v8, 0, v8, s[40:41]
	v_or_b32_e32 v34, 0x800000, v9
	v_cndmask_b32_e32 v31, v8, v36, vcc
	v_cndmask_b32_e32 v8, v34, v9, vcc
	v_add_u32_e32 v34, 20, v31
	v_lshlrev_b64 v[34:35], v34, -1
	v_mov_b32_e32 v9, v29
	v_add_u32_e32 v53, 19, v31
	v_bfi_b32 v34, v34, 0, v8
	v_lshlrev_b64 v[53:54], v53, 1
	v_lshrrev_b64 v[8:9], v31, v[8:9]
	v_bfi_b32 v35, v35, 0, 0
	v_cmp_eq_u64_e64 s[40:41], v[34:35], v[53:54]
	v_mov_b32_e32 v47, v9
	v_mov_b32_e32 v46, v8
	s_and_saveexec_b64 s[50:51], s[40:41]
; %bb.5440:                             ;   in Loop: Header=BB2_4850 Depth=3
	v_bfe_u32 v9, v8, 20, 1
	v_add_co_u32_e64 v9, s[40:41], v8, v9
	v_add_co_u32_e64 v46, s[40:41], -1, v9
; %bb.5441:                             ;   in Loop: Header=BB2_4850 Depth=3
	s_or_b64 exec, exec, s[50:51]
	v_add_u32_e32 v7, 0xffffff81, v7
	v_cndmask_b32_e32 v7, v7, v37, vcc
	v_lshrrev_b32_e32 v9, 23, v8
	v_add3_u32 v34, v31, v7, v9
	v_add_u32_e32 v31, 6, v34
	v_and_b32_e32 v7, 0xfffff, v46
	v_add_u32_e32 v8, v7, v8
	v_mov_b32_e32 v9, v29
	v_cmp_ne_u32_e32 vcc, 0, v31
                                        ; implicit-def: $vgpr7
	s_and_saveexec_b64 s[40:41], vcc
	s_xor_b64 s[40:41], exec, s[40:41]
; %bb.5442:                             ;   in Loop: Header=BB2_4850 Depth=3
	v_cmp_lt_u64_e32 vcc, s[88:89], v[8:9]
	v_add_u32_e32 v7, 7, v34
	v_cndmask_b32_e32 v7, v31, v7, vcc
	v_cndmask_b32_e64 v31, 0, 1, vcc
	v_lshrrev_b64 v[8:9], v31, v[8:9]
; %bb.5443:                             ;   in Loop: Header=BB2_4850 Depth=3
	s_andn2_saveexec_b64 s[40:41], s[40:41]
; %bb.5444:                             ;   in Loop: Header=BB2_4850 Depth=3
	v_bfe_u32 v7, v8, 23, 1
; %bb.5445:                             ;   in Loop: Header=BB2_4850 Depth=3
	s_or_b64 exec, exec, s[40:41]
	v_lshrrev_b64 v[8:9], 20, v[8:9]
	v_cmp_gt_i32_e32 vcc, 16, v7
	v_cndmask_b32_e32 v9, 0, v9, vcc
	v_cndmask_b32_e32 v8, 7, v8, vcc
	v_cmp_eq_u32_e32 vcc, 0, v7
	v_min_i32_e32 v7, 15, v7
	v_cmp_eq_u64_e64 s[40:41], 0, v[8:9]
	v_lshlrev_b32_e32 v7, 3, v7
	v_and_b32_e32 v7, 0xf8, v7
	v_and_or_b32 v7, v8, 7, v7
	s_and_b64 s[40:41], vcc, s[40:41]
	v_cndmask_b32_e64 v7, v7, 0, s[40:41]
	v_or_b32_e32 v7, v7, v22
.LBB2_5446:                             ;   in Loop: Header=BB2_4850 Depth=3
	s_or_b64 exec, exec, s[48:49]
                                        ; implicit-def: $vgpr22
.LBB2_5447:                             ;   in Loop: Header=BB2_4850 Depth=3
	s_andn2_saveexec_b64 s[40:41], s[38:39]
; %bb.5448:                             ;   in Loop: Header=BB2_4850 Depth=3
	v_or_b32_e32 v7, 0x7e, v22
; %bb.5449:                             ;   in Loop: Header=BB2_4850 Depth=3
	s_or_b64 exec, exec, s[40:41]
                                        ; implicit-def: $vgpr8
.LBB2_5450:                             ;   in Loop: Header=BB2_4850 Depth=3
	s_andn2_saveexec_b64 s[40:41], s[42:43]
; %bb.5451:                             ;   in Loop: Header=BB2_4850 Depth=3
	v_or_b32_sdwa v7, v8, s85 dst_sel:DWORD dst_unused:UNUSED_PAD src0_sel:BYTE_3 src1_sel:DWORD
; %bb.5452:                             ;   in Loop: Header=BB2_4850 Depth=3
	s_or_b64 exec, exec, s[40:41]
	v_lshrrev_b16_e32 v8, 8, v24
	v_cmp_ne_u16_e32 vcc, 0, v8
	v_mov_b32_e32 v22, 0
	s_and_saveexec_b64 s[40:41], vcc
	s_cbranch_execz .LBB2_5458
; %bb.5453:                             ;   in Loop: Header=BB2_4850 Depth=3
	v_cmp_ne_u16_e32 vcc, s87, v8
	v_bfrev_b32_e32 v22, 1
	s_and_saveexec_b64 s[42:43], vcc
	s_cbranch_execz .LBB2_5457
; %bb.5454:                             ;   in Loop: Header=BB2_4850 Depth=3
	v_and_b32_e32 v9, 0x7f, v8
	v_cmp_ne_u32_e32 vcc, s85, v9
	v_mov_b32_e32 v22, 0x7f800001
	s_and_saveexec_b64 s[38:39], vcc
	s_cbranch_execz .LBB2_5456
; %bb.5455:                             ;   in Loop: Header=BB2_4850 Depth=3
	v_and_b32_e32 v22, 7, v8
	v_lshrrev_b32_e32 v31, 3, v9
	v_cmp_gt_u32_e32 vcc, 8, v9
	v_ffbh_u32_e32 v9, v22
	v_min_u32_e32 v34, 32, v9
	v_subrev_u32_e32 v9, 28, v34
	v_lshlrev_b64 v[8:9], v9, v[8:9]
	v_sub_u32_e32 v9, 29, v34
	v_and_b32_e32 v8, 7, v8
	v_cndmask_b32_e32 v9, v31, v9, vcc
	v_cndmask_b32_e32 v8, v22, v8, vcc
	v_lshlrev_b32_e32 v22, 16, v24
	v_lshlrev_b32_e32 v8, 20, v8
	v_and_b32_e32 v22, 0x80000000, v22
	v_lshl_add_u32 v9, v9, 23, v17
	v_or3_b32 v22, v22, v9, v8
.LBB2_5456:                             ;   in Loop: Header=BB2_4850 Depth=3
	s_or_b64 exec, exec, s[38:39]
.LBB2_5457:                             ;   in Loop: Header=BB2_4850 Depth=3
	s_or_b64 exec, exec, s[42:43]
.LBB2_5458:                             ;   in Loop: Header=BB2_4850 Depth=3
	s_or_b64 exec, exec, s[40:41]
	v_lshrrev_b16_e32 v8, 8, v10
	v_cmp_lt_i16_e32 vcc, s85, v8
	s_mov_b64 s[40:41], 0
	s_and_saveexec_b64 s[42:43], vcc
	s_xor_b64 s[42:43], exec, s[42:43]
	s_cbranch_execz .LBB2_5653
; %bb.5459:                             ;   in Loop: Header=BB2_4850 Depth=3
	v_cmp_eq_u16_e32 vcc, s87, v8
	s_mov_b64 s[40:41], -1
	s_and_saveexec_b64 s[38:39], vcc
; %bb.5460:                             ;   in Loop: Header=BB2_4850 Depth=3
	s_xor_b64 s[40:41], exec, -1
; %bb.5461:                             ;   in Loop: Header=BB2_4850 Depth=3
	s_or_b64 exec, exec, s[38:39]
	s_and_b64 s[40:41], s[40:41], exec
	s_or_saveexec_b64 s[42:43], s[42:43]
	v_bfrev_b32_e32 v9, 1
	s_xor_b64 exec, exec, s[42:43]
	s_cbranch_execnz .LBB2_5654
.LBB2_5462:                             ;   in Loop: Header=BB2_4850 Depth=3
	s_or_b64 exec, exec, s[42:43]
	s_and_saveexec_b64 s[42:43], s[40:41]
	s_cbranch_execz .LBB2_5464
.LBB2_5463:                             ;   in Loop: Header=BB2_4850 Depth=3
	v_and_b32_e32 v24, 7, v8
	v_ffbh_u32_e32 v34, v24
	v_min_u32_e32 v54, 32, v34
	v_mov_b32_e32 v9, v29
	v_subrev_u32_e32 v34, 28, v54
	v_lshlrev_b64 v[34:35], v34, v[8:9]
	v_and_b32_e32 v31, 0x7f, v8
	v_bfe_u32 v53, v8, 3, 4
	v_sub_u32_e32 v9, 29, v54
	v_and_b32_e32 v34, 7, v34
	v_cmp_gt_u32_e32 vcc, 8, v31
	v_cndmask_b32_e32 v9, v53, v9, vcc
	v_cndmask_b32_e32 v24, v24, v34, vcc
	v_lshlrev_b32_e32 v8, 24, v8
	v_lshlrev_b32_e32 v24, 20, v24
	v_and_b32_e32 v8, 0x80000000, v8
	v_lshl_add_u32 v9, v9, 23, v17
	v_or3_b32 v8, v8, v9, v24
	v_cmp_ne_u32_e32 vcc, s85, v31
	v_cndmask_b32_e32 v9, v4, v8, vcc
.LBB2_5464:                             ;   in Loop: Header=BB2_4850 Depth=3
	s_or_b64 exec, exec, s[42:43]
	v_add_f32_e32 v8, v22, v9
	v_and_b32_e32 v34, 0x7f800000, v8
	v_mov_b32_e32 v35, v29
	v_cmp_ne_u64_e32 vcc, s[76:77], v[34:35]
                                        ; implicit-def: $vgpr22
	s_and_saveexec_b64 s[40:41], vcc
	s_xor_b64 s[42:43], exec, s[40:41]
	s_cbranch_execz .LBB2_5478
; %bb.5465:                             ;   in Loop: Header=BB2_4850 Depth=3
	v_and_b32_e32 v34, 0x7fffffff, v8
	v_mov_b32_e32 v35, v29
	v_cmp_gt_u64_e32 vcc, s[78:79], v[34:35]
	v_and_b32_sdwa v24, v8, s87 dst_sel:DWORD dst_unused:UNUSED_PAD src0_sel:BYTE_3 src1_sel:DWORD
                                        ; implicit-def: $vgpr22
	s_and_saveexec_b64 s[40:41], vcc
	s_xor_b64 s[38:39], exec, s[40:41]
	s_cbranch_execz .LBB2_5475
; %bb.5466:                             ;   in Loop: Header=BB2_4850 Depth=3
	v_mov_b32_e32 v22, 0
	v_cmp_ne_u32_e32 vcc, 0, v8
	s_and_saveexec_b64 s[48:49], vcc
	s_cbranch_execz .LBB2_5474
; %bb.5467:                             ;   in Loop: Header=BB2_4850 Depth=3
	v_bfe_u32 v22, v8, 23, 8
	v_and_b32_e32 v9, 0x7fffff, v8
	v_cmp_gt_u32_e64 s[40:41], s96, v22
	v_sub_u32_e32 v8, 0x79, v22
	v_cmp_eq_u32_e32 vcc, 0, v22
	v_cndmask_b32_e64 v8, 0, v8, s[40:41]
	v_or_b32_e32 v34, 0x800000, v9
	v_cndmask_b32_e32 v31, v8, v36, vcc
	v_cndmask_b32_e32 v8, v34, v9, vcc
	v_add_u32_e32 v34, 20, v31
	v_lshlrev_b64 v[34:35], v34, -1
	v_mov_b32_e32 v9, v29
	v_add_u32_e32 v53, 19, v31
	v_bfi_b32 v34, v34, 0, v8
	v_lshlrev_b64 v[53:54], v53, 1
	v_lshrrev_b64 v[8:9], v31, v[8:9]
	v_bfi_b32 v35, v35, 0, 0
	v_cmp_eq_u64_e64 s[40:41], v[34:35], v[53:54]
	v_mov_b32_e32 v47, v9
	v_mov_b32_e32 v46, v8
	s_and_saveexec_b64 s[50:51], s[40:41]
; %bb.5468:                             ;   in Loop: Header=BB2_4850 Depth=3
	v_bfe_u32 v9, v8, 20, 1
	v_add_co_u32_e64 v9, s[40:41], v8, v9
	v_add_co_u32_e64 v46, s[40:41], -1, v9
; %bb.5469:                             ;   in Loop: Header=BB2_4850 Depth=3
	s_or_b64 exec, exec, s[50:51]
	v_add_u32_e32 v9, 0xffffff81, v22
	v_cndmask_b32_e32 v9, v9, v37, vcc
	v_lshrrev_b32_e32 v22, 23, v8
	v_add3_u32 v34, v31, v9, v22
	v_add_u32_e32 v31, 6, v34
	v_and_b32_e32 v9, 0xfffff, v46
	v_add_u32_e32 v8, v9, v8
	v_mov_b32_e32 v9, v29
	v_cmp_ne_u32_e32 vcc, 0, v31
                                        ; implicit-def: $vgpr22
	s_and_saveexec_b64 s[40:41], vcc
	s_xor_b64 s[40:41], exec, s[40:41]
; %bb.5470:                             ;   in Loop: Header=BB2_4850 Depth=3
	v_cmp_lt_u64_e32 vcc, s[88:89], v[8:9]
	v_add_u32_e32 v22, 7, v34
	v_cndmask_b32_e32 v22, v31, v22, vcc
	v_cndmask_b32_e64 v31, 0, 1, vcc
	v_lshrrev_b64 v[8:9], v31, v[8:9]
; %bb.5471:                             ;   in Loop: Header=BB2_4850 Depth=3
	s_andn2_saveexec_b64 s[40:41], s[40:41]
; %bb.5472:                             ;   in Loop: Header=BB2_4850 Depth=3
	v_bfe_u32 v22, v8, 23, 1
; %bb.5473:                             ;   in Loop: Header=BB2_4850 Depth=3
	s_or_b64 exec, exec, s[40:41]
	v_lshrrev_b64 v[8:9], 20, v[8:9]
	v_cmp_gt_i32_e32 vcc, 16, v22
	v_cndmask_b32_e32 v9, 0, v9, vcc
	v_cndmask_b32_e32 v8, 7, v8, vcc
	v_cmp_eq_u64_e64 s[40:41], 0, v[8:9]
	v_min_i32_e32 v9, 15, v22
	v_lshlrev_b32_e32 v9, 3, v9
	v_cmp_eq_u32_e32 vcc, 0, v22
	v_and_b32_e32 v9, 0xf8, v9
	v_and_or_b32 v8, v8, 7, v9
	s_and_b64 s[40:41], vcc, s[40:41]
	v_cndmask_b32_e64 v8, v8, 0, s[40:41]
	v_or_b32_e32 v22, v8, v24
.LBB2_5474:                             ;   in Loop: Header=BB2_4850 Depth=3
	s_or_b64 exec, exec, s[48:49]
                                        ; implicit-def: $vgpr24
.LBB2_5475:                             ;   in Loop: Header=BB2_4850 Depth=3
	s_andn2_saveexec_b64 s[40:41], s[38:39]
; %bb.5476:                             ;   in Loop: Header=BB2_4850 Depth=3
	v_or_b32_e32 v22, 0x7e, v24
; %bb.5477:                             ;   in Loop: Header=BB2_4850 Depth=3
	s_or_b64 exec, exec, s[40:41]
                                        ; implicit-def: $vgpr8
.LBB2_5478:                             ;   in Loop: Header=BB2_4850 Depth=3
	s_andn2_saveexec_b64 s[40:41], s[42:43]
; %bb.5479:                             ;   in Loop: Header=BB2_4850 Depth=3
	v_or_b32_sdwa v22, v8, s85 dst_sel:DWORD dst_unused:UNUSED_PAD src0_sel:BYTE_3 src1_sel:DWORD
; %bb.5480:                             ;   in Loop: Header=BB2_4850 Depth=3
	s_or_b64 exec, exec, s[40:41]
	v_lshrrev_b32_e32 v8, 16, v28
	v_cmp_ne_u16_sdwa s[42:43], v8, v29 src0_sel:BYTE_0 src1_sel:DWORD
	v_mov_b32_e32 v9, 0
	s_and_saveexec_b64 s[40:41], s[42:43]
	s_cbranch_execz .LBB2_5486
; %bb.5481:                             ;   in Loop: Header=BB2_4850 Depth=3
	v_cmp_ne_u16_sdwa vcc, v8, s87 src0_sel:BYTE_0 src1_sel:DWORD
	v_bfrev_b32_e32 v9, 1
	s_and_saveexec_b64 s[42:43], vcc
	s_cbranch_execz .LBB2_5485
; %bb.5482:                             ;   in Loop: Header=BB2_4850 Depth=3
	v_bfe_u32 v24, v28, 16, 7
	v_cmp_ne_u32_e32 vcc, s85, v24
	v_mov_b32_e32 v9, 0x7f800001
	s_and_saveexec_b64 s[38:39], vcc
	s_cbranch_execz .LBB2_5484
; %bb.5483:                             ;   in Loop: Header=BB2_4850 Depth=3
	v_and_b32_e32 v9, 7, v8
	v_lshrrev_b32_e32 v31, 3, v24
	v_cmp_gt_u32_e32 vcc, 8, v24
	v_ffbh_u32_e32 v24, v9
	v_min_u32_e32 v24, 32, v24
	v_subrev_u32_e32 v34, 28, v24
	v_lshlrev_b64 v[34:35], v34, v[8:9]
	v_sub_u32_e32 v24, 29, v24
	v_and_b32_e32 v34, 7, v34
	v_cndmask_b32_e32 v24, v31, v24, vcc
	v_cndmask_b32_e32 v9, v9, v34, vcc
	v_lshlrev_b32_e32 v8, 24, v8
	v_lshlrev_b32_e32 v9, 20, v9
	v_and_b32_e32 v8, 0x80000000, v8
	v_lshl_add_u32 v24, v24, 23, v17
	v_or3_b32 v9, v8, v24, v9
.LBB2_5484:                             ;   in Loop: Header=BB2_4850 Depth=3
	s_or_b64 exec, exec, s[38:39]
.LBB2_5485:                             ;   in Loop: Header=BB2_4850 Depth=3
	s_or_b64 exec, exec, s[42:43]
.LBB2_5486:                             ;   in Loop: Header=BB2_4850 Depth=3
	s_or_b64 exec, exec, s[40:41]
	v_lshrrev_b32_e32 v8, 16, v10
	v_cmp_gt_i16_sdwa s[42:43], v8, s85 src0_sel:BYTE_0 src1_sel:DWORD
	s_mov_b64 s[40:41], 0
	s_and_saveexec_b64 vcc, s[42:43]
	s_xor_b64 s[42:43], exec, vcc
	s_cbranch_execz .LBB2_5655
; %bb.5487:                             ;   in Loop: Header=BB2_4850 Depth=3
	v_cmp_eq_u16_sdwa s[38:39], v8, s87 src0_sel:BYTE_0 src1_sel:DWORD
	s_mov_b64 s[40:41], -1
	s_and_saveexec_b64 vcc, s[38:39]
; %bb.5488:                             ;   in Loop: Header=BB2_4850 Depth=3
	s_xor_b64 s[40:41], exec, -1
; %bb.5489:                             ;   in Loop: Header=BB2_4850 Depth=3
	s_or_b64 exec, exec, vcc
	s_and_b64 s[40:41], s[40:41], exec
	s_or_saveexec_b64 s[42:43], s[42:43]
	v_bfrev_b32_e32 v24, 1
	s_xor_b64 exec, exec, s[42:43]
	s_cbranch_execnz .LBB2_5656
.LBB2_5490:                             ;   in Loop: Header=BB2_4850 Depth=3
	s_or_b64 exec, exec, s[42:43]
	s_and_saveexec_b64 s[42:43], s[40:41]
	s_cbranch_execz .LBB2_5492
.LBB2_5491:                             ;   in Loop: Header=BB2_4850 Depth=3
	v_and_b32_e32 v24, 7, v8
	v_ffbh_u32_e32 v34, v24
	v_min_u32_e32 v54, 32, v34
	v_subrev_u32_e32 v34, 28, v54
	v_lshlrev_b64 v[34:35], v34, v[8:9]
	v_and_b32_e32 v31, 0x7f, v8
	v_bfe_u32 v53, v8, 3, 4
	v_sub_u32_e32 v35, 29, v54
	v_and_b32_e32 v34, 7, v34
	v_cmp_gt_u32_e32 vcc, 8, v31
	v_cndmask_b32_e32 v35, v53, v35, vcc
	v_cndmask_b32_e32 v24, v24, v34, vcc
	v_lshlrev_b32_e32 v8, 24, v8
	v_lshlrev_b32_e32 v24, 20, v24
	v_and_b32_e32 v8, 0x80000000, v8
	v_lshl_add_u32 v34, v35, 23, v17
	v_or3_b32 v8, v8, v34, v24
	v_cmp_ne_u32_e32 vcc, s85, v31
	v_cndmask_b32_e32 v24, v4, v8, vcc
.LBB2_5492:                             ;   in Loop: Header=BB2_4850 Depth=3
	s_or_b64 exec, exec, s[42:43]
	v_add_f32_e32 v8, v9, v24
	v_and_b32_e32 v34, 0x7f800000, v8
	v_mov_b32_e32 v35, v29
	v_cmp_ne_u64_e32 vcc, s[76:77], v[34:35]
                                        ; implicit-def: $vgpr24
	s_and_saveexec_b64 s[40:41], vcc
	s_xor_b64 s[42:43], exec, s[40:41]
	s_cbranch_execz .LBB2_5506
; %bb.5493:                             ;   in Loop: Header=BB2_4850 Depth=3
	v_and_b32_e32 v34, 0x7fffffff, v8
	v_mov_b32_e32 v35, v29
	v_cmp_gt_u64_e32 vcc, s[78:79], v[34:35]
	v_and_b32_sdwa v31, v8, s87 dst_sel:DWORD dst_unused:UNUSED_PAD src0_sel:BYTE_3 src1_sel:DWORD
                                        ; implicit-def: $vgpr24
	s_and_saveexec_b64 s[40:41], vcc
	s_xor_b64 s[38:39], exec, s[40:41]
	s_cbranch_execz .LBB2_5503
; %bb.5494:                             ;   in Loop: Header=BB2_4850 Depth=3
	v_mov_b32_e32 v24, 0
	v_cmp_ne_u32_e32 vcc, 0, v8
	s_and_saveexec_b64 s[48:49], vcc
	s_cbranch_execz .LBB2_5502
; %bb.5495:                             ;   in Loop: Header=BB2_4850 Depth=3
	v_bfe_u32 v24, v8, 23, 8
	v_and_b32_e32 v9, 0x7fffff, v8
	v_cmp_gt_u32_e64 s[40:41], s96, v24
	v_sub_u32_e32 v8, 0x79, v24
	v_cmp_eq_u32_e32 vcc, 0, v24
	v_cndmask_b32_e64 v8, 0, v8, s[40:41]
	v_or_b32_e32 v35, 0x800000, v9
	v_cndmask_b32_e32 v34, v8, v36, vcc
	v_cndmask_b32_e32 v8, v35, v9, vcc
	v_add_u32_e32 v35, 20, v34
	v_lshlrev_b64 v[53:54], v35, -1
	v_mov_b32_e32 v9, v29
	v_add_u32_e32 v35, 19, v34
	v_bfi_b32 v53, v53, 0, v8
	v_lshlrev_b64 v[46:47], v35, 1
	v_lshrrev_b64 v[8:9], v34, v[8:9]
	v_bfi_b32 v54, v54, 0, 0
	v_cmp_eq_u64_e64 s[40:41], v[53:54], v[46:47]
	v_mov_b32_e32 v47, v9
	v_mov_b32_e32 v46, v8
	s_and_saveexec_b64 s[50:51], s[40:41]
; %bb.5496:                             ;   in Loop: Header=BB2_4850 Depth=3
	v_bfe_u32 v9, v8, 20, 1
	v_add_co_u32_e64 v9, s[40:41], v8, v9
	v_add_co_u32_e64 v46, s[40:41], -1, v9
; %bb.5497:                             ;   in Loop: Header=BB2_4850 Depth=3
	s_or_b64 exec, exec, s[50:51]
	v_add_u32_e32 v9, 0xffffff81, v24
	v_cndmask_b32_e32 v9, v9, v37, vcc
	v_lshrrev_b32_e32 v24, 23, v8
	v_add3_u32 v35, v34, v9, v24
	v_add_u32_e32 v34, 6, v35
	v_and_b32_e32 v9, 0xfffff, v46
	v_add_u32_e32 v8, v9, v8
	v_mov_b32_e32 v9, v29
	v_cmp_ne_u32_e32 vcc, 0, v34
                                        ; implicit-def: $vgpr24
	s_and_saveexec_b64 s[40:41], vcc
	s_xor_b64 s[40:41], exec, s[40:41]
; %bb.5498:                             ;   in Loop: Header=BB2_4850 Depth=3
	v_cmp_lt_u64_e32 vcc, s[88:89], v[8:9]
	v_add_u32_e32 v24, 7, v35
	v_cndmask_b32_e32 v24, v34, v24, vcc
	v_cndmask_b32_e64 v34, 0, 1, vcc
	v_lshrrev_b64 v[8:9], v34, v[8:9]
; %bb.5499:                             ;   in Loop: Header=BB2_4850 Depth=3
	s_andn2_saveexec_b64 s[40:41], s[40:41]
; %bb.5500:                             ;   in Loop: Header=BB2_4850 Depth=3
	v_bfe_u32 v24, v8, 23, 1
; %bb.5501:                             ;   in Loop: Header=BB2_4850 Depth=3
	s_or_b64 exec, exec, s[40:41]
	v_lshrrev_b64 v[8:9], 20, v[8:9]
	v_cmp_gt_i32_e32 vcc, 16, v24
	v_cndmask_b32_e32 v9, 0, v9, vcc
	v_cndmask_b32_e32 v8, 7, v8, vcc
	v_cmp_eq_u64_e64 s[40:41], 0, v[8:9]
	v_min_i32_e32 v9, 15, v24
	v_lshlrev_b32_e32 v9, 3, v9
	v_cmp_eq_u32_e32 vcc, 0, v24
	v_and_b32_e32 v9, 0xf8, v9
	v_and_or_b32 v8, v8, 7, v9
	s_and_b64 s[40:41], vcc, s[40:41]
	v_cndmask_b32_e64 v8, v8, 0, s[40:41]
	v_or_b32_e32 v24, v8, v31
.LBB2_5502:                             ;   in Loop: Header=BB2_4850 Depth=3
	s_or_b64 exec, exec, s[48:49]
                                        ; implicit-def: $vgpr31
.LBB2_5503:                             ;   in Loop: Header=BB2_4850 Depth=3
	s_andn2_saveexec_b64 s[40:41], s[38:39]
; %bb.5504:                             ;   in Loop: Header=BB2_4850 Depth=3
	v_or_b32_e32 v24, 0x7e, v31
; %bb.5505:                             ;   in Loop: Header=BB2_4850 Depth=3
	s_or_b64 exec, exec, s[40:41]
                                        ; implicit-def: $vgpr8
.LBB2_5506:                             ;   in Loop: Header=BB2_4850 Depth=3
	s_andn2_saveexec_b64 s[40:41], s[42:43]
; %bb.5507:                             ;   in Loop: Header=BB2_4850 Depth=3
	v_or_b32_sdwa v24, v8, s85 dst_sel:DWORD dst_unused:UNUSED_PAD src0_sel:BYTE_3 src1_sel:DWORD
; %bb.5508:                             ;   in Loop: Header=BB2_4850 Depth=3
	s_or_b64 exec, exec, s[40:41]
	v_cmp_lt_u32_e32 vcc, s57, v28
	v_mov_b32_e32 v9, 0
	s_and_saveexec_b64 s[40:41], vcc
	s_cbranch_execz .LBB2_5514
; %bb.5509:                             ;   in Loop: Header=BB2_4850 Depth=3
	v_lshrrev_b32_e32 v8, 24, v28
	v_cmp_ne_u32_sdwa vcc, v28, s87 src0_sel:BYTE_3 src1_sel:DWORD
	v_bfrev_b32_e32 v9, 1
	s_and_saveexec_b64 s[42:43], vcc
	s_cbranch_execz .LBB2_5513
; %bb.5510:                             ;   in Loop: Header=BB2_4850 Depth=3
	v_bfe_u32 v31, v28, 24, 7
	v_cmp_ne_u32_e32 vcc, s85, v31
	v_mov_b32_e32 v9, 0x7f800001
	s_and_saveexec_b64 s[38:39], vcc
	s_cbranch_execz .LBB2_5512
; %bb.5511:                             ;   in Loop: Header=BB2_4850 Depth=3
	v_and_b32_e32 v34, 7, v8
	v_ffbh_u32_e32 v9, v34
	v_lshrrev_b32_e32 v35, 3, v31
	v_cmp_gt_u32_e32 vcc, 8, v31
	v_min_u32_e32 v31, 32, v9
	v_subrev_u32_e32 v9, 28, v31
	v_lshlrev_b64 v[8:9], v9, v[8:9]
	v_sub_u32_e32 v9, 29, v31
	v_and_b32_e32 v8, 7, v8
	v_mov_b32_e32 v31, 24
	v_cndmask_b32_e32 v9, v35, v9, vcc
	v_cndmask_b32_e32 v8, v34, v8, vcc
	v_lshlrev_b32_sdwa v28, v31, v28 dst_sel:DWORD dst_unused:UNUSED_PAD src0_sel:DWORD src1_sel:BYTE_3
	v_lshlrev_b32_e32 v8, 20, v8
	v_and_b32_e32 v28, 0x80000000, v28
	v_lshl_add_u32 v9, v9, 23, v17
	v_or3_b32 v9, v28, v9, v8
.LBB2_5512:                             ;   in Loop: Header=BB2_4850 Depth=3
	s_or_b64 exec, exec, s[38:39]
.LBB2_5513:                             ;   in Loop: Header=BB2_4850 Depth=3
	s_or_b64 exec, exec, s[42:43]
.LBB2_5514:                             ;   in Loop: Header=BB2_4850 Depth=3
	s_or_b64 exec, exec, s[40:41]
	v_bfe_u32 v28, v10, 24, 3
	v_ffbh_u32_e32 v34, v28
	v_min_u32_e32 v54, 32, v34
	v_lshrrev_b32_e32 v8, 24, v10
	v_subrev_u32_e32 v34, 28, v54
	v_lshlrev_b64 v[34:35], v34, v[8:9]
	v_bfe_u32 v31, v10, 24, 7
	v_bfe_u32 v53, v8, 3, 4
	v_sub_u32_e32 v35, 29, v54
	v_and_b32_e32 v34, 7, v34
	v_cmp_gt_u32_e32 vcc, 8, v31
	v_cndmask_b32_e32 v35, v53, v35, vcc
	v_cndmask_b32_e32 v28, v28, v34, vcc
	v_lshlrev_b32_e32 v28, 20, v28
	v_and_b32_e32 v34, 0x80000000, v10
	v_lshl_add_u32 v35, v35, 23, v17
	v_or3_b32 v28, v34, v35, v28
	v_cmp_ne_u32_e32 vcc, s85, v31
	v_cndmask_b32_e32 v28, v4, v28, vcc
	v_cmp_ne_u32_e32 vcc, s87, v8
	v_bfrev_b32_e32 v8, 1
	v_cndmask_b32_e32 v8, v8, v28, vcc
	v_cmp_lt_u32_e32 vcc, s57, v10
	v_cndmask_b32_e32 v8, 0, v8, vcc
	v_add_f32_e32 v8, v8, v9
	v_and_b32_e32 v28, 0x7f800000, v8
	v_cmp_ne_u64_e32 vcc, s[76:77], v[28:29]
                                        ; implicit-def: $vgpr31
	s_and_saveexec_b64 s[40:41], vcc
	s_xor_b64 s[42:43], exec, s[40:41]
	s_cbranch_execz .LBB2_5528
; %bb.5515:                             ;   in Loop: Header=BB2_4850 Depth=3
	v_and_b32_e32 v28, 0x7fffffff, v8
	v_cmp_gt_u64_e32 vcc, s[78:79], v[28:29]
	v_and_b32_sdwa v34, v8, s87 dst_sel:DWORD dst_unused:UNUSED_PAD src0_sel:BYTE_3 src1_sel:DWORD
                                        ; implicit-def: $vgpr31
	s_and_saveexec_b64 s[40:41], vcc
	s_xor_b64 s[38:39], exec, s[40:41]
	s_cbranch_execz .LBB2_5525
; %bb.5516:                             ;   in Loop: Header=BB2_4850 Depth=3
	v_mov_b32_e32 v31, 0
	v_cmp_ne_u32_e32 vcc, 0, v8
	s_and_saveexec_b64 s[48:49], vcc
	s_cbranch_execz .LBB2_5524
; %bb.5517:                             ;   in Loop: Header=BB2_4850 Depth=3
	v_bfe_u32 v31, v8, 23, 8
	v_and_b32_e32 v9, 0x7fffff, v8
	v_cmp_gt_u32_e64 s[40:41], s96, v31
	v_sub_u32_e32 v8, 0x79, v31
	v_cmp_eq_u32_e32 vcc, 0, v31
	v_cndmask_b32_e64 v8, 0, v8, s[40:41]
	v_cndmask_b32_e32 v35, v8, v36, vcc
	v_or_b32_e32 v28, 0x800000, v9
	v_add_u32_e32 v8, 20, v35
	v_cndmask_b32_e32 v28, v28, v9, vcc
	v_lshlrev_b64 v[8:9], v8, -1
	v_add_u32_e32 v53, 19, v35
	v_lshlrev_b64 v[53:54], v53, 1
	v_bfi_b32 v9, v9, 0, 0
	v_bfi_b32 v8, v8, 0, v28
	v_cmp_eq_u64_e64 s[40:41], v[8:9], v[53:54]
	v_lshrrev_b64 v[8:9], v35, v[28:29]
	v_mov_b32_e32 v47, v9
	v_mov_b32_e32 v46, v8
	s_and_saveexec_b64 s[50:51], s[40:41]
; %bb.5518:                             ;   in Loop: Header=BB2_4850 Depth=3
	v_bfe_u32 v9, v8, 20, 1
	v_add_co_u32_e64 v9, s[40:41], v8, v9
	v_add_co_u32_e64 v46, s[40:41], -1, v9
; %bb.5519:                             ;   in Loop: Header=BB2_4850 Depth=3
	s_or_b64 exec, exec, s[50:51]
	v_add_u32_e32 v9, 0xffffff81, v31
	v_cndmask_b32_e32 v9, v9, v37, vcc
	v_lshrrev_b32_e32 v28, 23, v8
	v_add3_u32 v55, v35, v9, v28
	v_add_u32_e32 v35, 6, v55
	v_and_b32_e32 v9, 0xfffff, v46
	v_add_u32_e32 v28, v9, v8
	v_cmp_ne_u32_e32 vcc, 0, v35
                                        ; implicit-def: $vgpr8_vgpr9
                                        ; implicit-def: $vgpr31
	s_and_saveexec_b64 s[40:41], vcc
	s_xor_b64 s[40:41], exec, s[40:41]
; %bb.5520:                             ;   in Loop: Header=BB2_4850 Depth=3
	v_cmp_lt_u64_e32 vcc, s[88:89], v[28:29]
	v_add_u32_e32 v8, 7, v55
	v_cndmask_b32_e32 v31, v35, v8, vcc
	v_cndmask_b32_e64 v8, 0, 1, vcc
	v_lshrrev_b64 v[8:9], v8, v[28:29]
; %bb.5521:                             ;   in Loop: Header=BB2_4850 Depth=3
	s_andn2_saveexec_b64 s[40:41], s[40:41]
; %bb.5522:                             ;   in Loop: Header=BB2_4850 Depth=3
	v_mov_b32_e32 v8, v28
	v_mov_b32_e32 v9, v29
	v_bfe_u32 v31, v28, 23, 1
; %bb.5523:                             ;   in Loop: Header=BB2_4850 Depth=3
	s_or_b64 exec, exec, s[40:41]
	v_lshrrev_b64 v[8:9], 20, v[8:9]
	v_cmp_gt_i32_e32 vcc, 16, v31
	v_cndmask_b32_e32 v9, 0, v9, vcc
	v_cndmask_b32_e32 v8, 7, v8, vcc
	v_cmp_eq_u64_e64 s[40:41], 0, v[8:9]
	v_min_i32_e32 v9, 15, v31
	v_lshlrev_b32_e32 v9, 3, v9
	v_cmp_eq_u32_e32 vcc, 0, v31
	v_and_b32_e32 v9, 0xf8, v9
	v_and_or_b32 v8, v8, 7, v9
	s_and_b64 s[40:41], vcc, s[40:41]
	v_cndmask_b32_e64 v8, v8, 0, s[40:41]
	v_or_b32_e32 v31, v8, v34
.LBB2_5524:                             ;   in Loop: Header=BB2_4850 Depth=3
	s_or_b64 exec, exec, s[48:49]
                                        ; implicit-def: $vgpr34
.LBB2_5525:                             ;   in Loop: Header=BB2_4850 Depth=3
	s_andn2_saveexec_b64 s[40:41], s[38:39]
; %bb.5526:                             ;   in Loop: Header=BB2_4850 Depth=3
	v_or_b32_e32 v31, 0x7e, v34
; %bb.5527:                             ;   in Loop: Header=BB2_4850 Depth=3
	s_or_b64 exec, exec, s[40:41]
                                        ; implicit-def: $vgpr8
.LBB2_5528:                             ;   in Loop: Header=BB2_4850 Depth=3
	s_andn2_saveexec_b64 s[40:41], s[42:43]
; %bb.5529:                             ;   in Loop: Header=BB2_4850 Depth=3
	v_or_b32_sdwa v31, v8, s85 dst_sel:DWORD dst_unused:UNUSED_PAD src0_sel:BYTE_3 src1_sel:DWORD
; %bb.5530:                             ;   in Loop: Header=BB2_4850 Depth=3
	s_or_b64 exec, exec, s[40:41]
	v_lshlrev_b32_e32 v3, 24, v3
	v_lshlrev_b32_e32 v8, 16, v5
	v_lshl_or_b32 v5, v16, 8, v18
	v_or3_b32 v28, v8, v3, v5
	v_cmp_ne_u32_e32 vcc, 0, v18
	v_mov_b32_e32 v3, 0
	s_and_saveexec_b64 s[40:41], vcc
	s_cbranch_execz .LBB2_5536
; %bb.5531:                             ;   in Loop: Header=BB2_4850 Depth=3
	v_cmp_ne_u32_e32 vcc, s87, v18
	v_bfrev_b32_e32 v3, 1
	s_and_saveexec_b64 s[42:43], vcc
	s_cbranch_execz .LBB2_5535
; %bb.5532:                             ;   in Loop: Header=BB2_4850 Depth=3
	v_and_b32_e32 v8, 0x7f, v18
	v_cmp_ne_u32_e32 vcc, s85, v8
	v_mov_b32_e32 v3, 0x7f800001
	s_and_saveexec_b64 s[38:39], vcc
	s_cbranch_execz .LBB2_5534
; %bb.5533:                             ;   in Loop: Header=BB2_4850 Depth=3
	v_and_b32_e32 v3, 7, v18
	v_ffbh_u32_e32 v3, v3
	v_min_u32_e32 v3, 32, v3
	v_lshrrev_b32_e32 v9, 3, v8
	v_cmp_gt_u32_e32 vcc, 8, v8
	v_subrev_u32_e32 v8, 28, v3
	v_sub_u32_e32 v3, 29, v3
	v_cndmask_b32_e32 v8, 0, v8, vcc
	v_cndmask_b32_e32 v3, v9, v3, vcc
	v_lshlrev_b64 v[8:9], v8, v[28:29]
	v_lshlrev_b32_e32 v9, 24, v28
	v_lshlrev_b32_e32 v8, 20, v8
	v_and_b32_e32 v8, 0x700000, v8
	v_and_b32_e32 v9, 0x80000000, v9
	v_lshl_add_u32 v3, v3, 23, v17
	v_or3_b32 v3, v9, v3, v8
.LBB2_5534:                             ;   in Loop: Header=BB2_4850 Depth=3
	s_or_b64 exec, exec, s[38:39]
.LBB2_5535:                             ;   in Loop: Header=BB2_4850 Depth=3
	s_or_b64 exec, exec, s[42:43]
.LBB2_5536:                             ;   in Loop: Header=BB2_4850 Depth=3
	s_or_b64 exec, exec, s[40:41]
	v_cmp_gt_i16_sdwa s[42:43], v11, s85 src0_sel:BYTE_0 src1_sel:DWORD
	s_mov_b64 s[40:41], 0
	s_and_saveexec_b64 vcc, s[42:43]
	s_xor_b64 s[42:43], exec, vcc
	s_cbranch_execz .LBB2_5540
; %bb.5537:                             ;   in Loop: Header=BB2_4850 Depth=3
	v_cmp_eq_u16_sdwa s[38:39], v11, s87 src0_sel:BYTE_0 src1_sel:DWORD
	s_mov_b64 s[40:41], -1
	s_and_saveexec_b64 vcc, s[38:39]
; %bb.5538:                             ;   in Loop: Header=BB2_4850 Depth=3
	s_xor_b64 s[40:41], exec, -1
; %bb.5539:                             ;   in Loop: Header=BB2_4850 Depth=3
	s_or_b64 exec, exec, vcc
	s_and_b64 s[40:41], s[40:41], exec
.LBB2_5540:                             ;   in Loop: Header=BB2_4850 Depth=3
	s_or_saveexec_b64 s[42:43], s[42:43]
	v_bfrev_b32_e32 v16, 1
	s_xor_b64 exec, exec, s[42:43]
; %bb.5541:                             ;   in Loop: Header=BB2_4850 Depth=3
	v_cmp_ne_u16_sdwa vcc, v11, v29 src0_sel:BYTE_0 src1_sel:DWORD
	s_andn2_b64 s[40:41], s[40:41], exec
	s_and_b64 vcc, vcc, exec
	v_mov_b32_e32 v16, 0
	s_or_b64 s[40:41], s[40:41], vcc
; %bb.5542:                             ;   in Loop: Header=BB2_4850 Depth=3
	s_or_b64 exec, exec, s[42:43]
	v_mov_b32_e32 v8, v11
	v_mov_b32_e32 v9, v29
	s_and_saveexec_b64 s[42:43], s[40:41]
	s_cbranch_execz .LBB2_5544
; %bb.5543:                             ;   in Loop: Header=BB2_4850 Depth=3
	v_and_b32_e32 v16, 7, v11
	v_ffbh_u32_e32 v16, v16
	v_and_b32_e32 v18, 0x7f, v11
	v_min_u32_e32 v16, 32, v16
	v_bfe_u32 v34, v11, 3, 4
	v_subrev_u32_e32 v35, 28, v16
	v_sub_u32_e32 v16, 29, v16
	v_cmp_gt_u32_e32 vcc, 8, v18
	v_cndmask_b32_e32 v16, v34, v16, vcc
	v_cndmask_b32_e32 v34, 0, v35, vcc
	v_lshlrev_b64 v[34:35], v34, v[8:9]
	v_lshl_add_u32 v16, v16, 23, v17
	v_lshlrev_b32_e32 v9, 20, v34
	v_lshlrev_b32_e32 v34, 24, v8
	v_and_b32_e32 v9, 0x700000, v9
	v_and_b32_e32 v34, 0x80000000, v34
	v_or3_b32 v9, v34, v16, v9
	v_cmp_ne_u32_e32 vcc, s85, v18
	v_cndmask_b32_e32 v16, v4, v9, vcc
.LBB2_5544:                             ;   in Loop: Header=BB2_4850 Depth=3
	s_or_b64 exec, exec, s[42:43]
	v_add_f32_e32 v16, v3, v16
	v_and_b32_e32 v34, 0x7f800000, v16
	v_mov_b32_e32 v35, v29
	v_cmp_ne_u64_e32 vcc, s[76:77], v[34:35]
                                        ; implicit-def: $vgpr3
	s_and_saveexec_b64 s[40:41], vcc
	s_xor_b64 s[42:43], exec, s[40:41]
	s_cbranch_execz .LBB2_5558
; %bb.5545:                             ;   in Loop: Header=BB2_4850 Depth=3
	v_and_b32_e32 v34, 0x7fffffff, v16
	v_mov_b32_e32 v35, v29
	v_cmp_gt_u64_e32 vcc, s[78:79], v[34:35]
	v_and_b32_sdwa v9, v16, s87 dst_sel:DWORD dst_unused:UNUSED_PAD src0_sel:BYTE_3 src1_sel:DWORD
                                        ; implicit-def: $vgpr3
	s_and_saveexec_b64 s[40:41], vcc
	s_xor_b64 s[38:39], exec, s[40:41]
	s_cbranch_execz .LBB2_5555
; %bb.5546:                             ;   in Loop: Header=BB2_4850 Depth=3
	v_mov_b32_e32 v3, 0
	v_cmp_ne_u32_e32 vcc, 0, v16
	s_and_saveexec_b64 s[48:49], vcc
	s_cbranch_execz .LBB2_5554
; %bb.5547:                             ;   in Loop: Header=BB2_4850 Depth=3
	v_bfe_u32 v3, v16, 23, 8
	v_and_b32_e32 v18, 0x7fffff, v16
	v_cmp_gt_u32_e64 s[40:41], s96, v3
	v_sub_u32_e32 v16, 0x79, v3
	v_cmp_eq_u32_e32 vcc, 0, v3
	v_cndmask_b32_e64 v16, 0, v16, s[40:41]
	v_or_b32_e32 v34, 0x800000, v18
	v_cndmask_b32_e32 v16, v16, v36, vcc
	v_cndmask_b32_e32 v34, v34, v18, vcc
	v_add_u32_e32 v18, 20, v16
	v_lshlrev_b64 v[53:54], v18, -1
	v_add_u32_e32 v18, 19, v16
	v_lshlrev_b64 v[46:47], v18, 1
	v_mov_b32_e32 v35, v29
	v_bfi_b32 v54, v54, 0, 0
	v_bfi_b32 v53, v53, 0, v34
	v_cmp_eq_u64_e64 s[40:41], v[53:54], v[46:47]
	v_lshrrev_b64 v[46:47], v16, v[34:35]
	v_mov_b32_e32 v56, v47
	v_mov_b32_e32 v55, v46
	s_and_saveexec_b64 s[50:51], s[40:41]
; %bb.5548:                             ;   in Loop: Header=BB2_4850 Depth=3
	v_bfe_u32 v18, v46, 20, 1
	v_add_co_u32_e64 v18, s[40:41], v46, v18
	v_add_co_u32_e64 v55, s[40:41], -1, v18
; %bb.5549:                             ;   in Loop: Header=BB2_4850 Depth=3
	s_or_b64 exec, exec, s[50:51]
	v_add_u32_e32 v3, 0xffffff81, v3
	v_cndmask_b32_e32 v3, v3, v37, vcc
	v_lshrrev_b32_e32 v18, 23, v46
	v_add3_u32 v18, v16, v3, v18
	v_add_u32_e32 v16, 6, v18
	v_and_b32_e32 v3, 0xfffff, v55
	v_add_u32_e32 v46, v3, v46
	v_mov_b32_e32 v47, v29
	v_cmp_ne_u32_e32 vcc, 0, v16
                                        ; implicit-def: $vgpr3
	s_and_saveexec_b64 s[40:41], vcc
	s_xor_b64 s[40:41], exec, s[40:41]
; %bb.5550:                             ;   in Loop: Header=BB2_4850 Depth=3
	v_cmp_lt_u64_e32 vcc, s[88:89], v[46:47]
	v_add_u32_e32 v3, 7, v18
	v_cndmask_b32_e32 v3, v16, v3, vcc
	v_cndmask_b32_e64 v16, 0, 1, vcc
	v_lshrrev_b64 v[46:47], v16, v[46:47]
; %bb.5551:                             ;   in Loop: Header=BB2_4850 Depth=3
	s_andn2_saveexec_b64 s[40:41], s[40:41]
; %bb.5552:                             ;   in Loop: Header=BB2_4850 Depth=3
	v_bfe_u32 v3, v46, 23, 1
; %bb.5553:                             ;   in Loop: Header=BB2_4850 Depth=3
	s_or_b64 exec, exec, s[40:41]
	v_lshrrev_b64 v[34:35], 20, v[46:47]
	v_cmp_gt_i32_e32 vcc, 16, v3
	v_cndmask_b32_e32 v35, 0, v35, vcc
	v_cndmask_b32_e32 v34, 7, v34, vcc
	v_cmp_eq_u32_e32 vcc, 0, v3
	v_min_i32_e32 v3, 15, v3
	v_cmp_eq_u64_e64 s[40:41], 0, v[34:35]
	v_lshlrev_b32_e32 v3, 3, v3
	v_and_b32_e32 v3, 0xf8, v3
	v_and_or_b32 v3, v34, 7, v3
	s_and_b64 s[40:41], vcc, s[40:41]
	v_cndmask_b32_e64 v3, v3, 0, s[40:41]
	v_or_b32_e32 v3, v3, v9
.LBB2_5554:                             ;   in Loop: Header=BB2_4850 Depth=3
	s_or_b64 exec, exec, s[48:49]
                                        ; implicit-def: $vgpr9
.LBB2_5555:                             ;   in Loop: Header=BB2_4850 Depth=3
	s_andn2_saveexec_b64 s[40:41], s[38:39]
; %bb.5556:                             ;   in Loop: Header=BB2_4850 Depth=3
	v_or_b32_e32 v3, 0x7e, v9
; %bb.5557:                             ;   in Loop: Header=BB2_4850 Depth=3
	s_or_b64 exec, exec, s[40:41]
                                        ; implicit-def: $vgpr16
.LBB2_5558:                             ;   in Loop: Header=BB2_4850 Depth=3
	s_andn2_saveexec_b64 s[40:41], s[42:43]
; %bb.5559:                             ;   in Loop: Header=BB2_4850 Depth=3
	v_or_b32_sdwa v3, v16, s85 dst_sel:DWORD dst_unused:UNUSED_PAD src0_sel:BYTE_3 src1_sel:DWORD
; %bb.5560:                             ;   in Loop: Header=BB2_4850 Depth=3
	s_or_b64 exec, exec, s[40:41]
	v_lshrrev_b16_e32 v9, 8, v5
	v_cmp_ne_u16_e32 vcc, 0, v9
	v_mov_b32_e32 v16, 0
	s_and_saveexec_b64 s[40:41], vcc
	s_cbranch_execz .LBB2_5566
; %bb.5561:                             ;   in Loop: Header=BB2_4850 Depth=3
	v_cmp_ne_u16_e32 vcc, s87, v9
	v_bfrev_b32_e32 v16, 1
	s_and_saveexec_b64 s[42:43], vcc
	s_cbranch_execz .LBB2_5565
; %bb.5562:                             ;   in Loop: Header=BB2_4850 Depth=3
	v_and_b32_e32 v18, 0x7f, v9
	v_cmp_ne_u32_e32 vcc, s85, v18
	v_mov_b32_e32 v16, 0x7f800001
	s_and_saveexec_b64 s[38:39], vcc
	s_cbranch_execz .LBB2_5564
; %bb.5563:                             ;   in Loop: Header=BB2_4850 Depth=3
	v_and_b32_e32 v16, 7, v9
	v_lshrrev_b32_e32 v53, 3, v18
	v_cmp_gt_u32_e32 vcc, 8, v18
	v_ffbh_u32_e32 v18, v16
	v_min_u32_e32 v18, 32, v18
	v_subrev_u32_e32 v34, 28, v18
	v_lshlrev_b64 v[34:35], v34, v[9:10]
	v_sub_u32_e32 v9, 29, v18
	v_and_b32_e32 v18, 7, v34
	v_cndmask_b32_e32 v9, v53, v9, vcc
	v_cndmask_b32_e32 v16, v16, v18, vcc
	v_lshlrev_b32_e32 v5, 16, v5
	v_lshlrev_b32_e32 v16, 20, v16
	v_and_b32_e32 v5, 0x80000000, v5
	v_lshl_add_u32 v9, v9, 23, v17
	v_or3_b32 v16, v5, v9, v16
.LBB2_5564:                             ;   in Loop: Header=BB2_4850 Depth=3
	s_or_b64 exec, exec, s[38:39]
.LBB2_5565:                             ;   in Loop: Header=BB2_4850 Depth=3
	s_or_b64 exec, exec, s[42:43]
.LBB2_5566:                             ;   in Loop: Header=BB2_4850 Depth=3
	s_or_b64 exec, exec, s[40:41]
	v_lshrrev_b16_e32 v8, 8, v8
	v_cmp_lt_i16_e32 vcc, s85, v8
	s_mov_b64 s[40:41], 0
	s_and_saveexec_b64 s[42:43], vcc
	s_xor_b64 s[42:43], exec, s[42:43]
	s_cbranch_execz .LBB2_5657
; %bb.5567:                             ;   in Loop: Header=BB2_4850 Depth=3
	v_cmp_eq_u16_e32 vcc, s87, v8
	s_mov_b64 s[40:41], -1
	s_and_saveexec_b64 s[38:39], vcc
; %bb.5568:                             ;   in Loop: Header=BB2_4850 Depth=3
	s_xor_b64 s[40:41], exec, -1
; %bb.5569:                             ;   in Loop: Header=BB2_4850 Depth=3
	s_or_b64 exec, exec, s[38:39]
	s_and_b64 s[40:41], s[40:41], exec
	s_or_saveexec_b64 s[42:43], s[42:43]
	v_bfrev_b32_e32 v5, 1
	s_xor_b64 exec, exec, s[42:43]
	s_cbranch_execnz .LBB2_5658
.LBB2_5570:                             ;   in Loop: Header=BB2_4850 Depth=3
	s_or_b64 exec, exec, s[42:43]
	s_and_saveexec_b64 s[42:43], s[40:41]
	s_cbranch_execz .LBB2_5572
.LBB2_5571:                             ;   in Loop: Header=BB2_4850 Depth=3
	v_and_b32_e32 v5, 7, v8
	v_ffbh_u32_e32 v34, v5
	v_min_u32_e32 v54, 32, v34
	v_mov_b32_e32 v9, v29
	v_subrev_u32_e32 v34, 28, v54
	v_lshlrev_b64 v[34:35], v34, v[8:9]
	v_and_b32_e32 v18, 0x7f, v8
	v_bfe_u32 v53, v8, 3, 4
	v_sub_u32_e32 v9, 29, v54
	v_and_b32_e32 v34, 7, v34
	v_cmp_gt_u32_e32 vcc, 8, v18
	v_cndmask_b32_e32 v9, v53, v9, vcc
	v_cndmask_b32_e32 v5, v5, v34, vcc
	v_lshlrev_b32_e32 v8, 24, v8
	v_lshlrev_b32_e32 v5, 20, v5
	v_and_b32_e32 v8, 0x80000000, v8
	v_lshl_add_u32 v9, v9, 23, v17
	v_or3_b32 v5, v8, v9, v5
	v_cmp_ne_u32_e32 vcc, s85, v18
	v_cndmask_b32_e32 v5, v4, v5, vcc
.LBB2_5572:                             ;   in Loop: Header=BB2_4850 Depth=3
	s_or_b64 exec, exec, s[42:43]
	v_add_f32_e32 v8, v16, v5
	v_and_b32_e32 v34, 0x7f800000, v8
	v_mov_b32_e32 v35, v29
	v_cmp_ne_u64_e32 vcc, s[76:77], v[34:35]
                                        ; implicit-def: $vgpr5
	s_and_saveexec_b64 s[40:41], vcc
	s_xor_b64 s[42:43], exec, s[40:41]
	s_cbranch_execz .LBB2_5586
; %bb.5573:                             ;   in Loop: Header=BB2_4850 Depth=3
	v_and_b32_e32 v34, 0x7fffffff, v8
	v_mov_b32_e32 v35, v29
	v_cmp_gt_u64_e32 vcc, s[78:79], v[34:35]
	v_and_b32_sdwa v16, v8, s87 dst_sel:DWORD dst_unused:UNUSED_PAD src0_sel:BYTE_3 src1_sel:DWORD
                                        ; implicit-def: $vgpr5
	s_and_saveexec_b64 s[40:41], vcc
	s_xor_b64 s[38:39], exec, s[40:41]
	s_cbranch_execz .LBB2_5583
; %bb.5574:                             ;   in Loop: Header=BB2_4850 Depth=3
	v_mov_b32_e32 v5, 0
	v_cmp_ne_u32_e32 vcc, 0, v8
	s_and_saveexec_b64 s[48:49], vcc
	s_cbranch_execz .LBB2_5582
; %bb.5575:                             ;   in Loop: Header=BB2_4850 Depth=3
	v_bfe_u32 v5, v8, 23, 8
	v_and_b32_e32 v9, 0x7fffff, v8
	v_cmp_gt_u32_e64 s[40:41], s96, v5
	v_sub_u32_e32 v8, 0x79, v5
	v_cmp_eq_u32_e32 vcc, 0, v5
	v_cndmask_b32_e64 v8, 0, v8, s[40:41]
	v_or_b32_e32 v34, 0x800000, v9
	v_cndmask_b32_e32 v18, v8, v36, vcc
	v_cndmask_b32_e32 v8, v34, v9, vcc
	v_add_u32_e32 v34, 20, v18
	v_lshlrev_b64 v[34:35], v34, -1
	v_mov_b32_e32 v9, v29
	v_add_u32_e32 v53, 19, v18
	v_bfi_b32 v34, v34, 0, v8
	v_lshlrev_b64 v[53:54], v53, 1
	v_lshrrev_b64 v[8:9], v18, v[8:9]
	v_bfi_b32 v35, v35, 0, 0
	v_cmp_eq_u64_e64 s[40:41], v[34:35], v[53:54]
	v_mov_b32_e32 v47, v9
	v_mov_b32_e32 v46, v8
	s_and_saveexec_b64 s[50:51], s[40:41]
; %bb.5576:                             ;   in Loop: Header=BB2_4850 Depth=3
	v_bfe_u32 v9, v8, 20, 1
	v_add_co_u32_e64 v9, s[40:41], v8, v9
	v_add_co_u32_e64 v46, s[40:41], -1, v9
; %bb.5577:                             ;   in Loop: Header=BB2_4850 Depth=3
	s_or_b64 exec, exec, s[50:51]
	v_add_u32_e32 v5, 0xffffff81, v5
	v_cndmask_b32_e32 v5, v5, v37, vcc
	v_lshrrev_b32_e32 v9, 23, v8
	v_add3_u32 v34, v18, v5, v9
	v_add_u32_e32 v18, 6, v34
	v_and_b32_e32 v5, 0xfffff, v46
	v_add_u32_e32 v8, v5, v8
	v_mov_b32_e32 v9, v29
	v_cmp_ne_u32_e32 vcc, 0, v18
                                        ; implicit-def: $vgpr5
	s_and_saveexec_b64 s[40:41], vcc
	s_xor_b64 s[40:41], exec, s[40:41]
; %bb.5578:                             ;   in Loop: Header=BB2_4850 Depth=3
	v_cmp_lt_u64_e32 vcc, s[88:89], v[8:9]
	v_add_u32_e32 v5, 7, v34
	v_cndmask_b32_e32 v5, v18, v5, vcc
	v_cndmask_b32_e64 v18, 0, 1, vcc
	v_lshrrev_b64 v[8:9], v18, v[8:9]
; %bb.5579:                             ;   in Loop: Header=BB2_4850 Depth=3
	s_andn2_saveexec_b64 s[40:41], s[40:41]
; %bb.5580:                             ;   in Loop: Header=BB2_4850 Depth=3
	v_bfe_u32 v5, v8, 23, 1
; %bb.5581:                             ;   in Loop: Header=BB2_4850 Depth=3
	s_or_b64 exec, exec, s[40:41]
	v_lshrrev_b64 v[8:9], 20, v[8:9]
	v_cmp_gt_i32_e32 vcc, 16, v5
	v_cndmask_b32_e32 v9, 0, v9, vcc
	v_cndmask_b32_e32 v8, 7, v8, vcc
	v_cmp_eq_u32_e32 vcc, 0, v5
	v_min_i32_e32 v5, 15, v5
	v_cmp_eq_u64_e64 s[40:41], 0, v[8:9]
	v_lshlrev_b32_e32 v5, 3, v5
	v_and_b32_e32 v5, 0xf8, v5
	v_and_or_b32 v5, v8, 7, v5
	s_and_b64 s[40:41], vcc, s[40:41]
	v_cndmask_b32_e64 v5, v5, 0, s[40:41]
	v_or_b32_e32 v5, v5, v16
.LBB2_5582:                             ;   in Loop: Header=BB2_4850 Depth=3
	s_or_b64 exec, exec, s[48:49]
                                        ; implicit-def: $vgpr16
.LBB2_5583:                             ;   in Loop: Header=BB2_4850 Depth=3
	s_andn2_saveexec_b64 s[40:41], s[38:39]
; %bb.5584:                             ;   in Loop: Header=BB2_4850 Depth=3
	v_or_b32_e32 v5, 0x7e, v16
; %bb.5585:                             ;   in Loop: Header=BB2_4850 Depth=3
	s_or_b64 exec, exec, s[40:41]
                                        ; implicit-def: $vgpr8
.LBB2_5586:                             ;   in Loop: Header=BB2_4850 Depth=3
	s_andn2_saveexec_b64 s[40:41], s[42:43]
; %bb.5587:                             ;   in Loop: Header=BB2_4850 Depth=3
	v_or_b32_sdwa v5, v8, s85 dst_sel:DWORD dst_unused:UNUSED_PAD src0_sel:BYTE_3 src1_sel:DWORD
; %bb.5588:                             ;   in Loop: Header=BB2_4850 Depth=3
	s_or_b64 exec, exec, s[40:41]
	v_lshrrev_b32_e32 v8, 16, v28
	v_cmp_ne_u16_sdwa s[42:43], v8, v29 src0_sel:BYTE_0 src1_sel:DWORD
	v_mov_b32_e32 v9, 0
	s_and_saveexec_b64 s[40:41], s[42:43]
	s_cbranch_execz .LBB2_5594
; %bb.5589:                             ;   in Loop: Header=BB2_4850 Depth=3
	v_cmp_ne_u16_sdwa vcc, v8, s87 src0_sel:BYTE_0 src1_sel:DWORD
	v_bfrev_b32_e32 v9, 1
	s_and_saveexec_b64 s[42:43], vcc
	s_cbranch_execz .LBB2_5593
; %bb.5590:                             ;   in Loop: Header=BB2_4850 Depth=3
	v_bfe_u32 v16, v28, 16, 7
	v_cmp_ne_u32_e32 vcc, s85, v16
	v_mov_b32_e32 v9, 0x7f800001
	s_and_saveexec_b64 s[38:39], vcc
	s_cbranch_execz .LBB2_5592
; %bb.5591:                             ;   in Loop: Header=BB2_4850 Depth=3
	v_and_b32_e32 v9, 7, v8
	v_lshrrev_b32_e32 v18, 3, v16
	v_cmp_gt_u32_e32 vcc, 8, v16
	v_ffbh_u32_e32 v16, v9
	v_min_u32_e32 v16, 32, v16
	v_subrev_u32_e32 v34, 28, v16
	v_lshlrev_b64 v[34:35], v34, v[8:9]
	v_sub_u32_e32 v16, 29, v16
	v_and_b32_e32 v34, 7, v34
	v_cndmask_b32_e32 v16, v18, v16, vcc
	v_cndmask_b32_e32 v9, v9, v34, vcc
	v_lshlrev_b32_e32 v8, 24, v8
	v_lshlrev_b32_e32 v9, 20, v9
	v_and_b32_e32 v8, 0x80000000, v8
	v_lshl_add_u32 v16, v16, 23, v17
	v_or3_b32 v9, v8, v16, v9
.LBB2_5592:                             ;   in Loop: Header=BB2_4850 Depth=3
	s_or_b64 exec, exec, s[38:39]
.LBB2_5593:                             ;   in Loop: Header=BB2_4850 Depth=3
	s_or_b64 exec, exec, s[42:43]
.LBB2_5594:                             ;   in Loop: Header=BB2_4850 Depth=3
	s_or_b64 exec, exec, s[40:41]
	v_lshrrev_b32_e32 v8, 16, v11
	v_cmp_gt_i16_sdwa s[42:43], v8, s85 src0_sel:BYTE_0 src1_sel:DWORD
	s_mov_b64 s[40:41], 0
	s_and_saveexec_b64 vcc, s[42:43]
	s_xor_b64 s[42:43], exec, vcc
	s_cbranch_execz .LBB2_5659
; %bb.5595:                             ;   in Loop: Header=BB2_4850 Depth=3
	v_cmp_eq_u16_sdwa s[38:39], v8, s87 src0_sel:BYTE_0 src1_sel:DWORD
	s_mov_b64 s[40:41], -1
	s_and_saveexec_b64 vcc, s[38:39]
; %bb.5596:                             ;   in Loop: Header=BB2_4850 Depth=3
	s_xor_b64 s[40:41], exec, -1
; %bb.5597:                             ;   in Loop: Header=BB2_4850 Depth=3
	s_or_b64 exec, exec, vcc
	s_and_b64 s[40:41], s[40:41], exec
	s_or_saveexec_b64 s[42:43], s[42:43]
	v_bfrev_b32_e32 v16, 1
	s_xor_b64 exec, exec, s[42:43]
	s_cbranch_execnz .LBB2_5660
.LBB2_5598:                             ;   in Loop: Header=BB2_4850 Depth=3
	s_or_b64 exec, exec, s[42:43]
	s_and_saveexec_b64 s[42:43], s[40:41]
	s_cbranch_execz .LBB2_5600
.LBB2_5599:                             ;   in Loop: Header=BB2_4850 Depth=3
	v_and_b32_e32 v16, 7, v8
	v_ffbh_u32_e32 v34, v16
	v_min_u32_e32 v54, 32, v34
	v_subrev_u32_e32 v34, 28, v54
	v_lshlrev_b64 v[34:35], v34, v[8:9]
	v_and_b32_e32 v18, 0x7f, v8
	v_bfe_u32 v53, v8, 3, 4
	v_sub_u32_e32 v35, 29, v54
	v_and_b32_e32 v34, 7, v34
	v_cmp_gt_u32_e32 vcc, 8, v18
	v_cndmask_b32_e32 v35, v53, v35, vcc
	v_cndmask_b32_e32 v16, v16, v34, vcc
	v_lshlrev_b32_e32 v8, 24, v8
	v_lshlrev_b32_e32 v16, 20, v16
	v_and_b32_e32 v8, 0x80000000, v8
	v_lshl_add_u32 v34, v35, 23, v17
	v_or3_b32 v8, v8, v34, v16
	v_cmp_ne_u32_e32 vcc, s85, v18
	v_cndmask_b32_e32 v16, v4, v8, vcc
.LBB2_5600:                             ;   in Loop: Header=BB2_4850 Depth=3
	s_or_b64 exec, exec, s[42:43]
	v_add_f32_e32 v8, v9, v16
	v_and_b32_e32 v34, 0x7f800000, v8
	v_mov_b32_e32 v35, v29
	v_cmp_ne_u64_e32 vcc, s[76:77], v[34:35]
                                        ; implicit-def: $vgpr16
	s_and_saveexec_b64 s[40:41], vcc
	s_xor_b64 s[42:43], exec, s[40:41]
	s_cbranch_execz .LBB2_5614
; %bb.5601:                             ;   in Loop: Header=BB2_4850 Depth=3
	v_and_b32_e32 v34, 0x7fffffff, v8
	v_mov_b32_e32 v35, v29
	v_cmp_gt_u64_e32 vcc, s[78:79], v[34:35]
	v_and_b32_sdwa v18, v8, s87 dst_sel:DWORD dst_unused:UNUSED_PAD src0_sel:BYTE_3 src1_sel:DWORD
                                        ; implicit-def: $vgpr16
	s_and_saveexec_b64 s[40:41], vcc
	s_xor_b64 s[38:39], exec, s[40:41]
	s_cbranch_execz .LBB2_5611
; %bb.5602:                             ;   in Loop: Header=BB2_4850 Depth=3
	v_mov_b32_e32 v16, 0
	v_cmp_ne_u32_e32 vcc, 0, v8
	s_and_saveexec_b64 s[48:49], vcc
	s_cbranch_execz .LBB2_5610
; %bb.5603:                             ;   in Loop: Header=BB2_4850 Depth=3
	v_bfe_u32 v16, v8, 23, 8
	v_and_b32_e32 v9, 0x7fffff, v8
	v_cmp_gt_u32_e64 s[40:41], s96, v16
	v_sub_u32_e32 v8, 0x79, v16
	v_cmp_eq_u32_e32 vcc, 0, v16
	v_cndmask_b32_e64 v8, 0, v8, s[40:41]
	v_or_b32_e32 v35, 0x800000, v9
	v_cndmask_b32_e32 v34, v8, v36, vcc
	v_cndmask_b32_e32 v8, v35, v9, vcc
	v_add_u32_e32 v35, 20, v34
	v_lshlrev_b64 v[53:54], v35, -1
	v_mov_b32_e32 v9, v29
	v_add_u32_e32 v35, 19, v34
	v_bfi_b32 v53, v53, 0, v8
	v_lshlrev_b64 v[46:47], v35, 1
	v_lshrrev_b64 v[8:9], v34, v[8:9]
	v_bfi_b32 v54, v54, 0, 0
	v_cmp_eq_u64_e64 s[40:41], v[53:54], v[46:47]
	v_mov_b32_e32 v47, v9
	v_mov_b32_e32 v46, v8
	s_and_saveexec_b64 s[50:51], s[40:41]
; %bb.5604:                             ;   in Loop: Header=BB2_4850 Depth=3
	v_bfe_u32 v9, v8, 20, 1
	v_add_co_u32_e64 v9, s[40:41], v8, v9
	v_add_co_u32_e64 v46, s[40:41], -1, v9
; %bb.5605:                             ;   in Loop: Header=BB2_4850 Depth=3
	s_or_b64 exec, exec, s[50:51]
	v_add_u32_e32 v9, 0xffffff81, v16
	v_cndmask_b32_e32 v9, v9, v37, vcc
	v_lshrrev_b32_e32 v16, 23, v8
	v_add3_u32 v35, v34, v9, v16
	v_add_u32_e32 v34, 6, v35
	v_and_b32_e32 v9, 0xfffff, v46
	v_add_u32_e32 v8, v9, v8
	v_mov_b32_e32 v9, v29
	v_cmp_ne_u32_e32 vcc, 0, v34
                                        ; implicit-def: $vgpr16
	s_and_saveexec_b64 s[40:41], vcc
	s_xor_b64 s[40:41], exec, s[40:41]
; %bb.5606:                             ;   in Loop: Header=BB2_4850 Depth=3
	v_cmp_lt_u64_e32 vcc, s[88:89], v[8:9]
	v_add_u32_e32 v16, 7, v35
	v_cndmask_b32_e32 v16, v34, v16, vcc
	v_cndmask_b32_e64 v34, 0, 1, vcc
	v_lshrrev_b64 v[8:9], v34, v[8:9]
; %bb.5607:                             ;   in Loop: Header=BB2_4850 Depth=3
	s_andn2_saveexec_b64 s[40:41], s[40:41]
; %bb.5608:                             ;   in Loop: Header=BB2_4850 Depth=3
	v_bfe_u32 v16, v8, 23, 1
; %bb.5609:                             ;   in Loop: Header=BB2_4850 Depth=3
	s_or_b64 exec, exec, s[40:41]
	v_lshrrev_b64 v[8:9], 20, v[8:9]
	v_cmp_gt_i32_e32 vcc, 16, v16
	v_cndmask_b32_e32 v9, 0, v9, vcc
	v_cndmask_b32_e32 v8, 7, v8, vcc
	v_cmp_eq_u64_e64 s[40:41], 0, v[8:9]
	v_min_i32_e32 v9, 15, v16
	v_lshlrev_b32_e32 v9, 3, v9
	v_cmp_eq_u32_e32 vcc, 0, v16
	v_and_b32_e32 v9, 0xf8, v9
	v_and_or_b32 v8, v8, 7, v9
	s_and_b64 s[40:41], vcc, s[40:41]
	v_cndmask_b32_e64 v8, v8, 0, s[40:41]
	v_or_b32_e32 v16, v8, v18
.LBB2_5610:                             ;   in Loop: Header=BB2_4850 Depth=3
	s_or_b64 exec, exec, s[48:49]
                                        ; implicit-def: $vgpr18
.LBB2_5611:                             ;   in Loop: Header=BB2_4850 Depth=3
	s_andn2_saveexec_b64 s[40:41], s[38:39]
; %bb.5612:                             ;   in Loop: Header=BB2_4850 Depth=3
	v_or_b32_e32 v16, 0x7e, v18
; %bb.5613:                             ;   in Loop: Header=BB2_4850 Depth=3
	s_or_b64 exec, exec, s[40:41]
                                        ; implicit-def: $vgpr8
.LBB2_5614:                             ;   in Loop: Header=BB2_4850 Depth=3
	s_andn2_saveexec_b64 s[40:41], s[42:43]
; %bb.5615:                             ;   in Loop: Header=BB2_4850 Depth=3
	v_or_b32_sdwa v16, v8, s85 dst_sel:DWORD dst_unused:UNUSED_PAD src0_sel:BYTE_3 src1_sel:DWORD
; %bb.5616:                             ;   in Loop: Header=BB2_4850 Depth=3
	s_or_b64 exec, exec, s[40:41]
	v_cmp_lt_u32_e32 vcc, s57, v28
	v_mov_b32_e32 v9, 0
	s_and_saveexec_b64 s[40:41], vcc
	s_cbranch_execz .LBB2_5622
; %bb.5617:                             ;   in Loop: Header=BB2_4850 Depth=3
	v_lshrrev_b32_e32 v8, 24, v28
	v_cmp_ne_u32_sdwa vcc, v28, s87 src0_sel:BYTE_3 src1_sel:DWORD
	v_bfrev_b32_e32 v9, 1
	s_and_saveexec_b64 s[42:43], vcc
	s_cbranch_execz .LBB2_5621
; %bb.5618:                             ;   in Loop: Header=BB2_4850 Depth=3
	v_bfe_u32 v18, v28, 24, 7
	v_cmp_ne_u32_e32 vcc, s85, v18
	v_mov_b32_e32 v9, 0x7f800001
	s_and_saveexec_b64 s[38:39], vcc
	s_cbranch_execz .LBB2_5620
; %bb.5619:                             ;   in Loop: Header=BB2_4850 Depth=3
	v_and_b32_e32 v34, 7, v8
	v_ffbh_u32_e32 v9, v34
	v_lshrrev_b32_e32 v35, 3, v18
	v_cmp_gt_u32_e32 vcc, 8, v18
	v_min_u32_e32 v18, 32, v9
	v_subrev_u32_e32 v9, 28, v18
	v_lshlrev_b64 v[8:9], v9, v[8:9]
	v_sub_u32_e32 v9, 29, v18
	v_and_b32_e32 v8, 7, v8
	v_mov_b32_e32 v18, 24
	v_cndmask_b32_e32 v9, v35, v9, vcc
	v_cndmask_b32_e32 v8, v34, v8, vcc
	v_lshlrev_b32_sdwa v18, v18, v28 dst_sel:DWORD dst_unused:UNUSED_PAD src0_sel:DWORD src1_sel:BYTE_3
	v_lshlrev_b32_e32 v8, 20, v8
	v_and_b32_e32 v18, 0x80000000, v18
	v_lshl_add_u32 v9, v9, 23, v17
	v_or3_b32 v9, v18, v9, v8
.LBB2_5620:                             ;   in Loop: Header=BB2_4850 Depth=3
	s_or_b64 exec, exec, s[38:39]
.LBB2_5621:                             ;   in Loop: Header=BB2_4850 Depth=3
	s_or_b64 exec, exec, s[42:43]
.LBB2_5622:                             ;   in Loop: Header=BB2_4850 Depth=3
	s_or_b64 exec, exec, s[40:41]
	v_bfe_u32 v18, v11, 24, 3
	v_ffbh_u32_e32 v34, v18
	v_min_u32_e32 v54, 32, v34
	v_lshrrev_b32_e32 v8, 24, v11
	v_subrev_u32_e32 v34, 28, v54
	v_lshlrev_b64 v[34:35], v34, v[8:9]
	v_bfe_u32 v28, v11, 24, 7
	v_bfe_u32 v53, v8, 3, 4
	v_sub_u32_e32 v35, 29, v54
	v_and_b32_e32 v34, 7, v34
	v_cmp_gt_u32_e32 vcc, 8, v28
	v_cndmask_b32_e32 v35, v53, v35, vcc
	v_cndmask_b32_e32 v18, v18, v34, vcc
	v_lshlrev_b32_e32 v18, 20, v18
	v_and_b32_e32 v34, 0x80000000, v11
	v_lshl_add_u32 v35, v35, 23, v17
	v_or3_b32 v18, v34, v35, v18
	v_cmp_ne_u32_e32 vcc, s85, v28
	v_cndmask_b32_e32 v18, v4, v18, vcc
	v_cmp_ne_u32_e32 vcc, s87, v8
	v_bfrev_b32_e32 v8, 1
	v_cndmask_b32_e32 v8, v8, v18, vcc
	v_cmp_lt_u64_e32 vcc, s[56:57], v[10:11]
                                        ; implicit-def: $vgpr18
	v_cndmask_b32_e32 v8, 0, v8, vcc
	v_add_f32_e32 v8, v8, v9
	v_and_b32_e32 v28, 0x7f800000, v8
	v_cmp_ne_u64_e32 vcc, s[76:77], v[28:29]
	s_and_saveexec_b64 s[40:41], vcc
	s_xor_b64 s[42:43], exec, s[40:41]
	s_cbranch_execz .LBB2_5636
; %bb.5623:                             ;   in Loop: Header=BB2_4850 Depth=3
	v_and_b32_e32 v28, 0x7fffffff, v8
	v_cmp_gt_u64_e32 vcc, s[78:79], v[28:29]
	v_and_b32_sdwa v11, v8, s87 dst_sel:DWORD dst_unused:UNUSED_PAD src0_sel:BYTE_3 src1_sel:DWORD
                                        ; implicit-def: $vgpr18
	s_and_saveexec_b64 s[40:41], vcc
	s_xor_b64 s[38:39], exec, s[40:41]
	s_cbranch_execz .LBB2_5633
; %bb.5624:                             ;   in Loop: Header=BB2_4850 Depth=3
	v_mov_b32_e32 v18, 0
	v_cmp_ne_u32_e32 vcc, 0, v8
	s_and_saveexec_b64 s[48:49], vcc
	s_cbranch_execz .LBB2_5632
; %bb.5625:                             ;   in Loop: Header=BB2_4850 Depth=3
	v_bfe_u32 v18, v8, 23, 8
	v_and_b32_e32 v9, 0x7fffff, v8
	v_cmp_gt_u32_e64 s[40:41], s96, v18
	v_sub_u32_e32 v8, 0x79, v18
	v_cmp_eq_u32_e32 vcc, 0, v18
	v_cndmask_b32_e64 v8, 0, v8, s[40:41]
	v_cndmask_b32_e32 v34, v8, v36, vcc
	v_or_b32_e32 v10, 0x800000, v9
	v_add_u32_e32 v8, 20, v34
	v_cndmask_b32_e32 v28, v10, v9, vcc
	v_lshlrev_b64 v[8:9], v8, -1
	v_add_u32_e32 v10, 19, v34
	v_lshlrev_b64 v[53:54], v10, 1
	v_bfi_b32 v9, v9, 0, 0
	v_bfi_b32 v8, v8, 0, v28
	v_cmp_eq_u64_e64 s[40:41], v[8:9], v[53:54]
	v_lshrrev_b64 v[8:9], v34, v[28:29]
	v_mov_b32_e32 v10, v9
	v_mov_b32_e32 v9, v8
	s_and_saveexec_b64 s[50:51], s[40:41]
; %bb.5626:                             ;   in Loop: Header=BB2_4850 Depth=3
	v_bfe_u32 v9, v8, 20, 1
	v_add_co_u32_e64 v9, s[40:41], v8, v9
	v_add_co_u32_e64 v9, s[40:41], -1, v9
; %bb.5627:                             ;   in Loop: Header=BB2_4850 Depth=3
	s_or_b64 exec, exec, s[50:51]
	v_add_u32_e32 v10, 0xffffff81, v18
	v_cndmask_b32_e32 v10, v10, v37, vcc
	v_lshrrev_b32_e32 v18, 23, v8
	v_add3_u32 v34, v34, v10, v18
	v_add_u32_e32 v18, 6, v34
	v_and_b32_e32 v9, 0xfffff, v9
	v_add_u32_e32 v28, v9, v8
	v_cmp_ne_u32_e32 vcc, 0, v18
                                        ; implicit-def: $vgpr8_vgpr9
                                        ; implicit-def: $vgpr10
	s_and_saveexec_b64 s[40:41], vcc
	s_xor_b64 s[40:41], exec, s[40:41]
; %bb.5628:                             ;   in Loop: Header=BB2_4850 Depth=3
	v_cmp_lt_u64_e32 vcc, s[88:89], v[28:29]
	v_add_u32_e32 v8, 7, v34
	v_cndmask_b32_e32 v10, v18, v8, vcc
	v_cndmask_b32_e64 v8, 0, 1, vcc
	v_lshrrev_b64 v[8:9], v8, v[28:29]
; %bb.5629:                             ;   in Loop: Header=BB2_4850 Depth=3
	s_andn2_saveexec_b64 s[40:41], s[40:41]
; %bb.5630:                             ;   in Loop: Header=BB2_4850 Depth=3
	v_mov_b32_e32 v8, v28
	v_mov_b32_e32 v9, v29
	v_bfe_u32 v10, v28, 23, 1
; %bb.5631:                             ;   in Loop: Header=BB2_4850 Depth=3
	s_or_b64 exec, exec, s[40:41]
	v_lshrrev_b64 v[8:9], 20, v[8:9]
	v_cmp_gt_i32_e32 vcc, 16, v10
	v_cndmask_b32_e32 v9, 0, v9, vcc
	v_cndmask_b32_e32 v8, 7, v8, vcc
	v_cmp_eq_u64_e64 s[40:41], 0, v[8:9]
	v_min_i32_e32 v9, 15, v10
	v_lshlrev_b32_e32 v9, 3, v9
	v_cmp_eq_u32_e32 vcc, 0, v10
	v_and_b32_e32 v9, 0xf8, v9
	v_and_or_b32 v8, v8, 7, v9
	s_and_b64 s[40:41], vcc, s[40:41]
	v_cndmask_b32_e64 v8, v8, 0, s[40:41]
	v_or_b32_e32 v18, v8, v11
.LBB2_5632:                             ;   in Loop: Header=BB2_4850 Depth=3
	s_or_b64 exec, exec, s[48:49]
                                        ; implicit-def: $vgpr11
.LBB2_5633:                             ;   in Loop: Header=BB2_4850 Depth=3
	s_andn2_saveexec_b64 s[40:41], s[38:39]
; %bb.5634:                             ;   in Loop: Header=BB2_4850 Depth=3
	v_or_b32_e32 v18, 0x7e, v11
; %bb.5635:                             ;   in Loop: Header=BB2_4850 Depth=3
	s_or_b64 exec, exec, s[40:41]
                                        ; implicit-def: $vgpr8
.LBB2_5636:                             ;   in Loop: Header=BB2_4850 Depth=3
	s_andn2_saveexec_b64 s[40:41], s[42:43]
; %bb.5637:                             ;   in Loop: Header=BB2_4850 Depth=3
	v_or_b32_sdwa v18, v8, s85 dst_sel:DWORD dst_unused:UNUSED_PAD src0_sel:BYTE_3 src1_sel:DWORD
; %bb.5638:                             ;   in Loop: Header=BB2_4850 Depth=3
	s_or_b64 exec, exec, s[40:41]
	v_lshl_or_b32 v8, v23, 8, v19
	v_lshlrev_b32_e32 v9, 16, v33
	v_lshlrev_b32_e32 v10, 24, v30
	v_lshl_or_b32 v1, v6, 8, v1
	v_lshlrev_b32_e32 v2, 16, v2
	v_lshlrev_b32_e32 v6, 24, v25
	v_or3_b32 v9, v8, v9, v10
	v_or3_b32 v8, v1, v2, v6
	v_lshl_or_b32 v1, v22, 8, v7
	v_lshlrev_b32_e32 v2, 16, v24
	v_lshlrev_b32_e32 v6, 24, v31
	v_or3_b32 v10, v1, v2, v6
	v_lshlrev_b32_e32 v1, 24, v18
	v_lshlrev_b32_e32 v2, 16, v16
	v_lshl_or_b32 v3, v5, 8, v3
	v_or3_b32 v11, v3, v2, v1
	s_mov_b64 s[48:49], 0
	s_mov_b64 s[38:39], -1
.LBB2_5639:                             ;   Parent Loop BB2_47 Depth=1
                                        ;     Parent Loop BB2_3957 Depth=2
                                        ;       Parent Loop BB2_4850 Depth=3
                                        ; =>      This Inner Loop Header: Depth=4
	s_cmp_eq_u32 s48, 1
	s_cselect_b64 s[40:41], -1, 0
	v_cndmask_b32_e64 v2, v48, v41, s[40:41]
	v_cndmask_b32_e64 v1, v52, v40, s[40:41]
	global_store_dwordx4 v[1:2], v[8:11], off glc slc
	v_add_co_u32_e32 v1, vcc, 0x400, v1
	s_cmp_eq_u32 s48, 0
	v_addc_co_u32_e32 v2, vcc, 0, v2, vcc
	s_cselect_b64 vcc, -1, 0
	s_and_b64 s[42:43], exec, s[38:39]
	s_mov_b64 s[48:49], 1
	v_cndmask_b32_e64 v40, v40, v1, s[40:41]
	s_mov_b64 s[38:39], 0
	v_cndmask_b32_e64 v41, v41, v2, s[40:41]
	v_cndmask_b32_e32 v48, v48, v2, vcc
	v_cndmask_b32_e32 v52, v52, v1, vcc
	s_mov_b64 vcc, s[42:43]
	s_cbranch_vccnz .LBB2_5639
; %bb.5640:                             ;   in Loop: Header=BB2_4850 Depth=3
	buffer_load_dword v1, off, s[0:3], s33 offset:64 ; 4-byte Folded Reload
	buffer_load_dword v2, off, s[0:3], s33 offset:68 ; 4-byte Folded Reload
	v_sub_u32_e32 v51, v51, v15
	v_sub_u32_e32 v49, v49, v14
	s_waitcnt vmcnt(1)
	v_add_co_u32_e32 v42, vcc, v42, v1
	s_waitcnt vmcnt(0)
	v_addc_co_u32_e32 v43, vcc, v43, v2, vcc
	v_add_co_u32_e32 v44, vcc, v44, v1
	v_addc_co_u32_e32 v45, vcc, v45, v2, vcc
	buffer_load_dword v2, off, s[0:3], s33 offset:60 ; 4-byte Folded Reload
	v_add_u32_e32 v1, 0xfffffc00, v15
	v_add_co_u32_e32 v52, vcc, v52, v1
	s_waitcnt vmcnt(0)
	v_addc_co_u32_e32 v48, vcc, v48, v2, vcc
	v_add_co_u32_e32 v40, vcc, v40, v1
	v_addc_co_u32_e32 v41, vcc, v41, v2, vcc
	v_cmp_gt_i32_e32 vcc, 16, v51
	s_or_b64 s[36:37], vcc, s[36:37]
	s_andn2_b64 exec, exec, s[36:37]
	s_cbranch_execnz .LBB2_4850
	s_branch .LBB2_5661
.LBB2_5641:                             ;   in Loop: Header=BB2_4850 Depth=3
	s_or_saveexec_b64 s[42:43], s[42:43]
	v_bfrev_b32_e32 v1, 1
	s_xor_b64 exec, exec, s[42:43]
	s_cbranch_execz .LBB2_5220
.LBB2_5642:                             ;   in Loop: Header=BB2_4850 Depth=3
	v_cmp_ne_u16_sdwa vcc, v8, v29 src0_sel:BYTE_0 src1_sel:DWORD
	s_andn2_b64 s[40:41], s[40:41], exec
	s_and_b64 vcc, vcc, exec
	v_mov_b32_e32 v1, 0
	s_or_b64 s[40:41], s[40:41], vcc
	s_or_b64 exec, exec, s[42:43]
	s_and_saveexec_b64 s[42:43], s[40:41]
	s_cbranch_execnz .LBB2_5221
	s_branch .LBB2_5222
.LBB2_5643:                             ;   in Loop: Header=BB2_4850 Depth=3
	s_or_saveexec_b64 s[42:43], s[42:43]
	v_bfrev_b32_e32 v2, 1
	s_xor_b64 exec, exec, s[42:43]
	s_cbranch_execz .LBB2_5248
.LBB2_5644:                             ;   in Loop: Header=BB2_4850 Depth=3
	v_cmp_ne_u16_e32 vcc, 0, v46
	s_andn2_b64 s[40:41], s[40:41], exec
	s_and_b64 vcc, vcc, exec
	v_mov_b32_e32 v2, 0
	s_or_b64 s[40:41], s[40:41], vcc
	s_or_b64 exec, exec, s[42:43]
	s_and_saveexec_b64 s[42:43], s[40:41]
	s_cbranch_execnz .LBB2_5249
	s_branch .LBB2_5250
.LBB2_5645:                             ;   in Loop: Header=BB2_4850 Depth=3
	s_or_saveexec_b64 s[42:43], s[42:43]
	v_bfrev_b32_e32 v25, 1
	s_xor_b64 exec, exec, s[42:43]
	s_cbranch_execz .LBB2_5276
.LBB2_5646:                             ;   in Loop: Header=BB2_4850 Depth=3
	v_cmp_ne_u16_sdwa vcc, v30, v29 src0_sel:BYTE_0 src1_sel:DWORD
	s_andn2_b64 s[40:41], s[40:41], exec
	s_and_b64 vcc, vcc, exec
	v_mov_b32_e32 v25, 0
	s_or_b64 s[40:41], s[40:41], vcc
	s_or_b64 exec, exec, s[42:43]
	s_and_saveexec_b64 s[42:43], s[40:41]
	s_cbranch_execnz .LBB2_5277
	s_branch .LBB2_5278
.LBB2_5647:                             ;   in Loop: Header=BB2_4850 Depth=3
	s_or_saveexec_b64 s[42:43], s[42:43]
	v_bfrev_b32_e32 v30, 1
	s_xor_b64 exec, exec, s[42:43]
	s_cbranch_execz .LBB2_5356
.LBB2_5648:                             ;   in Loop: Header=BB2_4850 Depth=3
	v_cmp_ne_u16_e32 vcc, 0, v46
	s_andn2_b64 s[40:41], s[40:41], exec
	s_and_b64 vcc, vcc, exec
	v_mov_b32_e32 v30, 0
	s_or_b64 s[40:41], s[40:41], vcc
	s_or_b64 exec, exec, s[42:43]
	s_and_saveexec_b64 s[42:43], s[40:41]
	s_cbranch_execnz .LBB2_5357
	s_branch .LBB2_5358
.LBB2_5649:                             ;   in Loop: Header=BB2_4850 Depth=3
	s_or_saveexec_b64 s[42:43], s[42:43]
	v_bfrev_b32_e32 v34, 1
	s_xor_b64 exec, exec, s[42:43]
	s_cbranch_execz .LBB2_5384
.LBB2_5650:                             ;   in Loop: Header=BB2_4850 Depth=3
	v_cmp_ne_u16_sdwa vcc, v30, v29 src0_sel:BYTE_0 src1_sel:DWORD
	s_andn2_b64 s[40:41], s[40:41], exec
	s_and_b64 vcc, vcc, exec
	v_mov_b32_e32 v34, 0
	s_or_b64 s[40:41], s[40:41], vcc
	s_or_b64 exec, exec, s[42:43]
	s_and_saveexec_b64 s[42:43], s[40:41]
	s_cbranch_execnz .LBB2_5385
	s_branch .LBB2_5386
.LBB2_5651:                             ;   in Loop: Header=BB2_4850 Depth=3
	s_or_saveexec_b64 s[42:43], s[42:43]
	v_bfrev_b32_e32 v7, 1
	s_xor_b64 exec, exec, s[42:43]
	s_cbranch_execz .LBB2_5434
.LBB2_5652:                             ;   in Loop: Header=BB2_4850 Depth=3
	v_cmp_ne_u16_sdwa vcc, v10, v29 src0_sel:BYTE_0 src1_sel:DWORD
	s_andn2_b64 s[40:41], s[40:41], exec
	s_and_b64 vcc, vcc, exec
	v_mov_b32_e32 v7, 0
	s_or_b64 s[40:41], s[40:41], vcc
	s_or_b64 exec, exec, s[42:43]
	s_and_saveexec_b64 s[42:43], s[40:41]
	s_cbranch_execnz .LBB2_5435
	s_branch .LBB2_5436
.LBB2_5653:                             ;   in Loop: Header=BB2_4850 Depth=3
	s_or_saveexec_b64 s[42:43], s[42:43]
	v_bfrev_b32_e32 v9, 1
	s_xor_b64 exec, exec, s[42:43]
	s_cbranch_execz .LBB2_5462
.LBB2_5654:                             ;   in Loop: Header=BB2_4850 Depth=3
	v_cmp_ne_u16_e32 vcc, 0, v8
	s_andn2_b64 s[40:41], s[40:41], exec
	s_and_b64 vcc, vcc, exec
	v_mov_b32_e32 v9, 0
	s_or_b64 s[40:41], s[40:41], vcc
	s_or_b64 exec, exec, s[42:43]
	s_and_saveexec_b64 s[42:43], s[40:41]
	s_cbranch_execnz .LBB2_5463
	s_branch .LBB2_5464
.LBB2_5655:                             ;   in Loop: Header=BB2_4850 Depth=3
	s_or_saveexec_b64 s[42:43], s[42:43]
	v_bfrev_b32_e32 v24, 1
	s_xor_b64 exec, exec, s[42:43]
	s_cbranch_execz .LBB2_5490
.LBB2_5656:                             ;   in Loop: Header=BB2_4850 Depth=3
	v_cmp_ne_u16_sdwa vcc, v8, v29 src0_sel:BYTE_0 src1_sel:DWORD
	s_andn2_b64 s[40:41], s[40:41], exec
	s_and_b64 vcc, vcc, exec
	v_mov_b32_e32 v24, 0
	s_or_b64 s[40:41], s[40:41], vcc
	s_or_b64 exec, exec, s[42:43]
	s_and_saveexec_b64 s[42:43], s[40:41]
	s_cbranch_execnz .LBB2_5491
	s_branch .LBB2_5492
.LBB2_5657:                             ;   in Loop: Header=BB2_4850 Depth=3
	s_or_saveexec_b64 s[42:43], s[42:43]
	v_bfrev_b32_e32 v5, 1
	s_xor_b64 exec, exec, s[42:43]
	s_cbranch_execz .LBB2_5570
.LBB2_5658:                             ;   in Loop: Header=BB2_4850 Depth=3
	v_cmp_ne_u16_e32 vcc, 0, v8
	s_andn2_b64 s[40:41], s[40:41], exec
	s_and_b64 vcc, vcc, exec
	v_mov_b32_e32 v5, 0
	s_or_b64 s[40:41], s[40:41], vcc
	s_or_b64 exec, exec, s[42:43]
	s_and_saveexec_b64 s[42:43], s[40:41]
	s_cbranch_execnz .LBB2_5571
	s_branch .LBB2_5572
.LBB2_5659:                             ;   in Loop: Header=BB2_4850 Depth=3
	s_or_saveexec_b64 s[42:43], s[42:43]
	v_bfrev_b32_e32 v16, 1
	s_xor_b64 exec, exec, s[42:43]
	s_cbranch_execz .LBB2_5598
.LBB2_5660:                             ;   in Loop: Header=BB2_4850 Depth=3
	v_cmp_ne_u16_sdwa vcc, v8, v29 src0_sel:BYTE_0 src1_sel:DWORD
	s_andn2_b64 s[40:41], s[40:41], exec
	s_and_b64 vcc, vcc, exec
	v_mov_b32_e32 v16, 0
	s_or_b64 s[40:41], s[40:41], vcc
	s_or_b64 exec, exec, s[42:43]
	s_and_saveexec_b64 s[42:43], s[40:41]
	s_cbranch_execnz .LBB2_5599
	s_branch .LBB2_5600
.LBB2_5661:                             ;   in Loop: Header=BB2_3957 Depth=2
	s_or_b64 exec, exec, s[36:37]
	buffer_load_dword v10, off, s[0:3], s33 offset:196 ; 4-byte Folded Reload
	buffer_load_dword v11, off, s[0:3], s33 offset:200 ; 4-byte Folded Reload
	;; [unrolled: 1-line block ×7, first 2 shown]
.LBB2_5662:                             ;   in Loop: Header=BB2_3957 Depth=2
	s_or_b64 exec, exec, s[34:35]
	s_waitcnt vmcnt(4)
	v_and_b32_e32 v1, 15, v5
	v_cmp_lt_i32_e32 vcc, 0, v49
	s_waitcnt vmcnt(0)
	v_sub_u32_e32 v0, v9, v1
	v_cndmask_b32_e64 v1, v9, v1, s[28:29]
	v_cndmask_b32_e32 v2, 0, v14, vcc
	v_cndmask_b32_e64 v0, 0, v0, s[28:29]
	v_sub_u32_e32 v2, v2, v49
	v_cmp_ne_u32_e32 vcc, 0, v1
	v_add3_u32 v0, v8, v6, v0
	v_lshl_add_u32 v18, v2, 6, v7
	s_and_b64 s[40:41], vcc, exec
.LBB2_5663:                             ;   in Loop: Header=BB2_3957 Depth=2
	s_or_b64 exec, exec, s[30:31]
	s_and_saveexec_b64 s[42:43], s[40:41]
	s_cbranch_execz .LBB2_6206
.LBB2_5664:                             ;   in Loop: Header=BB2_3957 Depth=2
	s_waitcnt vmcnt(0)
	v_ashrrev_i32_e32 v2, 31, v18
	v_ashrrev_i32_e32 v3, 31, v1
	v_lshrrev_b32_e32 v2, 26, v2
	v_lshrrev_b32_e32 v3, 23, v3
	v_add_u32_e32 v2, v18, v2
	v_add_u32_e32 v3, v1, v3
	v_ashrrev_i32_e32 v19, 6, v2
	v_ashrrev_i32_e32 v25, 9, v3
	v_sub_u32_e32 v24, v25, v19
	v_cmp_lt_i32_e32 vcc, 0, v24
	s_and_saveexec_b64 s[40:41], vcc
	s_cbranch_execz .LBB2_6137
; %bb.5665:                             ;   in Loop: Header=BB2_3957 Depth=2
	v_and_b32_e32 v2, 0xffffffc0, v2
	v_sub_u32_e32 v2, v18, v2
	v_lshlrev_b32_e32 v3, 9, v19
	v_add3_u32 v5, v0, v2, v3
	buffer_load_dword v2, off, s[0:3], s33 offset:140 ; 4-byte Folded Reload
	buffer_load_dword v3, off, s[0:3], s33 offset:144 ; 4-byte Folded Reload
	v_ashrrev_i32_e32 v6, 31, v5
	s_trap 2
	s_mov_b64 s[30:31], 0
	s_waitcnt vmcnt(1)
	v_add_co_u32_e32 v8, vcc, v5, v2
	s_waitcnt vmcnt(0)
	v_addc_co_u32_e32 v9, vcc, v6, v3, vcc
	ds_read_b64 v[2:3], v0
	buffer_load_dword v22, off, s[0:3], s33 offset:156 ; 4-byte Folded Reload
	buffer_load_dword v23, off, s[0:3], s33 offset:160 ; 4-byte Folded Reload
	v_add_co_u32_e32 v10, vcc, v5, v10
	v_addc_co_u32_e32 v11, vcc, v6, v11, vcc
	s_waitcnt vmcnt(1)
	v_add_co_u32_e32 v40, vcc, v5, v22
	s_waitcnt vmcnt(0)
	v_addc_co_u32_e32 v41, vcc, v6, v23, vcc
	s_waitcnt lgkmcnt(0)
	v_add_co_u32_e32 v42, vcc, v2, v5
	v_addc_co_u32_e32 v43, vcc, v3, v6, vcc
	s_branch .LBB2_5667
.LBB2_5666:                             ;   in Loop: Header=BB2_5667 Depth=3
	s_or_b64 exec, exec, s[28:29]
	v_add_co_u32_e32 v40, vcc, v40, v32
	v_addc_co_u32_e32 v41, vcc, 0, v41, vcc
	v_add_co_u32_e32 v42, vcc, v42, v32
	v_addc_co_u32_e32 v43, vcc, 0, v43, vcc
	flat_store_byte v[8:9], v5 glc slc
	flat_store_byte v[8:9], v30 offset:64 glc slc
	flat_store_byte v[8:9], v23 offset:128 glc slc
	;; [unrolled: 1-line block ×7, first 2 shown]
	flat_store_byte v[10:11], v5 glc slc
	flat_store_byte v[10:11], v30 offset:64 glc slc
	flat_store_byte v[10:11], v23 offset:128 glc slc
	;; [unrolled: 1-line block ×7, first 2 shown]
	v_add_co_u32_e32 v8, vcc, v8, v32
	v_addc_co_u32_e32 v9, vcc, 0, v9, vcc
	v_sub_u32_e32 v24, v24, v14
	v_cmp_gt_i32_e32 vcc, 1, v24
	s_or_b64 s[30:31], vcc, s[30:31]
	v_add_co_u32_e32 v10, vcc, v10, v32
	v_addc_co_u32_e32 v11, vcc, 0, v11, vcc
	s_andn2_b64 exec, exec, s[30:31]
	s_cbranch_execz .LBB2_6136
.LBB2_5667:                             ;   Parent Loop BB2_47 Depth=1
                                        ;     Parent Loop BB2_3957 Depth=2
                                        ; =>    This Inner Loop Header: Depth=3
	s_trap 2
	ds_read_b64 v[44:45], v0
	s_waitcnt lgkmcnt(0)
	v_cmp_eq_u32_sdwa s[44:45], v44, v29 src0_sel:BYTE_0 src1_sel:DWORD
	v_readfirstlane_b32 s28, v44
	v_readfirstlane_b32 s29, v45
	s_and_b64 vcc, exec, s[44:45]
	s_cbranch_vccnz .LBB2_5671
; %bb.5668:                             ;   in Loop: Header=BB2_5667 Depth=3
	v_cmp_eq_u32_sdwa vcc, v44, s87 src0_sel:BYTE_0 src1_sel:DWORD
	s_brev_b32 s44, 1
	s_and_b64 vcc, exec, vcc
	s_cbranch_vccnz .LBB2_5672
; %bb.5669:                             ;   in Loop: Header=BB2_5667 Depth=3
	s_and_b32 s45, s28, 0x7f
	s_cmpk_eq_i32 s45, 0x7f
	s_mov_b32 s44, 0x7f800001
	s_cbranch_scc1 .LBB2_5672
; %bb.5670:                             ;   in Loop: Header=BB2_5667 Depth=3
	s_and_b32 s44, s28, 7
	s_flbit_i32_b32 s44, s44
	s_min_u32 s44, s44, 32
	s_lshr_b32 vcc_lo, s45, 3
	s_sub_i32 vcc_hi, s44, 28
	s_sub_i32 s44, 29, s44
	s_cmp_lt_u32 s45, 8
	s_cselect_b32 vcc_lo, s44, vcc_lo
	s_cselect_b32 s44, vcc_hi, 0
	s_lshl_b64 s[44:45], s[28:29], s44
	s_lshl_b32 s29, s44, 20
	s_lshl_b32 s28, s28, 24
	s_lshl_b32 s44, vcc_lo, 23
	s_and_b32 s28, s28, 0x80000000
	s_add_i32 s44, s44, 0x3c000000
	s_and_b32 s29, s29, 0x700000
	s_or_b32 s28, s28, s44
	s_or_b32 s44, s28, s29
	s_branch .LBB2_5672
.LBB2_5671:                             ;   in Loop: Header=BB2_5667 Depth=3
	s_mov_b32 s44, 0
.LBB2_5672:                             ;   in Loop: Header=BB2_5667 Depth=3
	flat_load_ubyte v2, v[40:41] glc slc
	v_mov_b32_e32 v3, 0
	s_waitcnt vmcnt(0) lgkmcnt(0)
	v_cmp_ne_u16_e32 vcc, 0, v2
	s_and_saveexec_b64 s[28:29], vcc
	s_cbranch_execz .LBB2_5678
; %bb.5673:                             ;   in Loop: Header=BB2_5667 Depth=3
	v_cmp_ne_u16_e32 vcc, s87, v2
	v_bfrev_b32_e32 v3, 1
	s_and_saveexec_b64 s[34:35], vcc
	s_cbranch_execz .LBB2_5677
; %bb.5674:                             ;   in Loop: Header=BB2_5667 Depth=3
	v_and_b32_e32 v28, 0xffff, v2
	v_and_b32_e32 v5, 0x7f, v28
	v_cmp_ne_u32_e32 vcc, s85, v5
	v_mov_b32_e32 v3, 0x7f800001
	s_and_saveexec_b64 s[36:37], vcc
	s_cbranch_execz .LBB2_5676
; %bb.5675:                             ;   in Loop: Header=BB2_5667 Depth=3
	v_and_b32_e32 v3, 7, v28
	v_lshrrev_b32_e32 v7, 3, v5
	v_cmp_gt_u32_e32 vcc, 8, v5
	v_ffbh_u32_e32 v5, v3
	v_min_u32_e32 v16, 32, v5
	v_subrev_u32_e32 v5, 28, v16
	v_lshlrev_b64 v[5:6], v5, v[28:29]
	v_sub_u32_e32 v6, 29, v16
	v_and_b32_e32 v5, 7, v5
	v_cndmask_b32_e32 v6, v7, v6, vcc
	v_cndmask_b32_e32 v3, v3, v5, vcc
	v_lshlrev_b32_e32 v2, 24, v2
	v_lshlrev_b32_e32 v3, 20, v3
	v_and_b32_e32 v2, 0x80000000, v2
	v_lshl_add_u32 v5, v6, 23, v17
	v_or3_b32 v3, v2, v5, v3
.LBB2_5676:                             ;   in Loop: Header=BB2_5667 Depth=3
	s_or_b64 exec, exec, s[36:37]
.LBB2_5677:                             ;   in Loop: Header=BB2_5667 Depth=3
	s_or_b64 exec, exec, s[34:35]
.LBB2_5678:                             ;   in Loop: Header=BB2_5667 Depth=3
	s_or_b64 exec, exec, s[28:29]
	v_mul_f32_e32 v3, s44, v3
	v_and_b32_e32 v28, 0x7f800000, v3
	v_cmp_ne_u64_e32 vcc, s[76:77], v[28:29]
                                        ; implicit-def: $vgpr5
	s_and_saveexec_b64 s[28:29], vcc
	s_xor_b64 s[34:35], exec, s[28:29]
	s_cbranch_execz .LBB2_5696
; %bb.5679:                             ;   in Loop: Header=BB2_5667 Depth=3
	v_and_b32_e32 v28, 0x7fffffff, v3
	v_cmp_gt_u64_e32 vcc, s[78:79], v[28:29]
	v_and_b32_sdwa v2, v3, s87 dst_sel:DWORD dst_unused:UNUSED_PAD src0_sel:BYTE_3 src1_sel:DWORD
                                        ; implicit-def: $vgpr5
	s_and_saveexec_b64 s[28:29], vcc
	s_xor_b64 s[36:37], exec, s[28:29]
	s_cbranch_execz .LBB2_5693
; %bb.5680:                             ;   in Loop: Header=BB2_5667 Depth=3
	v_cmp_ne_u32_e32 vcc, 0, v3
	v_mov_b32_e32 v5, 0
	s_and_saveexec_b64 s[38:39], vcc
	s_cbranch_execz .LBB2_5692
; %bb.5681:                             ;   in Loop: Header=BB2_5667 Depth=3
	v_and_b32_e32 v6, 0x7fffff, v3
	v_bfe_u32 v3, v3, 23, 8
	v_cmp_gt_u32_e64 s[28:29], s96, v3
	v_sub_u32_e32 v5, 0x79, v3
	v_cmp_eq_u32_e32 vcc, 0, v3
	v_cndmask_b32_e64 v5, 0, v5, s[28:29]
	v_or_b32_e32 v7, 0x800000, v6
	v_cndmask_b32_e32 v5, v5, v36, vcc
	v_cndmask_b32_e32 v28, v7, v6, vcc
	v_add_u32_e32 v6, 20, v5
	v_lshlrev_b64 v[6:7], v6, -1
	v_add_u32_e32 v16, 19, v5
	v_lshlrev_b64 v[22:23], v16, 1
	v_lshrrev_b64 v[44:45], v5, v[28:29]
	v_bfi_b32 v7, v7, 0, 0
	v_bfi_b32 v6, v6, 0, v28
	v_cmp_eq_u64_e64 s[28:29], v[6:7], v[22:23]
	v_mov_b32_e32 v46, v45
	v_mov_b32_e32 v45, v44
	s_and_saveexec_b64 s[48:49], s[28:29]
; %bb.5682:                             ;   in Loop: Header=BB2_5667 Depth=3
	v_bfe_u32 v6, v44, 20, 1
	v_add_co_u32_e64 v6, s[28:29], v44, v6
	v_add_co_u32_e64 v45, s[28:29], -1, v6
; %bb.5683:                             ;   in Loop: Header=BB2_5667 Depth=3
	s_or_b64 exec, exec, s[48:49]
	v_add_u32_e32 v3, 0xffffff81, v3
	v_cndmask_b32_e32 v3, v3, v37, vcc
	v_lshrrev_b32_e32 v6, 23, v44
	v_add3_u32 v6, v5, v3, v6
	v_add_u32_e32 v5, 6, v6
	v_and_b32_e32 v3, 0xfffff, v45
	v_add_u32_e32 v28, v3, v44
	v_cmp_ne_u32_e32 vcc, 0, v5
                                        ; implicit-def: $vgpr44_vgpr45
                                        ; implicit-def: $vgpr3
	s_and_saveexec_b64 s[28:29], vcc
	s_xor_b64 s[28:29], exec, s[28:29]
; %bb.5684:                             ;   in Loop: Header=BB2_5667 Depth=3
	v_cmp_lt_u64_e32 vcc, s[88:89], v[28:29]
	v_add_u32_e32 v3, 7, v6
	v_cndmask_b32_e32 v3, v5, v3, vcc
	v_cndmask_b32_e64 v5, 0, 1, vcc
	v_lshrrev_b64 v[44:45], v5, v[28:29]
; %bb.5685:                             ;   in Loop: Header=BB2_5667 Depth=3
	s_andn2_saveexec_b64 s[28:29], s[28:29]
; %bb.5686:                             ;   in Loop: Header=BB2_5667 Depth=3
	v_mov_b32_e32 v45, v29
	v_mov_b32_e32 v44, v28
	v_bfe_u32 v3, v28, 23, 1
; %bb.5687:                             ;   in Loop: Header=BB2_5667 Depth=3
	s_or_b64 exec, exec, s[28:29]
	v_lshrrev_b64 v[5:6], 20, v[44:45]
	v_cmp_gt_i32_e32 vcc, 16, v3
	v_cndmask_b32_e32 v45, 0, v6, vcc
	v_cndmask_b32_e32 v44, 7, v5, vcc
	v_cmp_ne_u64_e32 vcc, 0, v[44:45]
	v_cmp_ne_u32_e64 s[28:29], 0, v3
	s_or_b64 s[28:29], s[28:29], vcc
                                        ; implicit-def: $vgpr5
	s_and_saveexec_b64 vcc, s[28:29]
	s_xor_b64 s[28:29], exec, vcc
; %bb.5688:                             ;   in Loop: Header=BB2_5667 Depth=3
	v_min_i32_e32 v3, 15, v3
	v_lshl_or_b32 v2, v3, 3, v2
	v_and_or_b32 v5, v44, 7, v2
                                        ; implicit-def: $vgpr2
; %bb.5689:                             ;   in Loop: Header=BB2_5667 Depth=3
	s_andn2_saveexec_b64 s[28:29], s[28:29]
; %bb.5690:                             ;   in Loop: Header=BB2_5667 Depth=3
	v_mov_b32_e32 v5, v2
; %bb.5691:                             ;   in Loop: Header=BB2_5667 Depth=3
	s_or_b64 exec, exec, s[28:29]
.LBB2_5692:                             ;   in Loop: Header=BB2_5667 Depth=3
	s_or_b64 exec, exec, s[38:39]
                                        ; implicit-def: $vgpr2
.LBB2_5693:                             ;   in Loop: Header=BB2_5667 Depth=3
	s_andn2_saveexec_b64 s[28:29], s[36:37]
; %bb.5694:                             ;   in Loop: Header=BB2_5667 Depth=3
	v_or_b32_e32 v5, 0x7e, v2
; %bb.5695:                             ;   in Loop: Header=BB2_5667 Depth=3
	s_or_b64 exec, exec, s[28:29]
                                        ; implicit-def: $vgpr3
.LBB2_5696:                             ;   in Loop: Header=BB2_5667 Depth=3
	s_andn2_saveexec_b64 s[28:29], s[34:35]
; %bb.5697:                             ;   in Loop: Header=BB2_5667 Depth=3
	v_or_b32_sdwa v5, v3, s85 dst_sel:DWORD dst_unused:UNUSED_PAD src0_sel:BYTE_3 src1_sel:DWORD
; %bb.5698:                             ;   in Loop: Header=BB2_5667 Depth=3
	s_or_b64 exec, exec, s[28:29]
	flat_load_ubyte v2, v[40:41] offset:64 glc slc
	v_mov_b32_e32 v3, 0
	s_waitcnt vmcnt(0) lgkmcnt(0)
	v_cmp_ne_u16_e32 vcc, 0, v2
	s_and_saveexec_b64 s[28:29], vcc
	s_cbranch_execz .LBB2_5704
; %bb.5699:                             ;   in Loop: Header=BB2_5667 Depth=3
	v_cmp_ne_u16_e32 vcc, s87, v2
	v_bfrev_b32_e32 v3, 1
	s_and_saveexec_b64 s[34:35], vcc
	s_cbranch_execz .LBB2_5703
; %bb.5700:                             ;   in Loop: Header=BB2_5667 Depth=3
	v_and_b32_e32 v28, 0xffff, v2
	v_and_b32_e32 v6, 0x7f, v28
	v_cmp_ne_u32_e32 vcc, s85, v6
	v_mov_b32_e32 v3, 0x7f800001
	s_and_saveexec_b64 s[36:37], vcc
	s_cbranch_execz .LBB2_5702
; %bb.5701:                             ;   in Loop: Header=BB2_5667 Depth=3
	v_and_b32_e32 v3, 7, v28
	v_lshrrev_b32_e32 v16, 3, v6
	v_cmp_gt_u32_e32 vcc, 8, v6
	v_ffbh_u32_e32 v6, v3
	v_min_u32_e32 v22, 32, v6
	v_subrev_u32_e32 v6, 28, v22
	v_lshlrev_b64 v[6:7], v6, v[28:29]
	v_sub_u32_e32 v7, 29, v22
	v_and_b32_e32 v6, 7, v6
	v_cndmask_b32_e32 v7, v16, v7, vcc
	v_cndmask_b32_e32 v3, v3, v6, vcc
	v_lshlrev_b32_e32 v2, 24, v2
	v_lshlrev_b32_e32 v3, 20, v3
	v_and_b32_e32 v2, 0x80000000, v2
	v_lshl_add_u32 v6, v7, 23, v17
	v_or3_b32 v3, v2, v6, v3
.LBB2_5702:                             ;   in Loop: Header=BB2_5667 Depth=3
	s_or_b64 exec, exec, s[36:37]
.LBB2_5703:                             ;   in Loop: Header=BB2_5667 Depth=3
	s_or_b64 exec, exec, s[34:35]
.LBB2_5704:                             ;   in Loop: Header=BB2_5667 Depth=3
	s_or_b64 exec, exec, s[28:29]
	v_mul_f32_e32 v3, s44, v3
	v_and_b32_e32 v28, 0x7f800000, v3
	v_cmp_ne_u64_e32 vcc, s[76:77], v[28:29]
                                        ; implicit-def: $vgpr30
	s_and_saveexec_b64 s[28:29], vcc
	s_xor_b64 s[34:35], exec, s[28:29]
	s_cbranch_execz .LBB2_5722
; %bb.5705:                             ;   in Loop: Header=BB2_5667 Depth=3
	v_and_b32_e32 v28, 0x7fffffff, v3
	v_cmp_gt_u64_e32 vcc, s[78:79], v[28:29]
	v_and_b32_sdwa v2, v3, s87 dst_sel:DWORD dst_unused:UNUSED_PAD src0_sel:BYTE_3 src1_sel:DWORD
                                        ; implicit-def: $vgpr30
	s_and_saveexec_b64 s[28:29], vcc
	s_xor_b64 s[36:37], exec, s[28:29]
	s_cbranch_execz .LBB2_5719
; %bb.5706:                             ;   in Loop: Header=BB2_5667 Depth=3
	v_cmp_ne_u32_e32 vcc, 0, v3
	v_mov_b32_e32 v30, 0
	s_and_saveexec_b64 s[38:39], vcc
	s_cbranch_execz .LBB2_5718
; %bb.5707:                             ;   in Loop: Header=BB2_5667 Depth=3
	v_and_b32_e32 v7, 0x7fffff, v3
	v_bfe_u32 v3, v3, 23, 8
	v_cmp_gt_u32_e64 s[28:29], s96, v3
	v_sub_u32_e32 v6, 0x79, v3
	v_cmp_eq_u32_e32 vcc, 0, v3
	v_cndmask_b32_e64 v6, 0, v6, s[28:29]
	v_or_b32_e32 v16, 0x800000, v7
	v_cndmask_b32_e32 v6, v6, v36, vcc
	v_cndmask_b32_e32 v28, v16, v7, vcc
	v_add_u32_e32 v7, 20, v6
	v_lshlrev_b64 v[22:23], v7, -1
	v_add_u32_e32 v7, 19, v6
	v_lshlrev_b64 v[30:31], v7, 1
	v_lshrrev_b64 v[44:45], v6, v[28:29]
	v_bfi_b32 v23, v23, 0, 0
	v_bfi_b32 v22, v22, 0, v28
	v_cmp_eq_u64_e64 s[28:29], v[22:23], v[30:31]
	v_mov_b32_e32 v46, v45
	v_mov_b32_e32 v45, v44
	s_and_saveexec_b64 s[48:49], s[28:29]
; %bb.5708:                             ;   in Loop: Header=BB2_5667 Depth=3
	v_bfe_u32 v7, v44, 20, 1
	v_add_co_u32_e64 v7, s[28:29], v44, v7
	v_add_co_u32_e64 v45, s[28:29], -1, v7
; %bb.5709:                             ;   in Loop: Header=BB2_5667 Depth=3
	s_or_b64 exec, exec, s[48:49]
	v_add_u32_e32 v3, 0xffffff81, v3
	v_cndmask_b32_e32 v3, v3, v37, vcc
	v_lshrrev_b32_e32 v7, 23, v44
	v_add3_u32 v7, v6, v3, v7
	v_add_u32_e32 v6, 6, v7
	v_and_b32_e32 v3, 0xfffff, v45
	v_add_u32_e32 v28, v3, v44
	v_cmp_ne_u32_e32 vcc, 0, v6
                                        ; implicit-def: $vgpr44_vgpr45
                                        ; implicit-def: $vgpr3
	s_and_saveexec_b64 s[28:29], vcc
	s_xor_b64 s[28:29], exec, s[28:29]
; %bb.5710:                             ;   in Loop: Header=BB2_5667 Depth=3
	v_cmp_lt_u64_e32 vcc, s[88:89], v[28:29]
	v_add_u32_e32 v3, 7, v7
	v_cndmask_b32_e32 v3, v6, v3, vcc
	v_cndmask_b32_e64 v6, 0, 1, vcc
	v_lshrrev_b64 v[44:45], v6, v[28:29]
; %bb.5711:                             ;   in Loop: Header=BB2_5667 Depth=3
	s_andn2_saveexec_b64 s[28:29], s[28:29]
; %bb.5712:                             ;   in Loop: Header=BB2_5667 Depth=3
	v_mov_b32_e32 v45, v29
	v_mov_b32_e32 v44, v28
	v_bfe_u32 v3, v28, 23, 1
; %bb.5713:                             ;   in Loop: Header=BB2_5667 Depth=3
	s_or_b64 exec, exec, s[28:29]
	v_lshrrev_b64 v[6:7], 20, v[44:45]
	v_cmp_gt_i32_e32 vcc, 16, v3
	v_cndmask_b32_e32 v45, 0, v7, vcc
	v_cndmask_b32_e32 v44, 7, v6, vcc
	v_cmp_ne_u64_e32 vcc, 0, v[44:45]
	v_cmp_ne_u32_e64 s[28:29], 0, v3
	s_or_b64 s[28:29], s[28:29], vcc
                                        ; implicit-def: $vgpr30
	s_and_saveexec_b64 vcc, s[28:29]
	s_xor_b64 s[28:29], exec, vcc
; %bb.5714:                             ;   in Loop: Header=BB2_5667 Depth=3
	v_min_i32_e32 v3, 15, v3
	v_lshl_or_b32 v2, v3, 3, v2
	v_and_or_b32 v30, v44, 7, v2
                                        ; implicit-def: $vgpr2
; %bb.5715:                             ;   in Loop: Header=BB2_5667 Depth=3
	s_andn2_saveexec_b64 s[28:29], s[28:29]
; %bb.5716:                             ;   in Loop: Header=BB2_5667 Depth=3
	v_mov_b32_e32 v30, v2
; %bb.5717:                             ;   in Loop: Header=BB2_5667 Depth=3
	s_or_b64 exec, exec, s[28:29]
.LBB2_5718:                             ;   in Loop: Header=BB2_5667 Depth=3
	s_or_b64 exec, exec, s[38:39]
                                        ; implicit-def: $vgpr2
.LBB2_5719:                             ;   in Loop: Header=BB2_5667 Depth=3
	s_andn2_saveexec_b64 s[28:29], s[36:37]
; %bb.5720:                             ;   in Loop: Header=BB2_5667 Depth=3
	v_or_b32_e32 v30, 0x7e, v2
; %bb.5721:                             ;   in Loop: Header=BB2_5667 Depth=3
	s_or_b64 exec, exec, s[28:29]
                                        ; implicit-def: $vgpr3
.LBB2_5722:                             ;   in Loop: Header=BB2_5667 Depth=3
	s_andn2_saveexec_b64 s[28:29], s[34:35]
; %bb.5723:                             ;   in Loop: Header=BB2_5667 Depth=3
	v_or_b32_sdwa v30, v3, s85 dst_sel:DWORD dst_unused:UNUSED_PAD src0_sel:BYTE_3 src1_sel:DWORD
; %bb.5724:                             ;   in Loop: Header=BB2_5667 Depth=3
	s_or_b64 exec, exec, s[28:29]
	flat_load_ubyte v2, v[40:41] offset:128 glc slc
	v_mov_b32_e32 v3, 0
	s_waitcnt vmcnt(0) lgkmcnt(0)
	v_cmp_ne_u16_e32 vcc, 0, v2
	s_and_saveexec_b64 s[28:29], vcc
	s_cbranch_execz .LBB2_5730
; %bb.5725:                             ;   in Loop: Header=BB2_5667 Depth=3
	v_cmp_ne_u16_e32 vcc, s87, v2
	v_bfrev_b32_e32 v3, 1
	s_and_saveexec_b64 s[34:35], vcc
	s_cbranch_execz .LBB2_5729
; %bb.5726:                             ;   in Loop: Header=BB2_5667 Depth=3
	v_and_b32_e32 v28, 0xffff, v2
	v_and_b32_e32 v6, 0x7f, v28
	v_cmp_ne_u32_e32 vcc, s85, v6
	v_mov_b32_e32 v3, 0x7f800001
	s_and_saveexec_b64 s[36:37], vcc
	s_cbranch_execz .LBB2_5728
; %bb.5727:                             ;   in Loop: Header=BB2_5667 Depth=3
	v_and_b32_e32 v3, 7, v28
	v_lshrrev_b32_e32 v16, 3, v6
	v_cmp_gt_u32_e32 vcc, 8, v6
	v_ffbh_u32_e32 v6, v3
	v_min_u32_e32 v22, 32, v6
	v_subrev_u32_e32 v6, 28, v22
	v_lshlrev_b64 v[6:7], v6, v[28:29]
	v_sub_u32_e32 v7, 29, v22
	v_and_b32_e32 v6, 7, v6
	v_cndmask_b32_e32 v7, v16, v7, vcc
	v_cndmask_b32_e32 v3, v3, v6, vcc
	v_lshlrev_b32_e32 v2, 24, v2
	v_lshlrev_b32_e32 v3, 20, v3
	v_and_b32_e32 v2, 0x80000000, v2
	v_lshl_add_u32 v6, v7, 23, v17
	v_or3_b32 v3, v2, v6, v3
.LBB2_5728:                             ;   in Loop: Header=BB2_5667 Depth=3
	s_or_b64 exec, exec, s[36:37]
.LBB2_5729:                             ;   in Loop: Header=BB2_5667 Depth=3
	s_or_b64 exec, exec, s[34:35]
.LBB2_5730:                             ;   in Loop: Header=BB2_5667 Depth=3
	s_or_b64 exec, exec, s[28:29]
	v_mul_f32_e32 v3, s44, v3
	v_and_b32_e32 v28, 0x7f800000, v3
	v_cmp_ne_u64_e32 vcc, s[76:77], v[28:29]
                                        ; implicit-def: $vgpr23
	s_and_saveexec_b64 s[28:29], vcc
	s_xor_b64 s[34:35], exec, s[28:29]
	s_cbranch_execz .LBB2_5748
; %bb.5731:                             ;   in Loop: Header=BB2_5667 Depth=3
	v_and_b32_e32 v28, 0x7fffffff, v3
	v_cmp_gt_u64_e32 vcc, s[78:79], v[28:29]
	v_and_b32_sdwa v2, v3, s87 dst_sel:DWORD dst_unused:UNUSED_PAD src0_sel:BYTE_3 src1_sel:DWORD
                                        ; implicit-def: $vgpr23
	s_and_saveexec_b64 s[28:29], vcc
	s_xor_b64 s[36:37], exec, s[28:29]
	s_cbranch_execz .LBB2_5745
; %bb.5732:                             ;   in Loop: Header=BB2_5667 Depth=3
	v_cmp_ne_u32_e32 vcc, 0, v3
	v_mov_b32_e32 v23, 0
	s_and_saveexec_b64 s[38:39], vcc
	s_cbranch_execz .LBB2_5744
; %bb.5733:                             ;   in Loop: Header=BB2_5667 Depth=3
	v_and_b32_e32 v7, 0x7fffff, v3
	v_bfe_u32 v3, v3, 23, 8
	v_cmp_gt_u32_e64 s[28:29], s96, v3
	v_sub_u32_e32 v6, 0x79, v3
	v_cmp_eq_u32_e32 vcc, 0, v3
	v_cndmask_b32_e64 v6, 0, v6, s[28:29]
	v_or_b32_e32 v16, 0x800000, v7
	v_cndmask_b32_e32 v6, v6, v36, vcc
	v_cndmask_b32_e32 v28, v16, v7, vcc
	v_add_u32_e32 v7, 20, v6
	v_lshlrev_b64 v[22:23], v7, -1
	v_add_u32_e32 v7, 19, v6
	v_lshlrev_b64 v[33:34], v7, 1
	v_lshrrev_b64 v[44:45], v6, v[28:29]
	v_bfi_b32 v23, v23, 0, 0
	v_bfi_b32 v22, v22, 0, v28
	v_cmp_eq_u64_e64 s[28:29], v[22:23], v[33:34]
	v_mov_b32_e32 v46, v45
	v_mov_b32_e32 v45, v44
	s_and_saveexec_b64 s[48:49], s[28:29]
; %bb.5734:                             ;   in Loop: Header=BB2_5667 Depth=3
	v_bfe_u32 v7, v44, 20, 1
	v_add_co_u32_e64 v7, s[28:29], v44, v7
	v_add_co_u32_e64 v45, s[28:29], -1, v7
; %bb.5735:                             ;   in Loop: Header=BB2_5667 Depth=3
	s_or_b64 exec, exec, s[48:49]
	v_add_u32_e32 v3, 0xffffff81, v3
	v_cndmask_b32_e32 v3, v3, v37, vcc
	v_lshrrev_b32_e32 v7, 23, v44
	v_add3_u32 v7, v6, v3, v7
	v_add_u32_e32 v6, 6, v7
	v_and_b32_e32 v3, 0xfffff, v45
	v_add_u32_e32 v28, v3, v44
	v_cmp_ne_u32_e32 vcc, 0, v6
                                        ; implicit-def: $vgpr44_vgpr45
                                        ; implicit-def: $vgpr3
	s_and_saveexec_b64 s[28:29], vcc
	s_xor_b64 s[28:29], exec, s[28:29]
; %bb.5736:                             ;   in Loop: Header=BB2_5667 Depth=3
	v_cmp_lt_u64_e32 vcc, s[88:89], v[28:29]
	v_add_u32_e32 v3, 7, v7
	v_cndmask_b32_e32 v3, v6, v3, vcc
	v_cndmask_b32_e64 v6, 0, 1, vcc
	v_lshrrev_b64 v[44:45], v6, v[28:29]
; %bb.5737:                             ;   in Loop: Header=BB2_5667 Depth=3
	s_andn2_saveexec_b64 s[28:29], s[28:29]
; %bb.5738:                             ;   in Loop: Header=BB2_5667 Depth=3
	v_mov_b32_e32 v45, v29
	v_mov_b32_e32 v44, v28
	v_bfe_u32 v3, v28, 23, 1
; %bb.5739:                             ;   in Loop: Header=BB2_5667 Depth=3
	s_or_b64 exec, exec, s[28:29]
	v_lshrrev_b64 v[6:7], 20, v[44:45]
	v_cmp_gt_i32_e32 vcc, 16, v3
	v_cndmask_b32_e32 v45, 0, v7, vcc
	v_cndmask_b32_e32 v44, 7, v6, vcc
	v_cmp_ne_u64_e32 vcc, 0, v[44:45]
	v_cmp_ne_u32_e64 s[28:29], 0, v3
	s_or_b64 s[28:29], s[28:29], vcc
                                        ; implicit-def: $vgpr23
	s_and_saveexec_b64 vcc, s[28:29]
	s_xor_b64 s[28:29], exec, vcc
; %bb.5740:                             ;   in Loop: Header=BB2_5667 Depth=3
	v_min_i32_e32 v3, 15, v3
	v_lshl_or_b32 v2, v3, 3, v2
	v_and_or_b32 v23, v44, 7, v2
                                        ; implicit-def: $vgpr2
; %bb.5741:                             ;   in Loop: Header=BB2_5667 Depth=3
	s_andn2_saveexec_b64 s[28:29], s[28:29]
; %bb.5742:                             ;   in Loop: Header=BB2_5667 Depth=3
	v_mov_b32_e32 v23, v2
; %bb.5743:                             ;   in Loop: Header=BB2_5667 Depth=3
	s_or_b64 exec, exec, s[28:29]
.LBB2_5744:                             ;   in Loop: Header=BB2_5667 Depth=3
	s_or_b64 exec, exec, s[38:39]
                                        ; implicit-def: $vgpr2
.LBB2_5745:                             ;   in Loop: Header=BB2_5667 Depth=3
	s_andn2_saveexec_b64 s[28:29], s[36:37]
; %bb.5746:                             ;   in Loop: Header=BB2_5667 Depth=3
	v_or_b32_e32 v23, 0x7e, v2
; %bb.5747:                             ;   in Loop: Header=BB2_5667 Depth=3
	s_or_b64 exec, exec, s[28:29]
                                        ; implicit-def: $vgpr3
.LBB2_5748:                             ;   in Loop: Header=BB2_5667 Depth=3
	s_andn2_saveexec_b64 s[28:29], s[34:35]
; %bb.5749:                             ;   in Loop: Header=BB2_5667 Depth=3
	v_or_b32_sdwa v23, v3, s85 dst_sel:DWORD dst_unused:UNUSED_PAD src0_sel:BYTE_3 src1_sel:DWORD
; %bb.5750:                             ;   in Loop: Header=BB2_5667 Depth=3
	s_or_b64 exec, exec, s[28:29]
	flat_load_ubyte v2, v[40:41] offset:192 glc slc
	v_mov_b32_e32 v3, 0
	s_waitcnt vmcnt(0) lgkmcnt(0)
	v_cmp_ne_u16_e32 vcc, 0, v2
	s_and_saveexec_b64 s[28:29], vcc
	s_cbranch_execz .LBB2_5756
; %bb.5751:                             ;   in Loop: Header=BB2_5667 Depth=3
	v_cmp_ne_u16_e32 vcc, s87, v2
	v_bfrev_b32_e32 v3, 1
	s_and_saveexec_b64 s[34:35], vcc
	s_cbranch_execz .LBB2_5755
; %bb.5752:                             ;   in Loop: Header=BB2_5667 Depth=3
	v_and_b32_e32 v28, 0xffff, v2
	v_and_b32_e32 v6, 0x7f, v28
	v_cmp_ne_u32_e32 vcc, s85, v6
	v_mov_b32_e32 v3, 0x7f800001
	s_and_saveexec_b64 s[36:37], vcc
	s_cbranch_execz .LBB2_5754
; %bb.5753:                             ;   in Loop: Header=BB2_5667 Depth=3
	v_and_b32_e32 v3, 7, v28
	v_lshrrev_b32_e32 v16, 3, v6
	v_cmp_gt_u32_e32 vcc, 8, v6
	v_ffbh_u32_e32 v6, v3
	v_min_u32_e32 v22, 32, v6
	v_subrev_u32_e32 v6, 28, v22
	v_lshlrev_b64 v[6:7], v6, v[28:29]
	v_sub_u32_e32 v7, 29, v22
	v_and_b32_e32 v6, 7, v6
	v_cndmask_b32_e32 v7, v16, v7, vcc
	v_cndmask_b32_e32 v3, v3, v6, vcc
	v_lshlrev_b32_e32 v2, 24, v2
	v_lshlrev_b32_e32 v3, 20, v3
	v_and_b32_e32 v2, 0x80000000, v2
	v_lshl_add_u32 v6, v7, 23, v17
	v_or3_b32 v3, v2, v6, v3
.LBB2_5754:                             ;   in Loop: Header=BB2_5667 Depth=3
	s_or_b64 exec, exec, s[36:37]
.LBB2_5755:                             ;   in Loop: Header=BB2_5667 Depth=3
	s_or_b64 exec, exec, s[34:35]
.LBB2_5756:                             ;   in Loop: Header=BB2_5667 Depth=3
	s_or_b64 exec, exec, s[28:29]
	v_mul_f32_e32 v3, s44, v3
	v_and_b32_e32 v28, 0x7f800000, v3
	v_cmp_ne_u64_e32 vcc, s[76:77], v[28:29]
                                        ; implicit-def: $vgpr22
	s_and_saveexec_b64 s[28:29], vcc
	s_xor_b64 s[34:35], exec, s[28:29]
	s_cbranch_execz .LBB2_5774
; %bb.5757:                             ;   in Loop: Header=BB2_5667 Depth=3
	v_and_b32_e32 v28, 0x7fffffff, v3
	v_cmp_gt_u64_e32 vcc, s[78:79], v[28:29]
	v_and_b32_sdwa v2, v3, s87 dst_sel:DWORD dst_unused:UNUSED_PAD src0_sel:BYTE_3 src1_sel:DWORD
                                        ; implicit-def: $vgpr22
	s_and_saveexec_b64 s[28:29], vcc
	s_xor_b64 s[36:37], exec, s[28:29]
	s_cbranch_execz .LBB2_5771
; %bb.5758:                             ;   in Loop: Header=BB2_5667 Depth=3
	v_cmp_ne_u32_e32 vcc, 0, v3
	v_mov_b32_e32 v22, 0
	s_and_saveexec_b64 s[38:39], vcc
	s_cbranch_execz .LBB2_5770
; %bb.5759:                             ;   in Loop: Header=BB2_5667 Depth=3
	v_and_b32_e32 v7, 0x7fffff, v3
	v_bfe_u32 v3, v3, 23, 8
	v_cmp_gt_u32_e64 s[28:29], s96, v3
	v_sub_u32_e32 v6, 0x79, v3
	v_cmp_eq_u32_e32 vcc, 0, v3
	v_cndmask_b32_e64 v6, 0, v6, s[28:29]
	v_or_b32_e32 v16, 0x800000, v7
	v_cndmask_b32_e32 v6, v6, v36, vcc
	v_cndmask_b32_e32 v28, v16, v7, vcc
	v_add_u32_e32 v7, 20, v6
	v_lshlrev_b64 v[33:34], v7, -1
	v_add_u32_e32 v7, 19, v6
	v_lshlrev_b64 v[48:49], v7, 1
	v_lshrrev_b64 v[44:45], v6, v[28:29]
	v_bfi_b32 v34, v34, 0, 0
	v_bfi_b32 v33, v33, 0, v28
	v_cmp_eq_u64_e64 s[28:29], v[33:34], v[48:49]
	v_mov_b32_e32 v46, v45
	v_mov_b32_e32 v45, v44
	s_and_saveexec_b64 s[48:49], s[28:29]
; %bb.5760:                             ;   in Loop: Header=BB2_5667 Depth=3
	v_bfe_u32 v7, v44, 20, 1
	v_add_co_u32_e64 v7, s[28:29], v44, v7
	v_add_co_u32_e64 v45, s[28:29], -1, v7
; %bb.5761:                             ;   in Loop: Header=BB2_5667 Depth=3
	s_or_b64 exec, exec, s[48:49]
	v_add_u32_e32 v3, 0xffffff81, v3
	v_cndmask_b32_e32 v3, v3, v37, vcc
	v_lshrrev_b32_e32 v7, 23, v44
	v_add3_u32 v7, v6, v3, v7
	v_add_u32_e32 v6, 6, v7
	v_and_b32_e32 v3, 0xfffff, v45
	v_add_u32_e32 v28, v3, v44
	v_cmp_ne_u32_e32 vcc, 0, v6
                                        ; implicit-def: $vgpr44_vgpr45
                                        ; implicit-def: $vgpr3
	s_and_saveexec_b64 s[28:29], vcc
	s_xor_b64 s[28:29], exec, s[28:29]
; %bb.5762:                             ;   in Loop: Header=BB2_5667 Depth=3
	v_cmp_lt_u64_e32 vcc, s[88:89], v[28:29]
	v_add_u32_e32 v3, 7, v7
	v_cndmask_b32_e32 v3, v6, v3, vcc
	v_cndmask_b32_e64 v6, 0, 1, vcc
	v_lshrrev_b64 v[44:45], v6, v[28:29]
; %bb.5763:                             ;   in Loop: Header=BB2_5667 Depth=3
	s_andn2_saveexec_b64 s[28:29], s[28:29]
; %bb.5764:                             ;   in Loop: Header=BB2_5667 Depth=3
	v_mov_b32_e32 v45, v29
	v_mov_b32_e32 v44, v28
	v_bfe_u32 v3, v28, 23, 1
; %bb.5765:                             ;   in Loop: Header=BB2_5667 Depth=3
	s_or_b64 exec, exec, s[28:29]
	v_lshrrev_b64 v[6:7], 20, v[44:45]
	v_cmp_gt_i32_e32 vcc, 16, v3
	v_cndmask_b32_e32 v45, 0, v7, vcc
	v_cndmask_b32_e32 v44, 7, v6, vcc
	v_cmp_ne_u64_e32 vcc, 0, v[44:45]
	v_cmp_ne_u32_e64 s[28:29], 0, v3
	s_or_b64 s[28:29], s[28:29], vcc
                                        ; implicit-def: $vgpr22
	s_and_saveexec_b64 vcc, s[28:29]
	s_xor_b64 s[28:29], exec, vcc
; %bb.5766:                             ;   in Loop: Header=BB2_5667 Depth=3
	v_min_i32_e32 v3, 15, v3
	v_lshl_or_b32 v2, v3, 3, v2
	v_and_or_b32 v22, v44, 7, v2
                                        ; implicit-def: $vgpr2
; %bb.5767:                             ;   in Loop: Header=BB2_5667 Depth=3
	s_andn2_saveexec_b64 s[28:29], s[28:29]
; %bb.5768:                             ;   in Loop: Header=BB2_5667 Depth=3
	v_mov_b32_e32 v22, v2
; %bb.5769:                             ;   in Loop: Header=BB2_5667 Depth=3
	s_or_b64 exec, exec, s[28:29]
.LBB2_5770:                             ;   in Loop: Header=BB2_5667 Depth=3
	s_or_b64 exec, exec, s[38:39]
                                        ; implicit-def: $vgpr2
.LBB2_5771:                             ;   in Loop: Header=BB2_5667 Depth=3
	s_andn2_saveexec_b64 s[28:29], s[36:37]
; %bb.5772:                             ;   in Loop: Header=BB2_5667 Depth=3
	v_or_b32_e32 v22, 0x7e, v2
; %bb.5773:                             ;   in Loop: Header=BB2_5667 Depth=3
	s_or_b64 exec, exec, s[28:29]
                                        ; implicit-def: $vgpr3
.LBB2_5774:                             ;   in Loop: Header=BB2_5667 Depth=3
	s_andn2_saveexec_b64 s[28:29], s[34:35]
; %bb.5775:                             ;   in Loop: Header=BB2_5667 Depth=3
	v_or_b32_sdwa v22, v3, s85 dst_sel:DWORD dst_unused:UNUSED_PAD src0_sel:BYTE_3 src1_sel:DWORD
; %bb.5776:                             ;   in Loop: Header=BB2_5667 Depth=3
	s_or_b64 exec, exec, s[28:29]
	flat_load_ubyte v2, v[40:41] offset:256 glc slc
	v_mov_b32_e32 v3, 0
	s_waitcnt vmcnt(0) lgkmcnt(0)
	v_cmp_ne_u16_e32 vcc, 0, v2
	s_and_saveexec_b64 s[28:29], vcc
	s_cbranch_execz .LBB2_5782
; %bb.5777:                             ;   in Loop: Header=BB2_5667 Depth=3
	v_cmp_ne_u16_e32 vcc, s87, v2
	v_bfrev_b32_e32 v3, 1
	s_and_saveexec_b64 s[34:35], vcc
	s_cbranch_execz .LBB2_5781
; %bb.5778:                             ;   in Loop: Header=BB2_5667 Depth=3
	v_and_b32_e32 v28, 0xffff, v2
	v_and_b32_e32 v6, 0x7f, v28
	v_cmp_ne_u32_e32 vcc, s85, v6
	v_mov_b32_e32 v3, 0x7f800001
	s_and_saveexec_b64 s[36:37], vcc
	s_cbranch_execz .LBB2_5780
; %bb.5779:                             ;   in Loop: Header=BB2_5667 Depth=3
	v_and_b32_e32 v3, 7, v28
	v_lshrrev_b32_e32 v16, 3, v6
	v_cmp_gt_u32_e32 vcc, 8, v6
	v_ffbh_u32_e32 v6, v3
	v_min_u32_e32 v31, 32, v6
	v_subrev_u32_e32 v6, 28, v31
	v_lshlrev_b64 v[6:7], v6, v[28:29]
	v_sub_u32_e32 v7, 29, v31
	v_and_b32_e32 v6, 7, v6
	v_cndmask_b32_e32 v7, v16, v7, vcc
	v_cndmask_b32_e32 v3, v3, v6, vcc
	v_lshlrev_b32_e32 v2, 24, v2
	v_lshlrev_b32_e32 v3, 20, v3
	v_and_b32_e32 v2, 0x80000000, v2
	v_lshl_add_u32 v6, v7, 23, v17
	v_or3_b32 v3, v2, v6, v3
.LBB2_5780:                             ;   in Loop: Header=BB2_5667 Depth=3
	s_or_b64 exec, exec, s[36:37]
.LBB2_5781:                             ;   in Loop: Header=BB2_5667 Depth=3
	s_or_b64 exec, exec, s[34:35]
.LBB2_5782:                             ;   in Loop: Header=BB2_5667 Depth=3
	s_or_b64 exec, exec, s[28:29]
	v_mul_f32_e32 v3, s44, v3
	v_and_b32_e32 v28, 0x7f800000, v3
	v_cmp_ne_u64_e32 vcc, s[76:77], v[28:29]
                                        ; implicit-def: $vgpr16
	s_and_saveexec_b64 s[28:29], vcc
	s_xor_b64 s[34:35], exec, s[28:29]
	s_cbranch_execz .LBB2_5800
; %bb.5783:                             ;   in Loop: Header=BB2_5667 Depth=3
	v_and_b32_e32 v28, 0x7fffffff, v3
	v_cmp_gt_u64_e32 vcc, s[78:79], v[28:29]
	v_and_b32_sdwa v2, v3, s87 dst_sel:DWORD dst_unused:UNUSED_PAD src0_sel:BYTE_3 src1_sel:DWORD
                                        ; implicit-def: $vgpr16
	s_and_saveexec_b64 s[28:29], vcc
	s_xor_b64 s[36:37], exec, s[28:29]
	s_cbranch_execz .LBB2_5797
; %bb.5784:                             ;   in Loop: Header=BB2_5667 Depth=3
	v_cmp_ne_u32_e32 vcc, 0, v3
	v_mov_b32_e32 v16, 0
	s_and_saveexec_b64 s[38:39], vcc
	s_cbranch_execz .LBB2_5796
; %bb.5785:                             ;   in Loop: Header=BB2_5667 Depth=3
	v_and_b32_e32 v7, 0x7fffff, v3
	v_bfe_u32 v3, v3, 23, 8
	v_cmp_gt_u32_e64 s[28:29], s96, v3
	v_sub_u32_e32 v6, 0x79, v3
	v_cmp_eq_u32_e32 vcc, 0, v3
	v_cndmask_b32_e64 v6, 0, v6, s[28:29]
	v_or_b32_e32 v16, 0x800000, v7
	v_cndmask_b32_e32 v6, v6, v36, vcc
	v_cndmask_b32_e32 v28, v16, v7, vcc
	v_add_u32_e32 v7, 20, v6
	v_lshlrev_b64 v[33:34], v7, -1
	v_add_u32_e32 v7, 19, v6
	v_lshlrev_b64 v[48:49], v7, 1
	v_lshrrev_b64 v[44:45], v6, v[28:29]
	v_bfi_b32 v34, v34, 0, 0
	v_bfi_b32 v33, v33, 0, v28
	v_cmp_eq_u64_e64 s[28:29], v[33:34], v[48:49]
	v_mov_b32_e32 v46, v45
	v_mov_b32_e32 v45, v44
	s_and_saveexec_b64 s[48:49], s[28:29]
; %bb.5786:                             ;   in Loop: Header=BB2_5667 Depth=3
	v_bfe_u32 v7, v44, 20, 1
	v_add_co_u32_e64 v7, s[28:29], v44, v7
	v_add_co_u32_e64 v45, s[28:29], -1, v7
; %bb.5787:                             ;   in Loop: Header=BB2_5667 Depth=3
	s_or_b64 exec, exec, s[48:49]
	v_add_u32_e32 v3, 0xffffff81, v3
	v_cndmask_b32_e32 v3, v3, v37, vcc
	v_lshrrev_b32_e32 v7, 23, v44
	v_add3_u32 v7, v6, v3, v7
	v_add_u32_e32 v6, 6, v7
	v_and_b32_e32 v3, 0xfffff, v45
	v_add_u32_e32 v28, v3, v44
	v_cmp_ne_u32_e32 vcc, 0, v6
                                        ; implicit-def: $vgpr44_vgpr45
                                        ; implicit-def: $vgpr3
	s_and_saveexec_b64 s[28:29], vcc
	s_xor_b64 s[28:29], exec, s[28:29]
; %bb.5788:                             ;   in Loop: Header=BB2_5667 Depth=3
	v_cmp_lt_u64_e32 vcc, s[88:89], v[28:29]
	v_add_u32_e32 v3, 7, v7
	v_cndmask_b32_e32 v3, v6, v3, vcc
	v_cndmask_b32_e64 v6, 0, 1, vcc
	v_lshrrev_b64 v[44:45], v6, v[28:29]
; %bb.5789:                             ;   in Loop: Header=BB2_5667 Depth=3
	s_andn2_saveexec_b64 s[28:29], s[28:29]
; %bb.5790:                             ;   in Loop: Header=BB2_5667 Depth=3
	v_mov_b32_e32 v45, v29
	v_mov_b32_e32 v44, v28
	v_bfe_u32 v3, v28, 23, 1
; %bb.5791:                             ;   in Loop: Header=BB2_5667 Depth=3
	s_or_b64 exec, exec, s[28:29]
	v_lshrrev_b64 v[6:7], 20, v[44:45]
	v_cmp_gt_i32_e32 vcc, 16, v3
	v_cndmask_b32_e32 v45, 0, v7, vcc
	v_cndmask_b32_e32 v44, 7, v6, vcc
	v_cmp_ne_u64_e32 vcc, 0, v[44:45]
	v_cmp_ne_u32_e64 s[28:29], 0, v3
	s_or_b64 s[28:29], s[28:29], vcc
                                        ; implicit-def: $vgpr16
	s_and_saveexec_b64 vcc, s[28:29]
	s_xor_b64 s[28:29], exec, vcc
; %bb.5792:                             ;   in Loop: Header=BB2_5667 Depth=3
	v_min_i32_e32 v3, 15, v3
	v_lshl_or_b32 v2, v3, 3, v2
	v_and_or_b32 v16, v44, 7, v2
                                        ; implicit-def: $vgpr2
; %bb.5793:                             ;   in Loop: Header=BB2_5667 Depth=3
	s_andn2_saveexec_b64 s[28:29], s[28:29]
; %bb.5794:                             ;   in Loop: Header=BB2_5667 Depth=3
	v_mov_b32_e32 v16, v2
; %bb.5795:                             ;   in Loop: Header=BB2_5667 Depth=3
	s_or_b64 exec, exec, s[28:29]
.LBB2_5796:                             ;   in Loop: Header=BB2_5667 Depth=3
	s_or_b64 exec, exec, s[38:39]
                                        ; implicit-def: $vgpr2
.LBB2_5797:                             ;   in Loop: Header=BB2_5667 Depth=3
	s_andn2_saveexec_b64 s[28:29], s[36:37]
; %bb.5798:                             ;   in Loop: Header=BB2_5667 Depth=3
	v_or_b32_e32 v16, 0x7e, v2
; %bb.5799:                             ;   in Loop: Header=BB2_5667 Depth=3
	s_or_b64 exec, exec, s[28:29]
                                        ; implicit-def: $vgpr3
.LBB2_5800:                             ;   in Loop: Header=BB2_5667 Depth=3
	s_andn2_saveexec_b64 s[28:29], s[34:35]
; %bb.5801:                             ;   in Loop: Header=BB2_5667 Depth=3
	v_or_b32_sdwa v16, v3, s85 dst_sel:DWORD dst_unused:UNUSED_PAD src0_sel:BYTE_3 src1_sel:DWORD
; %bb.5802:                             ;   in Loop: Header=BB2_5667 Depth=3
	s_or_b64 exec, exec, s[28:29]
	flat_load_ubyte v2, v[40:41] offset:320 glc slc
	v_mov_b32_e32 v3, 0
	s_waitcnt vmcnt(0) lgkmcnt(0)
	v_cmp_ne_u16_e32 vcc, 0, v2
	s_and_saveexec_b64 s[28:29], vcc
	s_cbranch_execz .LBB2_5808
; %bb.5803:                             ;   in Loop: Header=BB2_5667 Depth=3
	v_cmp_ne_u16_e32 vcc, s87, v2
	v_bfrev_b32_e32 v3, 1
	s_and_saveexec_b64 s[34:35], vcc
	s_cbranch_execz .LBB2_5807
; %bb.5804:                             ;   in Loop: Header=BB2_5667 Depth=3
	v_and_b32_e32 v28, 0xffff, v2
	v_and_b32_e32 v6, 0x7f, v28
	v_cmp_ne_u32_e32 vcc, s85, v6
	v_mov_b32_e32 v3, 0x7f800001
	s_and_saveexec_b64 s[36:37], vcc
	s_cbranch_execz .LBB2_5806
; %bb.5805:                             ;   in Loop: Header=BB2_5667 Depth=3
	v_and_b32_e32 v3, 7, v28
	v_lshrrev_b32_e32 v31, 3, v6
	v_cmp_gt_u32_e32 vcc, 8, v6
	v_ffbh_u32_e32 v6, v3
	v_min_u32_e32 v33, 32, v6
	v_subrev_u32_e32 v6, 28, v33
	v_lshlrev_b64 v[6:7], v6, v[28:29]
	v_sub_u32_e32 v7, 29, v33
	v_and_b32_e32 v6, 7, v6
	v_cndmask_b32_e32 v7, v31, v7, vcc
	v_cndmask_b32_e32 v3, v3, v6, vcc
	v_lshlrev_b32_e32 v2, 24, v2
	v_lshlrev_b32_e32 v3, 20, v3
	v_and_b32_e32 v2, 0x80000000, v2
	v_lshl_add_u32 v6, v7, 23, v17
	v_or3_b32 v3, v2, v6, v3
.LBB2_5806:                             ;   in Loop: Header=BB2_5667 Depth=3
	s_or_b64 exec, exec, s[36:37]
.LBB2_5807:                             ;   in Loop: Header=BB2_5667 Depth=3
	s_or_b64 exec, exec, s[34:35]
.LBB2_5808:                             ;   in Loop: Header=BB2_5667 Depth=3
	s_or_b64 exec, exec, s[28:29]
	v_mul_f32_e32 v3, s44, v3
	v_and_b32_e32 v28, 0x7f800000, v3
	v_cmp_ne_u64_e32 vcc, s[76:77], v[28:29]
                                        ; implicit-def: $vgpr7
	s_and_saveexec_b64 s[28:29], vcc
	s_xor_b64 s[34:35], exec, s[28:29]
	s_cbranch_execz .LBB2_5826
; %bb.5809:                             ;   in Loop: Header=BB2_5667 Depth=3
	v_and_b32_e32 v28, 0x7fffffff, v3
	v_cmp_gt_u64_e32 vcc, s[78:79], v[28:29]
	v_and_b32_sdwa v2, v3, s87 dst_sel:DWORD dst_unused:UNUSED_PAD src0_sel:BYTE_3 src1_sel:DWORD
                                        ; implicit-def: $vgpr7
	s_and_saveexec_b64 s[28:29], vcc
	s_xor_b64 s[36:37], exec, s[28:29]
	s_cbranch_execz .LBB2_5823
; %bb.5810:                             ;   in Loop: Header=BB2_5667 Depth=3
	v_cmp_ne_u32_e32 vcc, 0, v3
	v_mov_b32_e32 v7, 0
	s_and_saveexec_b64 s[38:39], vcc
	s_cbranch_execz .LBB2_5822
; %bb.5811:                             ;   in Loop: Header=BB2_5667 Depth=3
	v_and_b32_e32 v7, 0x7fffff, v3
	v_bfe_u32 v3, v3, 23, 8
	v_cmp_gt_u32_e64 s[28:29], s96, v3
	v_sub_u32_e32 v6, 0x79, v3
	v_cmp_eq_u32_e32 vcc, 0, v3
	v_cndmask_b32_e64 v6, 0, v6, s[28:29]
	v_or_b32_e32 v28, 0x800000, v7
	v_cndmask_b32_e32 v6, v6, v36, vcc
	v_cndmask_b32_e32 v28, v28, v7, vcc
	v_add_u32_e32 v7, 20, v6
	v_lshlrev_b64 v[33:34], v7, -1
	v_add_u32_e32 v7, 19, v6
	v_lshlrev_b64 v[48:49], v7, 1
	v_lshrrev_b64 v[44:45], v6, v[28:29]
	v_bfi_b32 v34, v34, 0, 0
	v_bfi_b32 v33, v33, 0, v28
	v_cmp_eq_u64_e64 s[28:29], v[33:34], v[48:49]
	v_mov_b32_e32 v46, v45
	v_mov_b32_e32 v45, v44
	s_and_saveexec_b64 s[48:49], s[28:29]
; %bb.5812:                             ;   in Loop: Header=BB2_5667 Depth=3
	v_bfe_u32 v7, v44, 20, 1
	v_add_co_u32_e64 v7, s[28:29], v44, v7
	v_add_co_u32_e64 v45, s[28:29], -1, v7
; %bb.5813:                             ;   in Loop: Header=BB2_5667 Depth=3
	s_or_b64 exec, exec, s[48:49]
	v_add_u32_e32 v3, 0xffffff81, v3
	v_cndmask_b32_e32 v3, v3, v37, vcc
	v_lshrrev_b32_e32 v7, 23, v44
	v_add3_u32 v7, v6, v3, v7
	v_add_u32_e32 v6, 6, v7
	v_and_b32_e32 v3, 0xfffff, v45
	v_add_u32_e32 v28, v3, v44
	v_cmp_ne_u32_e32 vcc, 0, v6
                                        ; implicit-def: $vgpr44_vgpr45
                                        ; implicit-def: $vgpr3
	s_and_saveexec_b64 s[28:29], vcc
	s_xor_b64 s[28:29], exec, s[28:29]
; %bb.5814:                             ;   in Loop: Header=BB2_5667 Depth=3
	v_cmp_lt_u64_e32 vcc, s[88:89], v[28:29]
	v_add_u32_e32 v3, 7, v7
	v_cndmask_b32_e32 v3, v6, v3, vcc
	v_cndmask_b32_e64 v6, 0, 1, vcc
	v_lshrrev_b64 v[44:45], v6, v[28:29]
; %bb.5815:                             ;   in Loop: Header=BB2_5667 Depth=3
	s_andn2_saveexec_b64 s[28:29], s[28:29]
; %bb.5816:                             ;   in Loop: Header=BB2_5667 Depth=3
	v_mov_b32_e32 v45, v29
	v_mov_b32_e32 v44, v28
	v_bfe_u32 v3, v28, 23, 1
; %bb.5817:                             ;   in Loop: Header=BB2_5667 Depth=3
	s_or_b64 exec, exec, s[28:29]
	v_lshrrev_b64 v[6:7], 20, v[44:45]
	v_cmp_gt_i32_e32 vcc, 16, v3
	v_cndmask_b32_e32 v45, 0, v7, vcc
	v_cndmask_b32_e32 v44, 7, v6, vcc
	v_cmp_ne_u64_e32 vcc, 0, v[44:45]
	v_cmp_ne_u32_e64 s[28:29], 0, v3
	s_or_b64 s[28:29], s[28:29], vcc
                                        ; implicit-def: $vgpr7
	s_and_saveexec_b64 vcc, s[28:29]
	s_xor_b64 s[28:29], exec, vcc
; %bb.5818:                             ;   in Loop: Header=BB2_5667 Depth=3
	v_min_i32_e32 v3, 15, v3
	v_lshl_or_b32 v2, v3, 3, v2
	v_and_or_b32 v7, v44, 7, v2
                                        ; implicit-def: $vgpr2
; %bb.5819:                             ;   in Loop: Header=BB2_5667 Depth=3
	s_andn2_saveexec_b64 s[28:29], s[28:29]
; %bb.5820:                             ;   in Loop: Header=BB2_5667 Depth=3
	v_mov_b32_e32 v7, v2
; %bb.5821:                             ;   in Loop: Header=BB2_5667 Depth=3
	s_or_b64 exec, exec, s[28:29]
.LBB2_5822:                             ;   in Loop: Header=BB2_5667 Depth=3
	s_or_b64 exec, exec, s[38:39]
                                        ; implicit-def: $vgpr2
.LBB2_5823:                             ;   in Loop: Header=BB2_5667 Depth=3
	s_andn2_saveexec_b64 s[28:29], s[36:37]
; %bb.5824:                             ;   in Loop: Header=BB2_5667 Depth=3
	v_or_b32_e32 v7, 0x7e, v2
; %bb.5825:                             ;   in Loop: Header=BB2_5667 Depth=3
	s_or_b64 exec, exec, s[28:29]
                                        ; implicit-def: $vgpr3
.LBB2_5826:                             ;   in Loop: Header=BB2_5667 Depth=3
	s_andn2_saveexec_b64 s[28:29], s[34:35]
; %bb.5827:                             ;   in Loop: Header=BB2_5667 Depth=3
	v_or_b32_sdwa v7, v3, s85 dst_sel:DWORD dst_unused:UNUSED_PAD src0_sel:BYTE_3 src1_sel:DWORD
; %bb.5828:                             ;   in Loop: Header=BB2_5667 Depth=3
	s_or_b64 exec, exec, s[28:29]
	flat_load_ubyte v2, v[40:41] offset:384 glc slc
	v_mov_b32_e32 v3, 0
	s_waitcnt vmcnt(0) lgkmcnt(0)
	v_cmp_ne_u16_e32 vcc, 0, v2
	s_and_saveexec_b64 s[28:29], vcc
	s_cbranch_execz .LBB2_5834
; %bb.5829:                             ;   in Loop: Header=BB2_5667 Depth=3
	v_cmp_ne_u16_e32 vcc, s87, v2
	v_bfrev_b32_e32 v3, 1
	s_and_saveexec_b64 s[34:35], vcc
	s_cbranch_execz .LBB2_5833
; %bb.5830:                             ;   in Loop: Header=BB2_5667 Depth=3
	v_and_b32_e32 v28, 0xffff, v2
	v_and_b32_e32 v6, 0x7f, v28
	v_cmp_ne_u32_e32 vcc, s85, v6
	v_mov_b32_e32 v3, 0x7f800001
	s_and_saveexec_b64 s[36:37], vcc
	s_cbranch_execz .LBB2_5832
; %bb.5831:                             ;   in Loop: Header=BB2_5667 Depth=3
	v_and_b32_e32 v3, 7, v28
	v_lshrrev_b32_e32 v31, 3, v6
	v_cmp_gt_u32_e32 vcc, 8, v6
	v_ffbh_u32_e32 v6, v3
	v_min_u32_e32 v6, 32, v6
	v_subrev_u32_e32 v33, 28, v6
	v_lshlrev_b64 v[33:34], v33, v[28:29]
	v_sub_u32_e32 v6, 29, v6
	v_and_b32_e32 v28, 7, v33
	v_cndmask_b32_e32 v6, v31, v6, vcc
	v_cndmask_b32_e32 v3, v3, v28, vcc
	v_lshlrev_b32_e32 v2, 24, v2
	v_lshlrev_b32_e32 v3, 20, v3
	v_and_b32_e32 v2, 0x80000000, v2
	v_lshl_add_u32 v6, v6, 23, v17
	v_or3_b32 v3, v2, v6, v3
.LBB2_5832:                             ;   in Loop: Header=BB2_5667 Depth=3
	s_or_b64 exec, exec, s[36:37]
.LBB2_5833:                             ;   in Loop: Header=BB2_5667 Depth=3
	s_or_b64 exec, exec, s[34:35]
.LBB2_5834:                             ;   in Loop: Header=BB2_5667 Depth=3
	s_or_b64 exec, exec, s[28:29]
	v_mul_f32_e32 v3, s44, v3
	v_and_b32_e32 v28, 0x7f800000, v3
	v_cmp_ne_u64_e32 vcc, s[76:77], v[28:29]
                                        ; implicit-def: $vgpr6
	s_and_saveexec_b64 s[28:29], vcc
	s_xor_b64 s[34:35], exec, s[28:29]
	s_cbranch_execz .LBB2_5852
; %bb.5835:                             ;   in Loop: Header=BB2_5667 Depth=3
	v_and_b32_e32 v28, 0x7fffffff, v3
	v_cmp_gt_u64_e32 vcc, s[78:79], v[28:29]
	v_and_b32_sdwa v2, v3, s87 dst_sel:DWORD dst_unused:UNUSED_PAD src0_sel:BYTE_3 src1_sel:DWORD
                                        ; implicit-def: $vgpr6
	s_and_saveexec_b64 s[28:29], vcc
	s_xor_b64 s[36:37], exec, s[28:29]
	s_cbranch_execz .LBB2_5849
; %bb.5836:                             ;   in Loop: Header=BB2_5667 Depth=3
	v_cmp_ne_u32_e32 vcc, 0, v3
	v_mov_b32_e32 v6, 0
	s_and_saveexec_b64 s[38:39], vcc
	s_cbranch_execz .LBB2_5848
; %bb.5837:                             ;   in Loop: Header=BB2_5667 Depth=3
	v_and_b32_e32 v28, 0x7fffff, v3
	v_bfe_u32 v3, v3, 23, 8
	v_cmp_gt_u32_e64 s[28:29], s96, v3
	v_sub_u32_e32 v6, 0x79, v3
	v_cmp_eq_u32_e32 vcc, 0, v3
	v_cndmask_b32_e64 v6, 0, v6, s[28:29]
	v_or_b32_e32 v31, 0x800000, v28
	v_cndmask_b32_e32 v6, v6, v36, vcc
	v_cndmask_b32_e32 v28, v31, v28, vcc
	v_add_u32_e32 v31, 20, v6
	v_lshlrev_b64 v[33:34], v31, -1
	v_add_u32_e32 v31, 19, v6
	v_lshlrev_b64 v[48:49], v31, 1
	v_lshrrev_b64 v[44:45], v6, v[28:29]
	v_bfi_b32 v34, v34, 0, 0
	v_bfi_b32 v33, v33, 0, v28
	v_cmp_eq_u64_e64 s[28:29], v[33:34], v[48:49]
	v_mov_b32_e32 v46, v45
	v_mov_b32_e32 v45, v44
	s_and_saveexec_b64 s[48:49], s[28:29]
; %bb.5838:                             ;   in Loop: Header=BB2_5667 Depth=3
	v_bfe_u32 v28, v44, 20, 1
	v_add_co_u32_e64 v28, s[28:29], v44, v28
	v_add_co_u32_e64 v45, s[28:29], -1, v28
; %bb.5839:                             ;   in Loop: Header=BB2_5667 Depth=3
	s_or_b64 exec, exec, s[48:49]
	v_add_u32_e32 v3, 0xffffff81, v3
	v_cndmask_b32_e32 v3, v3, v37, vcc
	v_lshrrev_b32_e32 v28, 23, v44
	v_add3_u32 v31, v6, v3, v28
	v_add_u32_e32 v6, 6, v31
	v_and_b32_e32 v3, 0xfffff, v45
	v_add_u32_e32 v28, v3, v44
	v_cmp_ne_u32_e32 vcc, 0, v6
                                        ; implicit-def: $vgpr44_vgpr45
                                        ; implicit-def: $vgpr3
	s_and_saveexec_b64 s[28:29], vcc
	s_xor_b64 s[28:29], exec, s[28:29]
; %bb.5840:                             ;   in Loop: Header=BB2_5667 Depth=3
	v_cmp_lt_u64_e32 vcc, s[88:89], v[28:29]
	v_add_u32_e32 v3, 7, v31
	v_cndmask_b32_e32 v3, v6, v3, vcc
	v_cndmask_b32_e64 v6, 0, 1, vcc
	v_lshrrev_b64 v[44:45], v6, v[28:29]
; %bb.5841:                             ;   in Loop: Header=BB2_5667 Depth=3
	s_andn2_saveexec_b64 s[28:29], s[28:29]
; %bb.5842:                             ;   in Loop: Header=BB2_5667 Depth=3
	v_mov_b32_e32 v45, v29
	v_mov_b32_e32 v44, v28
	v_bfe_u32 v3, v28, 23, 1
; %bb.5843:                             ;   in Loop: Header=BB2_5667 Depth=3
	s_or_b64 exec, exec, s[28:29]
	v_lshrrev_b64 v[33:34], 20, v[44:45]
	v_cmp_gt_i32_e32 vcc, 16, v3
	v_cndmask_b32_e32 v45, 0, v34, vcc
	v_cndmask_b32_e32 v44, 7, v33, vcc
	v_cmp_ne_u64_e32 vcc, 0, v[44:45]
	v_cmp_ne_u32_e64 s[28:29], 0, v3
	s_or_b64 s[28:29], s[28:29], vcc
                                        ; implicit-def: $vgpr6
	s_and_saveexec_b64 vcc, s[28:29]
	s_xor_b64 s[28:29], exec, vcc
; %bb.5844:                             ;   in Loop: Header=BB2_5667 Depth=3
	v_min_i32_e32 v3, 15, v3
	v_lshl_or_b32 v2, v3, 3, v2
	v_and_or_b32 v6, v44, 7, v2
                                        ; implicit-def: $vgpr2
; %bb.5845:                             ;   in Loop: Header=BB2_5667 Depth=3
	s_andn2_saveexec_b64 s[28:29], s[28:29]
; %bb.5846:                             ;   in Loop: Header=BB2_5667 Depth=3
	v_mov_b32_e32 v6, v2
; %bb.5847:                             ;   in Loop: Header=BB2_5667 Depth=3
	s_or_b64 exec, exec, s[28:29]
.LBB2_5848:                             ;   in Loop: Header=BB2_5667 Depth=3
	s_or_b64 exec, exec, s[38:39]
                                        ; implicit-def: $vgpr2
.LBB2_5849:                             ;   in Loop: Header=BB2_5667 Depth=3
	s_andn2_saveexec_b64 s[28:29], s[36:37]
; %bb.5850:                             ;   in Loop: Header=BB2_5667 Depth=3
	v_or_b32_e32 v6, 0x7e, v2
; %bb.5851:                             ;   in Loop: Header=BB2_5667 Depth=3
	s_or_b64 exec, exec, s[28:29]
                                        ; implicit-def: $vgpr3
.LBB2_5852:                             ;   in Loop: Header=BB2_5667 Depth=3
	s_andn2_saveexec_b64 s[28:29], s[34:35]
; %bb.5853:                             ;   in Loop: Header=BB2_5667 Depth=3
	v_or_b32_sdwa v6, v3, s85 dst_sel:DWORD dst_unused:UNUSED_PAD src0_sel:BYTE_3 src1_sel:DWORD
; %bb.5854:                             ;   in Loop: Header=BB2_5667 Depth=3
	s_or_b64 exec, exec, s[28:29]
	flat_load_ubyte v2, v[40:41] offset:448 glc slc
	v_mov_b32_e32 v3, 0
	s_waitcnt vmcnt(0) lgkmcnt(0)
	v_cmp_ne_u16_e32 vcc, 0, v2
	s_and_saveexec_b64 s[28:29], vcc
	s_cbranch_execz .LBB2_5860
; %bb.5855:                             ;   in Loop: Header=BB2_5667 Depth=3
	v_cmp_ne_u16_e32 vcc, s87, v2
	v_bfrev_b32_e32 v3, 1
	s_and_saveexec_b64 s[34:35], vcc
	s_cbranch_execz .LBB2_5859
; %bb.5856:                             ;   in Loop: Header=BB2_5667 Depth=3
	v_and_b32_e32 v28, 0xffff, v2
	v_and_b32_e32 v31, 0x7f, v28
	v_cmp_ne_u32_e32 vcc, s85, v31
	v_mov_b32_e32 v3, 0x7f800001
	s_and_saveexec_b64 s[36:37], vcc
	s_cbranch_execz .LBB2_5858
; %bb.5857:                             ;   in Loop: Header=BB2_5667 Depth=3
	v_and_b32_e32 v3, 7, v28
	v_lshrrev_b32_e32 v35, 3, v31
	v_cmp_gt_u32_e32 vcc, 8, v31
	v_ffbh_u32_e32 v31, v3
	v_min_u32_e32 v31, 32, v31
	v_subrev_u32_e32 v33, 28, v31
	v_lshlrev_b64 v[33:34], v33, v[28:29]
	v_sub_u32_e32 v28, 29, v31
	v_and_b32_e32 v31, 7, v33
	v_cndmask_b32_e32 v28, v35, v28, vcc
	v_cndmask_b32_e32 v3, v3, v31, vcc
	v_lshlrev_b32_e32 v2, 24, v2
	v_lshlrev_b32_e32 v3, 20, v3
	v_and_b32_e32 v2, 0x80000000, v2
	v_lshl_add_u32 v28, v28, 23, v17
	v_or3_b32 v3, v2, v28, v3
.LBB2_5858:                             ;   in Loop: Header=BB2_5667 Depth=3
	s_or_b64 exec, exec, s[36:37]
.LBB2_5859:                             ;   in Loop: Header=BB2_5667 Depth=3
	s_or_b64 exec, exec, s[34:35]
.LBB2_5860:                             ;   in Loop: Header=BB2_5667 Depth=3
	s_or_b64 exec, exec, s[28:29]
	v_mul_f32_e32 v31, s44, v3
	v_and_b32_e32 v28, 0x7f800000, v31
	v_cmp_ne_u64_e32 vcc, s[76:77], v[28:29]
                                        ; implicit-def: $vgpr2
	s_and_saveexec_b64 s[28:29], vcc
	s_xor_b64 s[34:35], exec, s[28:29]
	s_cbranch_execz .LBB2_5878
; %bb.5861:                             ;   in Loop: Header=BB2_5667 Depth=3
	v_and_b32_e32 v28, 0x7fffffff, v31
	v_cmp_gt_u64_e32 vcc, s[78:79], v[28:29]
	v_and_b32_sdwa v3, v31, s87 dst_sel:DWORD dst_unused:UNUSED_PAD src0_sel:BYTE_3 src1_sel:DWORD
                                        ; implicit-def: $vgpr2
	s_and_saveexec_b64 s[28:29], vcc
	s_xor_b64 s[36:37], exec, s[28:29]
	s_cbranch_execz .LBB2_5875
; %bb.5862:                             ;   in Loop: Header=BB2_5667 Depth=3
	v_cmp_ne_u32_e32 vcc, 0, v31
	v_mov_b32_e32 v2, 0
	s_and_saveexec_b64 s[38:39], vcc
	s_cbranch_execz .LBB2_5874
; %bb.5863:                             ;   in Loop: Header=BB2_5667 Depth=3
	v_bfe_u32 v2, v31, 23, 8
	v_and_b32_e32 v28, 0x7fffff, v31
	v_cmp_gt_u32_e64 s[28:29], s96, v2
	v_sub_u32_e32 v31, 0x79, v2
	v_cmp_eq_u32_e32 vcc, 0, v2
	v_cndmask_b32_e64 v31, 0, v31, s[28:29]
	v_or_b32_e32 v33, 0x800000, v28
	v_cndmask_b32_e32 v31, v31, v36, vcc
	v_cndmask_b32_e32 v28, v33, v28, vcc
	v_add_u32_e32 v33, 20, v31
	v_lshlrev_b64 v[33:34], v33, -1
	v_add_u32_e32 v35, 19, v31
	v_lshlrev_b64 v[48:49], v35, 1
	v_lshrrev_b64 v[44:45], v31, v[28:29]
	v_bfi_b32 v34, v34, 0, 0
	v_bfi_b32 v33, v33, 0, v28
	v_cmp_eq_u64_e64 s[28:29], v[33:34], v[48:49]
	v_mov_b32_e32 v46, v45
	v_mov_b32_e32 v45, v44
	s_and_saveexec_b64 s[48:49], s[28:29]
; %bb.5864:                             ;   in Loop: Header=BB2_5667 Depth=3
	v_bfe_u32 v28, v44, 20, 1
	v_add_co_u32_e64 v28, s[28:29], v44, v28
	v_add_co_u32_e64 v45, s[28:29], -1, v28
; %bb.5865:                             ;   in Loop: Header=BB2_5667 Depth=3
	s_or_b64 exec, exec, s[48:49]
	v_add_u32_e32 v2, 0xffffff81, v2
	v_cndmask_b32_e32 v2, v2, v37, vcc
	v_lshrrev_b32_e32 v28, 23, v44
	v_add3_u32 v33, v31, v2, v28
	v_add_u32_e32 v2, 6, v33
	v_and_b32_e32 v28, 0xfffff, v45
	v_add_u32_e32 v28, v28, v44
	v_cmp_ne_u32_e32 vcc, 0, v2
                                        ; implicit-def: $vgpr44_vgpr45
                                        ; implicit-def: $vgpr31
	s_and_saveexec_b64 s[28:29], vcc
	s_xor_b64 s[28:29], exec, s[28:29]
; %bb.5866:                             ;   in Loop: Header=BB2_5667 Depth=3
	v_cmp_lt_u64_e32 vcc, s[88:89], v[28:29]
	v_add_u32_e32 v31, 7, v33
	v_cndmask_b32_e32 v31, v2, v31, vcc
	v_cndmask_b32_e64 v2, 0, 1, vcc
	v_lshrrev_b64 v[44:45], v2, v[28:29]
; %bb.5867:                             ;   in Loop: Header=BB2_5667 Depth=3
	s_andn2_saveexec_b64 s[28:29], s[28:29]
; %bb.5868:                             ;   in Loop: Header=BB2_5667 Depth=3
	v_mov_b32_e32 v45, v29
	v_mov_b32_e32 v44, v28
	v_bfe_u32 v31, v28, 23, 1
; %bb.5869:                             ;   in Loop: Header=BB2_5667 Depth=3
	s_or_b64 exec, exec, s[28:29]
	v_lshrrev_b64 v[33:34], 20, v[44:45]
	v_cmp_gt_i32_e32 vcc, 16, v31
	v_cndmask_b32_e32 v45, 0, v34, vcc
	v_cndmask_b32_e32 v44, 7, v33, vcc
	v_cmp_ne_u64_e32 vcc, 0, v[44:45]
	v_cmp_ne_u32_e64 s[28:29], 0, v31
	s_or_b64 s[28:29], s[28:29], vcc
                                        ; implicit-def: $vgpr2
	s_and_saveexec_b64 s[44:45], s[28:29]
	s_xor_b64 s[28:29], exec, s[44:45]
; %bb.5870:                             ;   in Loop: Header=BB2_5667 Depth=3
	v_min_i32_e32 v2, 15, v31
	v_lshl_or_b32 v2, v2, 3, v3
	v_and_or_b32 v2, v44, 7, v2
                                        ; implicit-def: $vgpr3
; %bb.5871:                             ;   in Loop: Header=BB2_5667 Depth=3
	s_andn2_saveexec_b64 s[28:29], s[28:29]
; %bb.5872:                             ;   in Loop: Header=BB2_5667 Depth=3
	v_mov_b32_e32 v2, v3
; %bb.5873:                             ;   in Loop: Header=BB2_5667 Depth=3
	s_or_b64 exec, exec, s[28:29]
.LBB2_5874:                             ;   in Loop: Header=BB2_5667 Depth=3
	s_or_b64 exec, exec, s[38:39]
                                        ; implicit-def: $vgpr3
.LBB2_5875:                             ;   in Loop: Header=BB2_5667 Depth=3
	s_andn2_saveexec_b64 s[28:29], s[36:37]
; %bb.5876:                             ;   in Loop: Header=BB2_5667 Depth=3
	v_or_b32_e32 v2, 0x7e, v3
; %bb.5877:                             ;   in Loop: Header=BB2_5667 Depth=3
	s_or_b64 exec, exec, s[28:29]
                                        ; implicit-def: $vgpr31
.LBB2_5878:                             ;   in Loop: Header=BB2_5667 Depth=3
	s_andn2_saveexec_b64 s[28:29], s[34:35]
; %bb.5879:                             ;   in Loop: Header=BB2_5667 Depth=3
	v_or_b32_sdwa v2, v31, s85 dst_sel:DWORD dst_unused:UNUSED_PAD src0_sel:BYTE_3 src1_sel:DWORD
; %bb.5880:                             ;   in Loop: Header=BB2_5667 Depth=3
	s_or_b64 exec, exec, s[28:29]
	flat_load_ubyte v51, v[42:43] glc slc
	flat_load_ubyte v49, v[42:43] offset:64 glc slc
	flat_load_ubyte v48, v[42:43] offset:128 glc slc
	;; [unrolled: 1-line block ×7, first 2 shown]
	v_and_b32_e32 v28, 0xff, v5
	v_cmp_ne_u16_e32 vcc, 0, v28
	v_mov_b32_e32 v52, 0
	v_mov_b32_e32 v55, 0
	s_and_saveexec_b64 s[28:29], vcc
	s_cbranch_execz .LBB2_5886
; %bb.5881:                             ;   in Loop: Header=BB2_5667 Depth=3
	v_cmp_ne_u16_e32 vcc, s87, v28
	v_bfrev_b32_e32 v55, 1
	s_and_saveexec_b64 s[34:35], vcc
	s_cbranch_execz .LBB2_5885
; %bb.5882:                             ;   in Loop: Header=BB2_5667 Depth=3
	v_and_b32_e32 v44, 0x7f, v5
	v_cmp_ne_u32_e32 vcc, s85, v44
	v_mov_b32_e32 v55, 0x7f800001
	s_and_saveexec_b64 s[36:37], vcc
	s_cbranch_execz .LBB2_5884
; %bb.5883:                             ;   in Loop: Header=BB2_5667 Depth=3
	v_and_b32_e32 v55, 7, v28
	v_ffbh_u32_e32 v53, v55
	v_lshrrev_b32_e32 v45, 3, v44
	v_cmp_gt_u32_e32 vcc, 8, v44
	v_min_u32_e32 v44, 32, v53
	v_subrev_u32_e32 v53, 28, v44
	v_lshlrev_b64 v[53:54], v53, v[28:29]
	v_sub_u32_e32 v28, 29, v44
	v_and_b32_e32 v53, 7, v53
	v_cndmask_b32_e32 v28, v45, v28, vcc
	v_cndmask_b32_e32 v53, v55, v53, vcc
	v_lshlrev_b32_e32 v5, 24, v5
	v_lshlrev_b32_e32 v53, 20, v53
	v_and_b32_e32 v5, 0x80000000, v5
	v_lshl_add_u32 v28, v28, 23, v17
	v_or3_b32 v55, v5, v28, v53
.LBB2_5884:                             ;   in Loop: Header=BB2_5667 Depth=3
	s_or_b64 exec, exec, s[36:37]
.LBB2_5885:                             ;   in Loop: Header=BB2_5667 Depth=3
	s_or_b64 exec, exec, s[34:35]
.LBB2_5886:                             ;   in Loop: Header=BB2_5667 Depth=3
	s_or_b64 exec, exec, s[28:29]
	s_waitcnt vmcnt(0) lgkmcnt(0)
	v_and_b32_e32 v28, 0xff, v51
	v_cmp_ne_u16_e32 vcc, 0, v28
	s_and_saveexec_b64 s[28:29], vcc
	s_cbranch_execz .LBB2_5892
; %bb.5887:                             ;   in Loop: Header=BB2_5667 Depth=3
	v_cmp_ne_u16_e32 vcc, s87, v28
	v_bfrev_b32_e32 v52, 1
	s_and_saveexec_b64 s[34:35], vcc
	s_cbranch_execz .LBB2_5891
; %bb.5888:                             ;   in Loop: Header=BB2_5667 Depth=3
	v_and_b32_e32 v5, 0x7f, v51
	v_cmp_ne_u32_e32 vcc, s85, v5
	v_mov_b32_e32 v52, 0x7f800001
	s_and_saveexec_b64 s[36:37], vcc
	s_cbranch_execz .LBB2_5890
; %bb.5889:                             ;   in Loop: Header=BB2_5667 Depth=3
	v_and_b32_e32 v54, 7, v28
	v_lshrrev_b32_e32 v44, 3, v5
	v_cmp_gt_u32_e32 vcc, 8, v5
	v_ffbh_u32_e32 v5, v54
	v_min_u32_e32 v5, 32, v5
	v_subrev_u32_e32 v52, 28, v5
	v_lshlrev_b64 v[52:53], v52, v[28:29]
	v_sub_u32_e32 v5, 29, v5
	v_and_b32_e32 v28, 7, v52
	v_cndmask_b32_e32 v5, v44, v5, vcc
	v_cndmask_b32_e32 v28, v54, v28, vcc
	v_lshlrev_b32_e32 v51, 24, v51
	v_lshlrev_b32_e32 v28, 20, v28
	v_and_b32_e32 v51, 0x80000000, v51
	v_lshl_add_u32 v5, v5, 23, v17
	v_or3_b32 v52, v51, v5, v28
.LBB2_5890:                             ;   in Loop: Header=BB2_5667 Depth=3
	s_or_b64 exec, exec, s[36:37]
.LBB2_5891:                             ;   in Loop: Header=BB2_5667 Depth=3
	s_or_b64 exec, exec, s[34:35]
.LBB2_5892:                             ;   in Loop: Header=BB2_5667 Depth=3
	s_or_b64 exec, exec, s[28:29]
	v_add_f32_e32 v52, v55, v52
	v_and_b32_e32 v28, 0x7f800000, v52
	v_cmp_ne_u64_e32 vcc, s[76:77], v[28:29]
                                        ; implicit-def: $vgpr5
	s_and_saveexec_b64 s[28:29], vcc
	s_xor_b64 s[34:35], exec, s[28:29]
	s_cbranch_execz .LBB2_5910
; %bb.5893:                             ;   in Loop: Header=BB2_5667 Depth=3
	v_and_b32_e32 v28, 0x7fffffff, v52
	v_cmp_gt_u64_e32 vcc, s[78:79], v[28:29]
	v_and_b32_sdwa v51, v52, s87 dst_sel:DWORD dst_unused:UNUSED_PAD src0_sel:BYTE_3 src1_sel:DWORD
                                        ; implicit-def: $vgpr5
	s_and_saveexec_b64 s[28:29], vcc
	s_xor_b64 s[36:37], exec, s[28:29]
	s_cbranch_execz .LBB2_5907
; %bb.5894:                             ;   in Loop: Header=BB2_5667 Depth=3
	v_cmp_ne_u32_e32 vcc, 0, v52
	v_mov_b32_e32 v5, 0
	s_and_saveexec_b64 s[38:39], vcc
	s_cbranch_execz .LBB2_5906
; %bb.5895:                             ;   in Loop: Header=BB2_5667 Depth=3
	v_bfe_u32 v5, v52, 23, 8
	v_and_b32_e32 v28, 0x7fffff, v52
	v_cmp_gt_u32_e64 s[28:29], s96, v5
	v_sub_u32_e32 v52, 0x79, v5
	v_cmp_eq_u32_e32 vcc, 0, v5
	v_cndmask_b32_e64 v52, 0, v52, s[28:29]
	v_or_b32_e32 v53, 0x800000, v28
	v_cndmask_b32_e32 v52, v52, v36, vcc
	v_cndmask_b32_e32 v28, v53, v28, vcc
	v_add_u32_e32 v53, 20, v52
	v_lshlrev_b64 v[53:54], v53, -1
	v_add_u32_e32 v55, 19, v52
	v_lshlrev_b64 v[44:45], v55, 1
	v_bfi_b32 v54, v54, 0, 0
	v_bfi_b32 v53, v53, 0, v28
	v_cmp_eq_u64_e64 s[28:29], v[53:54], v[44:45]
	v_lshrrev_b64 v[44:45], v52, v[28:29]
	v_mov_b32_e32 v46, v45
	v_mov_b32_e32 v45, v44
	s_and_saveexec_b64 s[48:49], s[28:29]
; %bb.5896:                             ;   in Loop: Header=BB2_5667 Depth=3
	v_bfe_u32 v28, v44, 20, 1
	v_add_co_u32_e64 v28, s[28:29], v44, v28
	v_add_co_u32_e64 v45, s[28:29], -1, v28
; %bb.5897:                             ;   in Loop: Header=BB2_5667 Depth=3
	s_or_b64 exec, exec, s[48:49]
	v_add_u32_e32 v5, 0xffffff81, v5
	v_cndmask_b32_e32 v5, v5, v37, vcc
	v_lshrrev_b32_e32 v28, 23, v44
	v_add3_u32 v55, v52, v5, v28
	v_add_u32_e32 v5, 6, v55
	v_and_b32_e32 v28, 0xfffff, v45
	v_add_u32_e32 v28, v28, v44
	v_cmp_ne_u32_e32 vcc, 0, v5
                                        ; implicit-def: $vgpr44_vgpr45
                                        ; implicit-def: $vgpr52
	s_and_saveexec_b64 s[28:29], vcc
	s_xor_b64 s[28:29], exec, s[28:29]
; %bb.5898:                             ;   in Loop: Header=BB2_5667 Depth=3
	v_cmp_lt_u64_e32 vcc, s[88:89], v[28:29]
	v_add_u32_e32 v52, 7, v55
	v_cndmask_b32_e32 v52, v5, v52, vcc
	v_cndmask_b32_e64 v5, 0, 1, vcc
	v_lshrrev_b64 v[44:45], v5, v[28:29]
; %bb.5899:                             ;   in Loop: Header=BB2_5667 Depth=3
	s_andn2_saveexec_b64 s[28:29], s[28:29]
; %bb.5900:                             ;   in Loop: Header=BB2_5667 Depth=3
	v_mov_b32_e32 v45, v29
	v_mov_b32_e32 v44, v28
	v_bfe_u32 v52, v28, 23, 1
; %bb.5901:                             ;   in Loop: Header=BB2_5667 Depth=3
	s_or_b64 exec, exec, s[28:29]
	v_lshrrev_b64 v[53:54], 20, v[44:45]
	v_cmp_gt_i32_e32 vcc, 16, v52
	v_cndmask_b32_e32 v45, 0, v54, vcc
	v_cndmask_b32_e32 v44, 7, v53, vcc
	v_cmp_ne_u64_e32 vcc, 0, v[44:45]
	v_cmp_ne_u32_e64 s[28:29], 0, v52
	s_or_b64 s[28:29], s[28:29], vcc
                                        ; implicit-def: $vgpr5
	s_and_saveexec_b64 s[44:45], s[28:29]
	s_xor_b64 s[28:29], exec, s[44:45]
; %bb.5902:                             ;   in Loop: Header=BB2_5667 Depth=3
	v_min_i32_e32 v5, 15, v52
	v_lshl_or_b32 v5, v5, 3, v51
	v_and_or_b32 v5, v44, 7, v5
                                        ; implicit-def: $vgpr51
; %bb.5903:                             ;   in Loop: Header=BB2_5667 Depth=3
	s_andn2_saveexec_b64 s[28:29], s[28:29]
; %bb.5904:                             ;   in Loop: Header=BB2_5667 Depth=3
	v_mov_b32_e32 v5, v51
; %bb.5905:                             ;   in Loop: Header=BB2_5667 Depth=3
	s_or_b64 exec, exec, s[28:29]
.LBB2_5906:                             ;   in Loop: Header=BB2_5667 Depth=3
	s_or_b64 exec, exec, s[38:39]
                                        ; implicit-def: $vgpr51
.LBB2_5907:                             ;   in Loop: Header=BB2_5667 Depth=3
	s_andn2_saveexec_b64 s[28:29], s[36:37]
; %bb.5908:                             ;   in Loop: Header=BB2_5667 Depth=3
	v_or_b32_e32 v5, 0x7e, v51
; %bb.5909:                             ;   in Loop: Header=BB2_5667 Depth=3
	s_or_b64 exec, exec, s[28:29]
                                        ; implicit-def: $vgpr52
.LBB2_5910:                             ;   in Loop: Header=BB2_5667 Depth=3
	s_andn2_saveexec_b64 s[28:29], s[34:35]
; %bb.5911:                             ;   in Loop: Header=BB2_5667 Depth=3
	v_or_b32_sdwa v5, v52, s85 dst_sel:DWORD dst_unused:UNUSED_PAD src0_sel:BYTE_3 src1_sel:DWORD
; %bb.5912:                             ;   in Loop: Header=BB2_5667 Depth=3
	s_or_b64 exec, exec, s[28:29]
	v_and_b32_e32 v28, 0xff, v30
	v_cmp_ne_u16_e32 vcc, 0, v28
	v_mov_b32_e32 v51, 0
	v_mov_b32_e32 v52, 0
	s_and_saveexec_b64 s[28:29], vcc
	s_cbranch_execz .LBB2_5918
; %bb.5913:                             ;   in Loop: Header=BB2_5667 Depth=3
	v_cmp_ne_u16_e32 vcc, s87, v28
	v_bfrev_b32_e32 v52, 1
	s_and_saveexec_b64 s[34:35], vcc
	s_cbranch_execz .LBB2_5917
; %bb.5914:                             ;   in Loop: Header=BB2_5667 Depth=3
	v_and_b32_e32 v55, 0x7f, v30
	v_cmp_ne_u32_e32 vcc, s85, v55
	v_mov_b32_e32 v52, 0x7f800001
	s_and_saveexec_b64 s[36:37], vcc
	s_cbranch_execz .LBB2_5916
; %bb.5915:                             ;   in Loop: Header=BB2_5667 Depth=3
	v_and_b32_e32 v54, 7, v28
	v_ffbh_u32_e32 v52, v54
	v_lshrrev_b32_e32 v44, 3, v55
	v_cmp_gt_u32_e32 vcc, 8, v55
	v_min_u32_e32 v55, 32, v52
	v_subrev_u32_e32 v52, 28, v55
	v_lshlrev_b64 v[52:53], v52, v[28:29]
	v_sub_u32_e32 v28, 29, v55
	v_and_b32_e32 v52, 7, v52
	v_cndmask_b32_e32 v28, v44, v28, vcc
	v_cndmask_b32_e32 v52, v54, v52, vcc
	v_lshlrev_b32_e32 v30, 24, v30
	v_lshlrev_b32_e32 v52, 20, v52
	v_and_b32_e32 v30, 0x80000000, v30
	v_lshl_add_u32 v28, v28, 23, v17
	v_or3_b32 v52, v30, v28, v52
.LBB2_5916:                             ;   in Loop: Header=BB2_5667 Depth=3
	s_or_b64 exec, exec, s[36:37]
.LBB2_5917:                             ;   in Loop: Header=BB2_5667 Depth=3
	s_or_b64 exec, exec, s[34:35]
.LBB2_5918:                             ;   in Loop: Header=BB2_5667 Depth=3
	s_or_b64 exec, exec, s[28:29]
	v_and_b32_e32 v28, 0xff, v49
	v_cmp_ne_u16_e32 vcc, 0, v28
	s_and_saveexec_b64 s[28:29], vcc
	s_cbranch_execz .LBB2_5924
; %bb.5919:                             ;   in Loop: Header=BB2_5667 Depth=3
	v_cmp_ne_u16_e32 vcc, s87, v28
	v_bfrev_b32_e32 v51, 1
	s_and_saveexec_b64 s[34:35], vcc
	s_cbranch_execz .LBB2_5923
; %bb.5920:                             ;   in Loop: Header=BB2_5667 Depth=3
	v_and_b32_e32 v30, 0x7f, v49
	v_cmp_ne_u32_e32 vcc, s85, v30
	v_mov_b32_e32 v51, 0x7f800001
	s_and_saveexec_b64 s[36:37], vcc
	s_cbranch_execz .LBB2_5922
; %bb.5921:                             ;   in Loop: Header=BB2_5667 Depth=3
	v_and_b32_e32 v51, 7, v28
	v_lshrrev_b32_e32 v55, 3, v30
	v_cmp_gt_u32_e32 vcc, 8, v30
	v_ffbh_u32_e32 v30, v51
	v_min_u32_e32 v30, 32, v30
	v_subrev_u32_e32 v53, 28, v30
	v_lshlrev_b64 v[53:54], v53, v[28:29]
	v_sub_u32_e32 v28, 29, v30
	v_and_b32_e32 v30, 7, v53
	v_cndmask_b32_e32 v28, v55, v28, vcc
	v_cndmask_b32_e32 v30, v51, v30, vcc
	v_lshlrev_b32_e32 v49, 24, v49
	v_lshlrev_b32_e32 v30, 20, v30
	v_and_b32_e32 v49, 0x80000000, v49
	v_lshl_add_u32 v28, v28, 23, v17
	v_or3_b32 v51, v49, v28, v30
.LBB2_5922:                             ;   in Loop: Header=BB2_5667 Depth=3
	s_or_b64 exec, exec, s[36:37]
.LBB2_5923:                             ;   in Loop: Header=BB2_5667 Depth=3
	s_or_b64 exec, exec, s[34:35]
.LBB2_5924:                             ;   in Loop: Header=BB2_5667 Depth=3
	s_or_b64 exec, exec, s[28:29]
	v_add_f32_e32 v51, v52, v51
	v_and_b32_e32 v28, 0x7f800000, v51
	v_cmp_ne_u64_e32 vcc, s[76:77], v[28:29]
                                        ; implicit-def: $vgpr30
	s_and_saveexec_b64 s[28:29], vcc
	s_xor_b64 s[34:35], exec, s[28:29]
	s_cbranch_execz .LBB2_5942
; %bb.5925:                             ;   in Loop: Header=BB2_5667 Depth=3
	v_and_b32_e32 v28, 0x7fffffff, v51
	v_cmp_gt_u64_e32 vcc, s[78:79], v[28:29]
	v_and_b32_sdwa v49, v51, s87 dst_sel:DWORD dst_unused:UNUSED_PAD src0_sel:BYTE_3 src1_sel:DWORD
                                        ; implicit-def: $vgpr30
	s_and_saveexec_b64 s[28:29], vcc
	s_xor_b64 s[36:37], exec, s[28:29]
	s_cbranch_execz .LBB2_5939
; %bb.5926:                             ;   in Loop: Header=BB2_5667 Depth=3
	v_cmp_ne_u32_e32 vcc, 0, v51
	v_mov_b32_e32 v30, 0
	s_and_saveexec_b64 s[38:39], vcc
	s_cbranch_execz .LBB2_5938
; %bb.5927:                             ;   in Loop: Header=BB2_5667 Depth=3
	v_bfe_u32 v30, v51, 23, 8
	v_and_b32_e32 v28, 0x7fffff, v51
	v_cmp_gt_u32_e64 s[28:29], s96, v30
	v_sub_u32_e32 v51, 0x79, v30
	v_cmp_eq_u32_e32 vcc, 0, v30
	v_cndmask_b32_e64 v51, 0, v51, s[28:29]
	v_or_b32_e32 v52, 0x800000, v28
	v_cndmask_b32_e32 v51, v51, v36, vcc
	v_cndmask_b32_e32 v28, v52, v28, vcc
	v_add_u32_e32 v52, 20, v51
	v_lshlrev_b64 v[52:53], v52, -1
	v_add_u32_e32 v54, 19, v51
	v_lshlrev_b64 v[54:55], v54, 1
	v_lshrrev_b64 v[44:45], v51, v[28:29]
	v_bfi_b32 v53, v53, 0, 0
	v_bfi_b32 v52, v52, 0, v28
	v_cmp_eq_u64_e64 s[28:29], v[52:53], v[54:55]
	v_mov_b32_e32 v46, v45
	v_mov_b32_e32 v45, v44
	s_and_saveexec_b64 s[48:49], s[28:29]
; %bb.5928:                             ;   in Loop: Header=BB2_5667 Depth=3
	v_bfe_u32 v28, v44, 20, 1
	v_add_co_u32_e64 v28, s[28:29], v44, v28
	v_add_co_u32_e64 v45, s[28:29], -1, v28
; %bb.5929:                             ;   in Loop: Header=BB2_5667 Depth=3
	s_or_b64 exec, exec, s[48:49]
	v_add_u32_e32 v28, 0xffffff81, v30
	v_cndmask_b32_e32 v28, v28, v37, vcc
	v_lshrrev_b32_e32 v30, 23, v44
	v_add3_u32 v52, v51, v28, v30
	v_add_u32_e32 v30, 6, v52
	v_and_b32_e32 v28, 0xfffff, v45
	v_add_u32_e32 v28, v28, v44
	v_cmp_ne_u32_e32 vcc, 0, v30
                                        ; implicit-def: $vgpr44_vgpr45
                                        ; implicit-def: $vgpr51
	s_and_saveexec_b64 s[28:29], vcc
	s_xor_b64 s[28:29], exec, s[28:29]
; %bb.5930:                             ;   in Loop: Header=BB2_5667 Depth=3
	v_cmp_lt_u64_e32 vcc, s[88:89], v[28:29]
	v_add_u32_e32 v51, 7, v52
	v_cndmask_b32_e32 v51, v30, v51, vcc
	v_cndmask_b32_e64 v30, 0, 1, vcc
	v_lshrrev_b64 v[44:45], v30, v[28:29]
; %bb.5931:                             ;   in Loop: Header=BB2_5667 Depth=3
	s_andn2_saveexec_b64 s[28:29], s[28:29]
; %bb.5932:                             ;   in Loop: Header=BB2_5667 Depth=3
	v_mov_b32_e32 v45, v29
	v_mov_b32_e32 v44, v28
	v_bfe_u32 v51, v28, 23, 1
; %bb.5933:                             ;   in Loop: Header=BB2_5667 Depth=3
	s_or_b64 exec, exec, s[28:29]
	v_lshrrev_b64 v[52:53], 20, v[44:45]
	v_cmp_gt_i32_e32 vcc, 16, v51
	v_cndmask_b32_e32 v45, 0, v53, vcc
	v_cndmask_b32_e32 v44, 7, v52, vcc
	v_cmp_ne_u64_e32 vcc, 0, v[44:45]
	v_cmp_ne_u32_e64 s[28:29], 0, v51
	s_or_b64 s[28:29], s[28:29], vcc
                                        ; implicit-def: $vgpr30
	s_and_saveexec_b64 s[44:45], s[28:29]
	s_xor_b64 s[28:29], exec, s[44:45]
; %bb.5934:                             ;   in Loop: Header=BB2_5667 Depth=3
	v_min_i32_e32 v28, 15, v51
	v_lshl_or_b32 v28, v28, 3, v49
	v_and_or_b32 v30, v44, 7, v28
                                        ; implicit-def: $vgpr49
; %bb.5935:                             ;   in Loop: Header=BB2_5667 Depth=3
	s_andn2_saveexec_b64 s[28:29], s[28:29]
; %bb.5936:                             ;   in Loop: Header=BB2_5667 Depth=3
	v_mov_b32_e32 v30, v49
; %bb.5937:                             ;   in Loop: Header=BB2_5667 Depth=3
	s_or_b64 exec, exec, s[28:29]
.LBB2_5938:                             ;   in Loop: Header=BB2_5667 Depth=3
	s_or_b64 exec, exec, s[38:39]
                                        ; implicit-def: $vgpr49
.LBB2_5939:                             ;   in Loop: Header=BB2_5667 Depth=3
	s_andn2_saveexec_b64 s[28:29], s[36:37]
; %bb.5940:                             ;   in Loop: Header=BB2_5667 Depth=3
	v_or_b32_e32 v30, 0x7e, v49
; %bb.5941:                             ;   in Loop: Header=BB2_5667 Depth=3
	s_or_b64 exec, exec, s[28:29]
                                        ; implicit-def: $vgpr51
.LBB2_5942:                             ;   in Loop: Header=BB2_5667 Depth=3
	s_andn2_saveexec_b64 s[28:29], s[34:35]
; %bb.5943:                             ;   in Loop: Header=BB2_5667 Depth=3
	v_or_b32_sdwa v30, v51, s85 dst_sel:DWORD dst_unused:UNUSED_PAD src0_sel:BYTE_3 src1_sel:DWORD
; %bb.5944:                             ;   in Loop: Header=BB2_5667 Depth=3
	s_or_b64 exec, exec, s[28:29]
	v_and_b32_e32 v28, 0xff, v23
	v_cmp_ne_u16_e32 vcc, 0, v28
	v_mov_b32_e32 v49, 0
	v_mov_b32_e32 v51, 0
	s_and_saveexec_b64 s[28:29], vcc
	s_cbranch_execz .LBB2_5950
; %bb.5945:                             ;   in Loop: Header=BB2_5667 Depth=3
	v_cmp_ne_u16_e32 vcc, s87, v28
	v_bfrev_b32_e32 v51, 1
	s_and_saveexec_b64 s[34:35], vcc
	s_cbranch_execz .LBB2_5949
; %bb.5946:                             ;   in Loop: Header=BB2_5667 Depth=3
	v_and_b32_e32 v52, 0x7f, v23
	v_cmp_ne_u32_e32 vcc, s85, v52
	v_mov_b32_e32 v51, 0x7f800001
	s_and_saveexec_b64 s[36:37], vcc
	s_cbranch_execz .LBB2_5948
; %bb.5947:                             ;   in Loop: Header=BB2_5667 Depth=3
	v_and_b32_e32 v53, 7, v28
	v_ffbh_u32_e32 v51, v53
	v_min_u32_e32 v55, 32, v51
	v_subrev_u32_e32 v51, 28, v55
	v_lshrrev_b32_e32 v54, 3, v52
	v_cmp_gt_u32_e32 vcc, 8, v52
	v_lshlrev_b64 v[51:52], v51, v[28:29]
	v_sub_u32_e32 v28, 29, v55
	v_and_b32_e32 v51, 7, v51
	v_cndmask_b32_e32 v28, v54, v28, vcc
	v_cndmask_b32_e32 v51, v53, v51, vcc
	v_lshlrev_b32_e32 v23, 24, v23
	v_lshlrev_b32_e32 v51, 20, v51
	v_and_b32_e32 v23, 0x80000000, v23
	v_lshl_add_u32 v28, v28, 23, v17
	v_or3_b32 v51, v23, v28, v51
.LBB2_5948:                             ;   in Loop: Header=BB2_5667 Depth=3
	s_or_b64 exec, exec, s[36:37]
.LBB2_5949:                             ;   in Loop: Header=BB2_5667 Depth=3
	s_or_b64 exec, exec, s[34:35]
.LBB2_5950:                             ;   in Loop: Header=BB2_5667 Depth=3
	s_or_b64 exec, exec, s[28:29]
	v_and_b32_e32 v28, 0xff, v48
	v_cmp_ne_u16_e32 vcc, 0, v28
	s_and_saveexec_b64 s[28:29], vcc
	s_cbranch_execz .LBB2_5956
; %bb.5951:                             ;   in Loop: Header=BB2_5667 Depth=3
	v_cmp_ne_u16_e32 vcc, s87, v28
	v_bfrev_b32_e32 v49, 1
	s_and_saveexec_b64 s[34:35], vcc
	s_cbranch_execz .LBB2_5955
; %bb.5952:                             ;   in Loop: Header=BB2_5667 Depth=3
	v_and_b32_e32 v23, 0x7f, v48
	v_cmp_ne_u32_e32 vcc, s85, v23
	v_mov_b32_e32 v49, 0x7f800001
	s_and_saveexec_b64 s[36:37], vcc
	s_cbranch_execz .LBB2_5954
; %bb.5953:                             ;   in Loop: Header=BB2_5667 Depth=3
	v_and_b32_e32 v49, 7, v28
	v_lshrrev_b32_e32 v54, 3, v23
	v_cmp_gt_u32_e32 vcc, 8, v23
	v_ffbh_u32_e32 v23, v49
	v_min_u32_e32 v23, 32, v23
	v_subrev_u32_e32 v52, 28, v23
	v_lshlrev_b64 v[52:53], v52, v[28:29]
	v_sub_u32_e32 v23, 29, v23
	v_and_b32_e32 v28, 7, v52
	v_cndmask_b32_e32 v23, v54, v23, vcc
	v_cndmask_b32_e32 v28, v49, v28, vcc
	v_lshlrev_b32_e32 v48, 24, v48
	v_lshlrev_b32_e32 v28, 20, v28
	v_and_b32_e32 v48, 0x80000000, v48
	v_lshl_add_u32 v23, v23, 23, v17
	v_or3_b32 v49, v48, v23, v28
.LBB2_5954:                             ;   in Loop: Header=BB2_5667 Depth=3
	s_or_b64 exec, exec, s[36:37]
.LBB2_5955:                             ;   in Loop: Header=BB2_5667 Depth=3
	s_or_b64 exec, exec, s[34:35]
.LBB2_5956:                             ;   in Loop: Header=BB2_5667 Depth=3
	s_or_b64 exec, exec, s[28:29]
	v_add_f32_e32 v49, v51, v49
	v_and_b32_e32 v28, 0x7f800000, v49
	v_cmp_ne_u64_e32 vcc, s[76:77], v[28:29]
                                        ; implicit-def: $vgpr23
	s_and_saveexec_b64 s[28:29], vcc
	s_xor_b64 s[34:35], exec, s[28:29]
	s_cbranch_execz .LBB2_5974
; %bb.5957:                             ;   in Loop: Header=BB2_5667 Depth=3
	v_and_b32_e32 v28, 0x7fffffff, v49
	v_cmp_gt_u64_e32 vcc, s[78:79], v[28:29]
	v_and_b32_sdwa v48, v49, s87 dst_sel:DWORD dst_unused:UNUSED_PAD src0_sel:BYTE_3 src1_sel:DWORD
                                        ; implicit-def: $vgpr23
	s_and_saveexec_b64 s[28:29], vcc
	s_xor_b64 s[36:37], exec, s[28:29]
	s_cbranch_execz .LBB2_5971
; %bb.5958:                             ;   in Loop: Header=BB2_5667 Depth=3
	v_cmp_ne_u32_e32 vcc, 0, v49
	v_mov_b32_e32 v23, 0
	s_and_saveexec_b64 s[38:39], vcc
	s_cbranch_execz .LBB2_5970
; %bb.5959:                             ;   in Loop: Header=BB2_5667 Depth=3
	v_bfe_u32 v23, v49, 23, 8
	v_and_b32_e32 v28, 0x7fffff, v49
	v_cmp_gt_u32_e64 s[28:29], s96, v23
	v_sub_u32_e32 v49, 0x79, v23
	v_cmp_eq_u32_e32 vcc, 0, v23
	v_cndmask_b32_e64 v49, 0, v49, s[28:29]
	v_or_b32_e32 v51, 0x800000, v28
	v_cndmask_b32_e32 v49, v49, v36, vcc
	v_cndmask_b32_e32 v28, v51, v28, vcc
	v_add_u32_e32 v51, 20, v49
	v_lshlrev_b64 v[51:52], v51, -1
	v_add_u32_e32 v53, 19, v49
	v_lshlrev_b64 v[53:54], v53, 1
	v_lshrrev_b64 v[44:45], v49, v[28:29]
	v_bfi_b32 v52, v52, 0, 0
	v_bfi_b32 v51, v51, 0, v28
	v_cmp_eq_u64_e64 s[28:29], v[51:52], v[53:54]
	v_mov_b32_e32 v46, v45
	v_mov_b32_e32 v45, v44
	s_and_saveexec_b64 s[48:49], s[28:29]
; %bb.5960:                             ;   in Loop: Header=BB2_5667 Depth=3
	v_bfe_u32 v28, v44, 20, 1
	v_add_co_u32_e64 v28, s[28:29], v44, v28
	v_add_co_u32_e64 v45, s[28:29], -1, v28
; %bb.5961:                             ;   in Loop: Header=BB2_5667 Depth=3
	s_or_b64 exec, exec, s[48:49]
	v_add_u32_e32 v23, 0xffffff81, v23
	v_cndmask_b32_e32 v23, v23, v37, vcc
	v_lshrrev_b32_e32 v28, 23, v44
	v_add3_u32 v51, v49, v23, v28
	v_add_u32_e32 v23, 6, v51
	v_and_b32_e32 v28, 0xfffff, v45
	v_add_u32_e32 v28, v28, v44
	v_cmp_ne_u32_e32 vcc, 0, v23
                                        ; implicit-def: $vgpr44_vgpr45
                                        ; implicit-def: $vgpr49
	s_and_saveexec_b64 s[28:29], vcc
	s_xor_b64 s[28:29], exec, s[28:29]
; %bb.5962:                             ;   in Loop: Header=BB2_5667 Depth=3
	v_cmp_lt_u64_e32 vcc, s[88:89], v[28:29]
	v_add_u32_e32 v49, 7, v51
	v_cndmask_b32_e32 v49, v23, v49, vcc
	v_cndmask_b32_e64 v23, 0, 1, vcc
	v_lshrrev_b64 v[44:45], v23, v[28:29]
; %bb.5963:                             ;   in Loop: Header=BB2_5667 Depth=3
	s_andn2_saveexec_b64 s[28:29], s[28:29]
; %bb.5964:                             ;   in Loop: Header=BB2_5667 Depth=3
	v_mov_b32_e32 v45, v29
	v_mov_b32_e32 v44, v28
	v_bfe_u32 v49, v28, 23, 1
; %bb.5965:                             ;   in Loop: Header=BB2_5667 Depth=3
	s_or_b64 exec, exec, s[28:29]
	v_lshrrev_b64 v[51:52], 20, v[44:45]
	v_cmp_gt_i32_e32 vcc, 16, v49
	v_cndmask_b32_e32 v45, 0, v52, vcc
	v_cndmask_b32_e32 v44, 7, v51, vcc
	v_cmp_ne_u64_e32 vcc, 0, v[44:45]
	v_cmp_ne_u32_e64 s[28:29], 0, v49
	s_or_b64 s[28:29], s[28:29], vcc
                                        ; implicit-def: $vgpr23
	s_and_saveexec_b64 s[44:45], s[28:29]
	s_xor_b64 s[28:29], exec, s[44:45]
; %bb.5966:                             ;   in Loop: Header=BB2_5667 Depth=3
	v_min_i32_e32 v23, 15, v49
	v_lshl_or_b32 v23, v23, 3, v48
	v_and_or_b32 v23, v44, 7, v23
                                        ; implicit-def: $vgpr48
; %bb.5967:                             ;   in Loop: Header=BB2_5667 Depth=3
	s_andn2_saveexec_b64 s[28:29], s[28:29]
; %bb.5968:                             ;   in Loop: Header=BB2_5667 Depth=3
	v_mov_b32_e32 v23, v48
; %bb.5969:                             ;   in Loop: Header=BB2_5667 Depth=3
	s_or_b64 exec, exec, s[28:29]
.LBB2_5970:                             ;   in Loop: Header=BB2_5667 Depth=3
	s_or_b64 exec, exec, s[38:39]
                                        ; implicit-def: $vgpr48
.LBB2_5971:                             ;   in Loop: Header=BB2_5667 Depth=3
	s_andn2_saveexec_b64 s[28:29], s[36:37]
; %bb.5972:                             ;   in Loop: Header=BB2_5667 Depth=3
	v_or_b32_e32 v23, 0x7e, v48
; %bb.5973:                             ;   in Loop: Header=BB2_5667 Depth=3
	s_or_b64 exec, exec, s[28:29]
                                        ; implicit-def: $vgpr49
.LBB2_5974:                             ;   in Loop: Header=BB2_5667 Depth=3
	s_andn2_saveexec_b64 s[28:29], s[34:35]
; %bb.5975:                             ;   in Loop: Header=BB2_5667 Depth=3
	v_or_b32_sdwa v23, v49, s85 dst_sel:DWORD dst_unused:UNUSED_PAD src0_sel:BYTE_3 src1_sel:DWORD
; %bb.5976:                             ;   in Loop: Header=BB2_5667 Depth=3
	s_or_b64 exec, exec, s[28:29]
	v_and_b32_e32 v28, 0xff, v22
	v_cmp_ne_u16_e32 vcc, 0, v28
	v_mov_b32_e32 v48, 0
	v_mov_b32_e32 v49, 0
	s_and_saveexec_b64 s[28:29], vcc
	s_cbranch_execz .LBB2_5982
; %bb.5977:                             ;   in Loop: Header=BB2_5667 Depth=3
	v_cmp_ne_u16_e32 vcc, s87, v28
	v_bfrev_b32_e32 v49, 1
	s_and_saveexec_b64 s[34:35], vcc
	s_cbranch_execz .LBB2_5981
; %bb.5978:                             ;   in Loop: Header=BB2_5667 Depth=3
	v_and_b32_e32 v51, 0x7f, v22
	v_cmp_ne_u32_e32 vcc, s85, v51
	v_mov_b32_e32 v49, 0x7f800001
	s_and_saveexec_b64 s[36:37], vcc
	s_cbranch_execz .LBB2_5980
; %bb.5979:                             ;   in Loop: Header=BB2_5667 Depth=3
	v_and_b32_e32 v49, 7, v28
	v_lshrrev_b32_e32 v53, 3, v51
	v_cmp_gt_u32_e32 vcc, 8, v51
	v_ffbh_u32_e32 v51, v49
	v_min_u32_e32 v54, 32, v51
	v_subrev_u32_e32 v51, 28, v54
	v_lshlrev_b64 v[51:52], v51, v[28:29]
	v_sub_u32_e32 v28, 29, v54
	v_and_b32_e32 v51, 7, v51
	v_cndmask_b32_e32 v28, v53, v28, vcc
	v_cndmask_b32_e32 v49, v49, v51, vcc
	v_lshlrev_b32_e32 v22, 24, v22
	v_lshlrev_b32_e32 v49, 20, v49
	v_and_b32_e32 v22, 0x80000000, v22
	v_lshl_add_u32 v28, v28, 23, v17
	v_or3_b32 v49, v22, v28, v49
.LBB2_5980:                             ;   in Loop: Header=BB2_5667 Depth=3
	s_or_b64 exec, exec, s[36:37]
.LBB2_5981:                             ;   in Loop: Header=BB2_5667 Depth=3
	s_or_b64 exec, exec, s[34:35]
.LBB2_5982:                             ;   in Loop: Header=BB2_5667 Depth=3
	s_or_b64 exec, exec, s[28:29]
	v_and_b32_e32 v28, 0xff, v35
	v_cmp_ne_u16_e32 vcc, 0, v28
	s_and_saveexec_b64 s[28:29], vcc
	s_cbranch_execz .LBB2_5988
; %bb.5983:                             ;   in Loop: Header=BB2_5667 Depth=3
	v_cmp_ne_u16_e32 vcc, s87, v28
	v_bfrev_b32_e32 v48, 1
	s_and_saveexec_b64 s[34:35], vcc
	s_cbranch_execz .LBB2_5987
; %bb.5984:                             ;   in Loop: Header=BB2_5667 Depth=3
	v_and_b32_e32 v22, 0x7f, v35
	v_cmp_ne_u32_e32 vcc, s85, v22
	v_mov_b32_e32 v48, 0x7f800001
	s_and_saveexec_b64 s[36:37], vcc
	s_cbranch_execz .LBB2_5986
; %bb.5985:                             ;   in Loop: Header=BB2_5667 Depth=3
	v_and_b32_e32 v48, 7, v28
	v_lshrrev_b32_e32 v53, 3, v22
	v_cmp_gt_u32_e32 vcc, 8, v22
	v_ffbh_u32_e32 v22, v48
	v_min_u32_e32 v22, 32, v22
	v_subrev_u32_e32 v51, 28, v22
	v_lshlrev_b64 v[51:52], v51, v[28:29]
	v_sub_u32_e32 v22, 29, v22
	v_and_b32_e32 v28, 7, v51
	v_cndmask_b32_e32 v22, v53, v22, vcc
	v_cndmask_b32_e32 v28, v48, v28, vcc
	v_lshlrev_b32_e32 v35, 24, v35
	v_lshlrev_b32_e32 v28, 20, v28
	v_and_b32_e32 v35, 0x80000000, v35
	v_lshl_add_u32 v22, v22, 23, v17
	v_or3_b32 v48, v35, v22, v28
.LBB2_5986:                             ;   in Loop: Header=BB2_5667 Depth=3
	s_or_b64 exec, exec, s[36:37]
.LBB2_5987:                             ;   in Loop: Header=BB2_5667 Depth=3
	s_or_b64 exec, exec, s[34:35]
.LBB2_5988:                             ;   in Loop: Header=BB2_5667 Depth=3
	s_or_b64 exec, exec, s[28:29]
	v_add_f32_e32 v48, v49, v48
	v_and_b32_e32 v28, 0x7f800000, v48
	v_cmp_ne_u64_e32 vcc, s[76:77], v[28:29]
                                        ; implicit-def: $vgpr22
	s_and_saveexec_b64 s[28:29], vcc
	s_xor_b64 s[34:35], exec, s[28:29]
	s_cbranch_execz .LBB2_6006
; %bb.5989:                             ;   in Loop: Header=BB2_5667 Depth=3
	v_and_b32_e32 v28, 0x7fffffff, v48
	v_cmp_gt_u64_e32 vcc, s[78:79], v[28:29]
	v_and_b32_sdwa v35, v48, s87 dst_sel:DWORD dst_unused:UNUSED_PAD src0_sel:BYTE_3 src1_sel:DWORD
                                        ; implicit-def: $vgpr22
	s_and_saveexec_b64 s[28:29], vcc
	s_xor_b64 s[36:37], exec, s[28:29]
	s_cbranch_execz .LBB2_6003
; %bb.5990:                             ;   in Loop: Header=BB2_5667 Depth=3
	v_cmp_ne_u32_e32 vcc, 0, v48
	v_mov_b32_e32 v22, 0
	s_and_saveexec_b64 s[38:39], vcc
	s_cbranch_execz .LBB2_6002
; %bb.5991:                             ;   in Loop: Header=BB2_5667 Depth=3
	v_bfe_u32 v22, v48, 23, 8
	v_and_b32_e32 v28, 0x7fffff, v48
	v_cmp_gt_u32_e64 s[28:29], s96, v22
	v_sub_u32_e32 v48, 0x79, v22
	v_cmp_eq_u32_e32 vcc, 0, v22
	v_cndmask_b32_e64 v48, 0, v48, s[28:29]
	v_or_b32_e32 v49, 0x800000, v28
	v_cndmask_b32_e32 v48, v48, v36, vcc
	v_cndmask_b32_e32 v28, v49, v28, vcc
	v_add_u32_e32 v49, 20, v48
	v_lshlrev_b64 v[51:52], v49, -1
	v_add_u32_e32 v49, 19, v48
	v_lshlrev_b64 v[53:54], v49, 1
	v_lshrrev_b64 v[44:45], v48, v[28:29]
	v_bfi_b32 v52, v52, 0, 0
	v_bfi_b32 v51, v51, 0, v28
	v_cmp_eq_u64_e64 s[28:29], v[51:52], v[53:54]
	v_mov_b32_e32 v46, v45
	v_mov_b32_e32 v45, v44
	s_and_saveexec_b64 s[48:49], s[28:29]
; %bb.5992:                             ;   in Loop: Header=BB2_5667 Depth=3
	v_bfe_u32 v28, v44, 20, 1
	v_add_co_u32_e64 v28, s[28:29], v44, v28
	v_add_co_u32_e64 v45, s[28:29], -1, v28
; %bb.5993:                             ;   in Loop: Header=BB2_5667 Depth=3
	s_or_b64 exec, exec, s[48:49]
	v_add_u32_e32 v22, 0xffffff81, v22
	v_cndmask_b32_e32 v22, v22, v37, vcc
	v_lshrrev_b32_e32 v28, 23, v44
	v_add3_u32 v49, v48, v22, v28
	v_add_u32_e32 v22, 6, v49
	v_and_b32_e32 v28, 0xfffff, v45
	v_add_u32_e32 v28, v28, v44
	v_cmp_ne_u32_e32 vcc, 0, v22
                                        ; implicit-def: $vgpr44_vgpr45
                                        ; implicit-def: $vgpr48
	s_and_saveexec_b64 s[28:29], vcc
	s_xor_b64 s[28:29], exec, s[28:29]
; %bb.5994:                             ;   in Loop: Header=BB2_5667 Depth=3
	v_cmp_lt_u64_e32 vcc, s[88:89], v[28:29]
	v_add_u32_e32 v48, 7, v49
	v_cndmask_b32_e32 v48, v22, v48, vcc
	v_cndmask_b32_e64 v22, 0, 1, vcc
	v_lshrrev_b64 v[44:45], v22, v[28:29]
; %bb.5995:                             ;   in Loop: Header=BB2_5667 Depth=3
	s_andn2_saveexec_b64 s[28:29], s[28:29]
; %bb.5996:                             ;   in Loop: Header=BB2_5667 Depth=3
	v_mov_b32_e32 v45, v29
	v_mov_b32_e32 v44, v28
	v_bfe_u32 v48, v28, 23, 1
; %bb.5997:                             ;   in Loop: Header=BB2_5667 Depth=3
	s_or_b64 exec, exec, s[28:29]
	v_lshrrev_b64 v[51:52], 20, v[44:45]
	v_cmp_gt_i32_e32 vcc, 16, v48
	v_cndmask_b32_e32 v45, 0, v52, vcc
	v_cndmask_b32_e32 v44, 7, v51, vcc
	v_cmp_ne_u64_e32 vcc, 0, v[44:45]
	v_cmp_ne_u32_e64 s[28:29], 0, v48
	s_or_b64 s[28:29], s[28:29], vcc
                                        ; implicit-def: $vgpr22
	s_and_saveexec_b64 s[44:45], s[28:29]
	s_xor_b64 s[28:29], exec, s[44:45]
; %bb.5998:                             ;   in Loop: Header=BB2_5667 Depth=3
	v_min_i32_e32 v22, 15, v48
	v_lshl_or_b32 v22, v22, 3, v35
	v_and_or_b32 v22, v44, 7, v22
                                        ; implicit-def: $vgpr35
; %bb.5999:                             ;   in Loop: Header=BB2_5667 Depth=3
	s_andn2_saveexec_b64 s[28:29], s[28:29]
; %bb.6000:                             ;   in Loop: Header=BB2_5667 Depth=3
	v_mov_b32_e32 v22, v35
; %bb.6001:                             ;   in Loop: Header=BB2_5667 Depth=3
	s_or_b64 exec, exec, s[28:29]
.LBB2_6002:                             ;   in Loop: Header=BB2_5667 Depth=3
	s_or_b64 exec, exec, s[38:39]
                                        ; implicit-def: $vgpr35
.LBB2_6003:                             ;   in Loop: Header=BB2_5667 Depth=3
	s_andn2_saveexec_b64 s[28:29], s[36:37]
; %bb.6004:                             ;   in Loop: Header=BB2_5667 Depth=3
	v_or_b32_e32 v22, 0x7e, v35
; %bb.6005:                             ;   in Loop: Header=BB2_5667 Depth=3
	s_or_b64 exec, exec, s[28:29]
                                        ; implicit-def: $vgpr48
.LBB2_6006:                             ;   in Loop: Header=BB2_5667 Depth=3
	s_andn2_saveexec_b64 s[28:29], s[34:35]
; %bb.6007:                             ;   in Loop: Header=BB2_5667 Depth=3
	v_or_b32_sdwa v22, v48, s85 dst_sel:DWORD dst_unused:UNUSED_PAD src0_sel:BYTE_3 src1_sel:DWORD
; %bb.6008:                             ;   in Loop: Header=BB2_5667 Depth=3
	s_or_b64 exec, exec, s[28:29]
	v_and_b32_e32 v28, 0xff, v16
	v_cmp_ne_u16_e32 vcc, 0, v28
	v_mov_b32_e32 v35, 0
	v_mov_b32_e32 v48, 0
	s_and_saveexec_b64 s[28:29], vcc
	s_cbranch_execz .LBB2_6014
; %bb.6009:                             ;   in Loop: Header=BB2_5667 Depth=3
	v_cmp_ne_u16_e32 vcc, s87, v28
	v_bfrev_b32_e32 v48, 1
	s_and_saveexec_b64 s[34:35], vcc
	s_cbranch_execz .LBB2_6013
; %bb.6010:                             ;   in Loop: Header=BB2_5667 Depth=3
	v_and_b32_e32 v49, 0x7f, v16
	v_cmp_ne_u32_e32 vcc, s85, v49
	v_mov_b32_e32 v48, 0x7f800001
	s_and_saveexec_b64 s[36:37], vcc
	s_cbranch_execz .LBB2_6012
; %bb.6011:                             ;   in Loop: Header=BB2_5667 Depth=3
	v_and_b32_e32 v51, 7, v28
	v_ffbh_u32_e32 v48, v51
	v_min_u32_e32 v53, 32, v48
	v_subrev_u32_e32 v48, 28, v53
	v_lshrrev_b32_e32 v52, 3, v49
	v_cmp_gt_u32_e32 vcc, 8, v49
	v_lshlrev_b64 v[48:49], v48, v[28:29]
	v_sub_u32_e32 v28, 29, v53
	v_and_b32_e32 v48, 7, v48
	v_cndmask_b32_e32 v28, v52, v28, vcc
	v_cndmask_b32_e32 v48, v51, v48, vcc
	v_lshlrev_b32_e32 v16, 24, v16
	v_lshlrev_b32_e32 v48, 20, v48
	v_and_b32_e32 v16, 0x80000000, v16
	v_lshl_add_u32 v28, v28, 23, v17
	v_or3_b32 v48, v16, v28, v48
.LBB2_6012:                             ;   in Loop: Header=BB2_5667 Depth=3
	s_or_b64 exec, exec, s[36:37]
.LBB2_6013:                             ;   in Loop: Header=BB2_5667 Depth=3
	s_or_b64 exec, exec, s[34:35]
.LBB2_6014:                             ;   in Loop: Header=BB2_5667 Depth=3
	s_or_b64 exec, exec, s[28:29]
	v_and_b32_e32 v28, 0xff, v34
	v_cmp_ne_u16_e32 vcc, 0, v28
	s_and_saveexec_b64 s[28:29], vcc
	s_cbranch_execz .LBB2_6020
; %bb.6015:                             ;   in Loop: Header=BB2_5667 Depth=3
	v_cmp_ne_u16_e32 vcc, s87, v28
	v_bfrev_b32_e32 v35, 1
	s_and_saveexec_b64 s[34:35], vcc
	s_cbranch_execz .LBB2_6019
; %bb.6016:                             ;   in Loop: Header=BB2_5667 Depth=3
	v_and_b32_e32 v16, 0x7f, v34
	v_cmp_ne_u32_e32 vcc, s85, v16
	v_mov_b32_e32 v35, 0x7f800001
	s_and_saveexec_b64 s[36:37], vcc
	s_cbranch_execz .LBB2_6018
; %bb.6017:                             ;   in Loop: Header=BB2_5667 Depth=3
	v_and_b32_e32 v35, 7, v28
	v_lshrrev_b32_e32 v49, 3, v16
	v_cmp_gt_u32_e32 vcc, 8, v16
	v_ffbh_u32_e32 v16, v35
	v_min_u32_e32 v16, 32, v16
	v_subrev_u32_e32 v51, 28, v16
	v_lshlrev_b64 v[51:52], v51, v[28:29]
	v_sub_u32_e32 v16, 29, v16
	v_and_b32_e32 v28, 7, v51
	v_cndmask_b32_e32 v16, v49, v16, vcc
	v_cndmask_b32_e32 v28, v35, v28, vcc
	v_lshlrev_b32_e32 v34, 24, v34
	v_lshlrev_b32_e32 v28, 20, v28
	v_and_b32_e32 v34, 0x80000000, v34
	v_lshl_add_u32 v16, v16, 23, v17
	v_or3_b32 v35, v34, v16, v28
.LBB2_6018:                             ;   in Loop: Header=BB2_5667 Depth=3
	s_or_b64 exec, exec, s[36:37]
.LBB2_6019:                             ;   in Loop: Header=BB2_5667 Depth=3
	s_or_b64 exec, exec, s[34:35]
.LBB2_6020:                             ;   in Loop: Header=BB2_5667 Depth=3
	s_or_b64 exec, exec, s[28:29]
	v_add_f32_e32 v35, v48, v35
	v_and_b32_e32 v28, 0x7f800000, v35
	v_cmp_ne_u64_e32 vcc, s[76:77], v[28:29]
                                        ; implicit-def: $vgpr16
	s_and_saveexec_b64 s[28:29], vcc
	s_xor_b64 s[34:35], exec, s[28:29]
	s_cbranch_execz .LBB2_6038
; %bb.6021:                             ;   in Loop: Header=BB2_5667 Depth=3
	v_and_b32_e32 v28, 0x7fffffff, v35
	v_cmp_gt_u64_e32 vcc, s[78:79], v[28:29]
	v_and_b32_sdwa v34, v35, s87 dst_sel:DWORD dst_unused:UNUSED_PAD src0_sel:BYTE_3 src1_sel:DWORD
                                        ; implicit-def: $vgpr16
	s_and_saveexec_b64 s[28:29], vcc
	s_xor_b64 s[36:37], exec, s[28:29]
	s_cbranch_execz .LBB2_6035
; %bb.6022:                             ;   in Loop: Header=BB2_5667 Depth=3
	v_cmp_ne_u32_e32 vcc, 0, v35
	v_mov_b32_e32 v16, 0
	s_and_saveexec_b64 s[38:39], vcc
	s_cbranch_execz .LBB2_6034
; %bb.6023:                             ;   in Loop: Header=BB2_5667 Depth=3
	v_bfe_u32 v16, v35, 23, 8
	v_and_b32_e32 v28, 0x7fffff, v35
	v_cmp_gt_u32_e64 s[28:29], s96, v16
	v_sub_u32_e32 v35, 0x79, v16
	v_cmp_eq_u32_e32 vcc, 0, v16
	v_cndmask_b32_e64 v35, 0, v35, s[28:29]
	v_or_b32_e32 v48, 0x800000, v28
	v_cndmask_b32_e32 v35, v35, v36, vcc
	v_cndmask_b32_e32 v28, v48, v28, vcc
	v_add_u32_e32 v48, 20, v35
	v_lshlrev_b64 v[48:49], v48, -1
	v_add_u32_e32 v51, 19, v35
	v_lshlrev_b64 v[51:52], v51, 1
	v_lshrrev_b64 v[44:45], v35, v[28:29]
	v_bfi_b32 v49, v49, 0, 0
	v_bfi_b32 v48, v48, 0, v28
	v_cmp_eq_u64_e64 s[28:29], v[48:49], v[51:52]
	v_mov_b32_e32 v46, v45
	v_mov_b32_e32 v45, v44
	s_and_saveexec_b64 s[48:49], s[28:29]
; %bb.6024:                             ;   in Loop: Header=BB2_5667 Depth=3
	v_bfe_u32 v28, v44, 20, 1
	v_add_co_u32_e64 v28, s[28:29], v44, v28
	v_add_co_u32_e64 v45, s[28:29], -1, v28
; %bb.6025:                             ;   in Loop: Header=BB2_5667 Depth=3
	s_or_b64 exec, exec, s[48:49]
	v_add_u32_e32 v16, 0xffffff81, v16
	v_cndmask_b32_e32 v16, v16, v37, vcc
	v_lshrrev_b32_e32 v28, 23, v44
	v_add3_u32 v48, v35, v16, v28
	v_add_u32_e32 v16, 6, v48
	v_and_b32_e32 v28, 0xfffff, v45
	v_add_u32_e32 v28, v28, v44
	v_cmp_ne_u32_e32 vcc, 0, v16
                                        ; implicit-def: $vgpr44_vgpr45
                                        ; implicit-def: $vgpr35
	s_and_saveexec_b64 s[28:29], vcc
	s_xor_b64 s[28:29], exec, s[28:29]
; %bb.6026:                             ;   in Loop: Header=BB2_5667 Depth=3
	v_cmp_lt_u64_e32 vcc, s[88:89], v[28:29]
	v_add_u32_e32 v35, 7, v48
	v_cndmask_b32_e32 v35, v16, v35, vcc
	v_cndmask_b32_e64 v16, 0, 1, vcc
	v_lshrrev_b64 v[44:45], v16, v[28:29]
; %bb.6027:                             ;   in Loop: Header=BB2_5667 Depth=3
	s_andn2_saveexec_b64 s[28:29], s[28:29]
; %bb.6028:                             ;   in Loop: Header=BB2_5667 Depth=3
	v_mov_b32_e32 v45, v29
	v_mov_b32_e32 v44, v28
	v_bfe_u32 v35, v28, 23, 1
; %bb.6029:                             ;   in Loop: Header=BB2_5667 Depth=3
	s_or_b64 exec, exec, s[28:29]
	v_lshrrev_b64 v[48:49], 20, v[44:45]
	v_cmp_gt_i32_e32 vcc, 16, v35
	v_cndmask_b32_e32 v45, 0, v49, vcc
	v_cndmask_b32_e32 v44, 7, v48, vcc
	v_cmp_ne_u64_e32 vcc, 0, v[44:45]
	v_cmp_ne_u32_e64 s[28:29], 0, v35
	s_or_b64 s[28:29], s[28:29], vcc
                                        ; implicit-def: $vgpr16
	s_and_saveexec_b64 s[44:45], s[28:29]
	s_xor_b64 s[28:29], exec, s[44:45]
; %bb.6030:                             ;   in Loop: Header=BB2_5667 Depth=3
	v_min_i32_e32 v16, 15, v35
	v_lshl_or_b32 v16, v16, 3, v34
	v_and_or_b32 v16, v44, 7, v16
                                        ; implicit-def: $vgpr34
; %bb.6031:                             ;   in Loop: Header=BB2_5667 Depth=3
	s_andn2_saveexec_b64 s[28:29], s[28:29]
; %bb.6032:                             ;   in Loop: Header=BB2_5667 Depth=3
	v_mov_b32_e32 v16, v34
; %bb.6033:                             ;   in Loop: Header=BB2_5667 Depth=3
	s_or_b64 exec, exec, s[28:29]
.LBB2_6034:                             ;   in Loop: Header=BB2_5667 Depth=3
	s_or_b64 exec, exec, s[38:39]
                                        ; implicit-def: $vgpr34
.LBB2_6035:                             ;   in Loop: Header=BB2_5667 Depth=3
	s_andn2_saveexec_b64 s[28:29], s[36:37]
; %bb.6036:                             ;   in Loop: Header=BB2_5667 Depth=3
	v_or_b32_e32 v16, 0x7e, v34
; %bb.6037:                             ;   in Loop: Header=BB2_5667 Depth=3
	s_or_b64 exec, exec, s[28:29]
                                        ; implicit-def: $vgpr35
.LBB2_6038:                             ;   in Loop: Header=BB2_5667 Depth=3
	s_andn2_saveexec_b64 s[28:29], s[34:35]
; %bb.6039:                             ;   in Loop: Header=BB2_5667 Depth=3
	v_or_b32_sdwa v16, v35, s85 dst_sel:DWORD dst_unused:UNUSED_PAD src0_sel:BYTE_3 src1_sel:DWORD
; %bb.6040:                             ;   in Loop: Header=BB2_5667 Depth=3
	s_or_b64 exec, exec, s[28:29]
	v_and_b32_e32 v28, 0xff, v7
	v_cmp_ne_u16_e32 vcc, 0, v28
	v_mov_b32_e32 v34, 0
	v_mov_b32_e32 v35, 0
	s_and_saveexec_b64 s[28:29], vcc
	s_cbranch_execz .LBB2_6046
; %bb.6041:                             ;   in Loop: Header=BB2_5667 Depth=3
	v_cmp_ne_u16_e32 vcc, s87, v28
	v_bfrev_b32_e32 v35, 1
	s_and_saveexec_b64 s[34:35], vcc
	s_cbranch_execz .LBB2_6045
; %bb.6042:                             ;   in Loop: Header=BB2_5667 Depth=3
	v_and_b32_e32 v48, 0x7f, v7
	v_cmp_ne_u32_e32 vcc, s85, v48
	v_mov_b32_e32 v35, 0x7f800001
	s_and_saveexec_b64 s[36:37], vcc
	s_cbranch_execz .LBB2_6044
; %bb.6043:                             ;   in Loop: Header=BB2_5667 Depth=3
	v_and_b32_e32 v35, 7, v28
	v_lshrrev_b32_e32 v51, 3, v48
	v_cmp_gt_u32_e32 vcc, 8, v48
	v_ffbh_u32_e32 v48, v35
	v_min_u32_e32 v52, 32, v48
	v_subrev_u32_e32 v48, 28, v52
	v_lshlrev_b64 v[48:49], v48, v[28:29]
	v_sub_u32_e32 v28, 29, v52
	v_and_b32_e32 v48, 7, v48
	v_cndmask_b32_e32 v28, v51, v28, vcc
	v_cndmask_b32_e32 v35, v35, v48, vcc
	v_lshlrev_b32_e32 v7, 24, v7
	v_lshlrev_b32_e32 v35, 20, v35
	v_and_b32_e32 v7, 0x80000000, v7
	v_lshl_add_u32 v28, v28, 23, v17
	v_or3_b32 v35, v7, v28, v35
.LBB2_6044:                             ;   in Loop: Header=BB2_5667 Depth=3
	s_or_b64 exec, exec, s[36:37]
.LBB2_6045:                             ;   in Loop: Header=BB2_5667 Depth=3
	s_or_b64 exec, exec, s[34:35]
.LBB2_6046:                             ;   in Loop: Header=BB2_5667 Depth=3
	s_or_b64 exec, exec, s[28:29]
	v_and_b32_e32 v28, 0xff, v33
	v_cmp_ne_u16_e32 vcc, 0, v28
	s_and_saveexec_b64 s[28:29], vcc
	s_cbranch_execz .LBB2_6052
; %bb.6047:                             ;   in Loop: Header=BB2_5667 Depth=3
	v_cmp_ne_u16_e32 vcc, s87, v28
	v_bfrev_b32_e32 v34, 1
	s_and_saveexec_b64 s[34:35], vcc
	s_cbranch_execz .LBB2_6051
; %bb.6048:                             ;   in Loop: Header=BB2_5667 Depth=3
	v_and_b32_e32 v7, 0x7f, v33
	v_cmp_ne_u32_e32 vcc, s85, v7
	v_mov_b32_e32 v34, 0x7f800001
	s_and_saveexec_b64 s[36:37], vcc
	s_cbranch_execz .LBB2_6050
; %bb.6049:                             ;   in Loop: Header=BB2_5667 Depth=3
	v_and_b32_e32 v34, 7, v28
	v_lshrrev_b32_e32 v51, 3, v7
	v_cmp_gt_u32_e32 vcc, 8, v7
	v_ffbh_u32_e32 v7, v34
	v_min_u32_e32 v7, 32, v7
	v_subrev_u32_e32 v48, 28, v7
	v_lshlrev_b64 v[48:49], v48, v[28:29]
	v_sub_u32_e32 v7, 29, v7
	v_and_b32_e32 v28, 7, v48
	v_cndmask_b32_e32 v7, v51, v7, vcc
	v_cndmask_b32_e32 v28, v34, v28, vcc
	v_lshlrev_b32_e32 v33, 24, v33
	v_lshlrev_b32_e32 v28, 20, v28
	v_and_b32_e32 v33, 0x80000000, v33
	v_lshl_add_u32 v7, v7, 23, v17
	v_or3_b32 v34, v33, v7, v28
.LBB2_6050:                             ;   in Loop: Header=BB2_5667 Depth=3
	s_or_b64 exec, exec, s[36:37]
.LBB2_6051:                             ;   in Loop: Header=BB2_5667 Depth=3
	s_or_b64 exec, exec, s[34:35]
.LBB2_6052:                             ;   in Loop: Header=BB2_5667 Depth=3
	s_or_b64 exec, exec, s[28:29]
	v_add_f32_e32 v34, v35, v34
	v_and_b32_e32 v28, 0x7f800000, v34
	v_cmp_ne_u64_e32 vcc, s[76:77], v[28:29]
                                        ; implicit-def: $vgpr7
	s_and_saveexec_b64 s[28:29], vcc
	s_xor_b64 s[34:35], exec, s[28:29]
	s_cbranch_execz .LBB2_6070
; %bb.6053:                             ;   in Loop: Header=BB2_5667 Depth=3
	v_and_b32_e32 v28, 0x7fffffff, v34
	v_cmp_gt_u64_e32 vcc, s[78:79], v[28:29]
	v_and_b32_sdwa v33, v34, s87 dst_sel:DWORD dst_unused:UNUSED_PAD src0_sel:BYTE_3 src1_sel:DWORD
                                        ; implicit-def: $vgpr7
	s_and_saveexec_b64 s[28:29], vcc
	s_xor_b64 s[36:37], exec, s[28:29]
	s_cbranch_execz .LBB2_6067
; %bb.6054:                             ;   in Loop: Header=BB2_5667 Depth=3
	v_cmp_ne_u32_e32 vcc, 0, v34
	v_mov_b32_e32 v7, 0
	s_and_saveexec_b64 s[38:39], vcc
	s_cbranch_execz .LBB2_6066
; %bb.6055:                             ;   in Loop: Header=BB2_5667 Depth=3
	v_bfe_u32 v7, v34, 23, 8
	v_and_b32_e32 v28, 0x7fffff, v34
	v_cmp_gt_u32_e64 s[28:29], s96, v7
	v_sub_u32_e32 v34, 0x79, v7
	v_cmp_eq_u32_e32 vcc, 0, v7
	v_cndmask_b32_e64 v34, 0, v34, s[28:29]
	v_or_b32_e32 v35, 0x800000, v28
	v_cndmask_b32_e32 v34, v34, v36, vcc
	v_cndmask_b32_e32 v28, v35, v28, vcc
	v_add_u32_e32 v35, 20, v34
	v_lshlrev_b64 v[48:49], v35, -1
	v_add_u32_e32 v35, 19, v34
	v_lshlrev_b64 v[51:52], v35, 1
	v_lshrrev_b64 v[44:45], v34, v[28:29]
	v_bfi_b32 v49, v49, 0, 0
	v_bfi_b32 v48, v48, 0, v28
	v_cmp_eq_u64_e64 s[28:29], v[48:49], v[51:52]
	v_mov_b32_e32 v46, v45
	v_mov_b32_e32 v45, v44
	s_and_saveexec_b64 s[48:49], s[28:29]
; %bb.6056:                             ;   in Loop: Header=BB2_5667 Depth=3
	v_bfe_u32 v28, v44, 20, 1
	v_add_co_u32_e64 v28, s[28:29], v44, v28
	v_add_co_u32_e64 v45, s[28:29], -1, v28
; %bb.6057:                             ;   in Loop: Header=BB2_5667 Depth=3
	s_or_b64 exec, exec, s[48:49]
	v_add_u32_e32 v7, 0xffffff81, v7
	v_cndmask_b32_e32 v7, v7, v37, vcc
	v_lshrrev_b32_e32 v28, 23, v44
	v_add3_u32 v35, v34, v7, v28
	v_add_u32_e32 v7, 6, v35
	v_and_b32_e32 v28, 0xfffff, v45
	v_add_u32_e32 v28, v28, v44
	v_cmp_ne_u32_e32 vcc, 0, v7
                                        ; implicit-def: $vgpr44_vgpr45
                                        ; implicit-def: $vgpr34
	s_and_saveexec_b64 s[28:29], vcc
	s_xor_b64 s[28:29], exec, s[28:29]
; %bb.6058:                             ;   in Loop: Header=BB2_5667 Depth=3
	v_cmp_lt_u64_e32 vcc, s[88:89], v[28:29]
	v_add_u32_e32 v34, 7, v35
	v_cndmask_b32_e32 v34, v7, v34, vcc
	v_cndmask_b32_e64 v7, 0, 1, vcc
	v_lshrrev_b64 v[44:45], v7, v[28:29]
; %bb.6059:                             ;   in Loop: Header=BB2_5667 Depth=3
	s_andn2_saveexec_b64 s[28:29], s[28:29]
; %bb.6060:                             ;   in Loop: Header=BB2_5667 Depth=3
	v_mov_b32_e32 v45, v29
	v_mov_b32_e32 v44, v28
	v_bfe_u32 v34, v28, 23, 1
; %bb.6061:                             ;   in Loop: Header=BB2_5667 Depth=3
	s_or_b64 exec, exec, s[28:29]
	v_lshrrev_b64 v[48:49], 20, v[44:45]
	v_cmp_gt_i32_e32 vcc, 16, v34
	v_cndmask_b32_e32 v45, 0, v49, vcc
	v_cndmask_b32_e32 v44, 7, v48, vcc
	v_cmp_ne_u64_e32 vcc, 0, v[44:45]
	v_cmp_ne_u32_e64 s[28:29], 0, v34
	s_or_b64 s[28:29], s[28:29], vcc
                                        ; implicit-def: $vgpr7
	s_and_saveexec_b64 s[44:45], s[28:29]
	s_xor_b64 s[28:29], exec, s[44:45]
; %bb.6062:                             ;   in Loop: Header=BB2_5667 Depth=3
	v_min_i32_e32 v7, 15, v34
	v_lshl_or_b32 v7, v7, 3, v33
	v_and_or_b32 v7, v44, 7, v7
                                        ; implicit-def: $vgpr33
; %bb.6063:                             ;   in Loop: Header=BB2_5667 Depth=3
	s_andn2_saveexec_b64 s[28:29], s[28:29]
; %bb.6064:                             ;   in Loop: Header=BB2_5667 Depth=3
	v_mov_b32_e32 v7, v33
; %bb.6065:                             ;   in Loop: Header=BB2_5667 Depth=3
	s_or_b64 exec, exec, s[28:29]
.LBB2_6066:                             ;   in Loop: Header=BB2_5667 Depth=3
	s_or_b64 exec, exec, s[38:39]
                                        ; implicit-def: $vgpr33
.LBB2_6067:                             ;   in Loop: Header=BB2_5667 Depth=3
	s_andn2_saveexec_b64 s[28:29], s[36:37]
; %bb.6068:                             ;   in Loop: Header=BB2_5667 Depth=3
	v_or_b32_e32 v7, 0x7e, v33
; %bb.6069:                             ;   in Loop: Header=BB2_5667 Depth=3
	s_or_b64 exec, exec, s[28:29]
                                        ; implicit-def: $vgpr34
.LBB2_6070:                             ;   in Loop: Header=BB2_5667 Depth=3
	s_andn2_saveexec_b64 s[28:29], s[34:35]
; %bb.6071:                             ;   in Loop: Header=BB2_5667 Depth=3
	v_or_b32_sdwa v7, v34, s85 dst_sel:DWORD dst_unused:UNUSED_PAD src0_sel:BYTE_3 src1_sel:DWORD
; %bb.6072:                             ;   in Loop: Header=BB2_5667 Depth=3
	s_or_b64 exec, exec, s[28:29]
	v_and_b32_e32 v28, 0xff, v6
	v_cmp_ne_u16_e32 vcc, 0, v28
	v_mov_b32_e32 v33, 0
	v_mov_b32_e32 v34, 0
	s_and_saveexec_b64 s[28:29], vcc
	s_cbranch_execz .LBB2_6078
; %bb.6073:                             ;   in Loop: Header=BB2_5667 Depth=3
	v_cmp_ne_u16_e32 vcc, s87, v28
	v_bfrev_b32_e32 v34, 1
	s_and_saveexec_b64 s[34:35], vcc
	s_cbranch_execz .LBB2_6077
; %bb.6074:                             ;   in Loop: Header=BB2_5667 Depth=3
	v_and_b32_e32 v35, 0x7f, v6
	v_cmp_ne_u32_e32 vcc, s85, v35
	v_mov_b32_e32 v34, 0x7f800001
	s_and_saveexec_b64 s[36:37], vcc
	s_cbranch_execz .LBB2_6076
; %bb.6075:                             ;   in Loop: Header=BB2_5667 Depth=3
	v_and_b32_e32 v48, 7, v28
	v_ffbh_u32_e32 v34, v48
	v_min_u32_e32 v51, 32, v34
	v_subrev_u32_e32 v34, 28, v51
	v_lshrrev_b32_e32 v49, 3, v35
	v_cmp_gt_u32_e32 vcc, 8, v35
	v_lshlrev_b64 v[34:35], v34, v[28:29]
	v_sub_u32_e32 v28, 29, v51
	v_and_b32_e32 v34, 7, v34
	v_cndmask_b32_e32 v28, v49, v28, vcc
	v_cndmask_b32_e32 v34, v48, v34, vcc
	v_lshlrev_b32_e32 v6, 24, v6
	v_lshlrev_b32_e32 v34, 20, v34
	v_and_b32_e32 v6, 0x80000000, v6
	v_lshl_add_u32 v28, v28, 23, v17
	v_or3_b32 v34, v6, v28, v34
.LBB2_6076:                             ;   in Loop: Header=BB2_5667 Depth=3
	s_or_b64 exec, exec, s[36:37]
.LBB2_6077:                             ;   in Loop: Header=BB2_5667 Depth=3
	s_or_b64 exec, exec, s[34:35]
.LBB2_6078:                             ;   in Loop: Header=BB2_5667 Depth=3
	s_or_b64 exec, exec, s[28:29]
	v_and_b32_e32 v28, 0xff, v31
	v_cmp_ne_u16_e32 vcc, 0, v28
	s_and_saveexec_b64 s[28:29], vcc
	s_cbranch_execz .LBB2_6084
; %bb.6079:                             ;   in Loop: Header=BB2_5667 Depth=3
	v_cmp_ne_u16_e32 vcc, s87, v28
	v_bfrev_b32_e32 v33, 1
	s_and_saveexec_b64 s[34:35], vcc
	s_cbranch_execz .LBB2_6083
; %bb.6080:                             ;   in Loop: Header=BB2_5667 Depth=3
	v_and_b32_e32 v6, 0x7f, v31
	v_cmp_ne_u32_e32 vcc, s85, v6
	v_mov_b32_e32 v33, 0x7f800001
	s_and_saveexec_b64 s[36:37], vcc
	s_cbranch_execz .LBB2_6082
; %bb.6081:                             ;   in Loop: Header=BB2_5667 Depth=3
	v_and_b32_e32 v33, 7, v28
	v_lshrrev_b32_e32 v35, 3, v6
	v_cmp_gt_u32_e32 vcc, 8, v6
	v_ffbh_u32_e32 v6, v33
	v_min_u32_e32 v6, 32, v6
	v_subrev_u32_e32 v48, 28, v6
	v_lshlrev_b64 v[48:49], v48, v[28:29]
	v_sub_u32_e32 v6, 29, v6
	v_and_b32_e32 v28, 7, v48
	v_cndmask_b32_e32 v6, v35, v6, vcc
	v_cndmask_b32_e32 v28, v33, v28, vcc
	v_lshlrev_b32_e32 v31, 24, v31
	v_lshlrev_b32_e32 v28, 20, v28
	v_and_b32_e32 v31, 0x80000000, v31
	v_lshl_add_u32 v6, v6, 23, v17
	v_or3_b32 v33, v31, v6, v28
.LBB2_6082:                             ;   in Loop: Header=BB2_5667 Depth=3
	s_or_b64 exec, exec, s[36:37]
.LBB2_6083:                             ;   in Loop: Header=BB2_5667 Depth=3
	s_or_b64 exec, exec, s[34:35]
.LBB2_6084:                             ;   in Loop: Header=BB2_5667 Depth=3
	s_or_b64 exec, exec, s[28:29]
	v_add_f32_e32 v33, v34, v33
	v_and_b32_e32 v28, 0x7f800000, v33
	v_cmp_ne_u64_e32 vcc, s[76:77], v[28:29]
                                        ; implicit-def: $vgpr6
	s_and_saveexec_b64 s[28:29], vcc
	s_xor_b64 s[34:35], exec, s[28:29]
	s_cbranch_execz .LBB2_6102
; %bb.6085:                             ;   in Loop: Header=BB2_5667 Depth=3
	v_and_b32_e32 v28, 0x7fffffff, v33
	v_cmp_gt_u64_e32 vcc, s[78:79], v[28:29]
	v_and_b32_sdwa v31, v33, s87 dst_sel:DWORD dst_unused:UNUSED_PAD src0_sel:BYTE_3 src1_sel:DWORD
                                        ; implicit-def: $vgpr6
	s_and_saveexec_b64 s[28:29], vcc
	s_xor_b64 s[36:37], exec, s[28:29]
	s_cbranch_execz .LBB2_6099
; %bb.6086:                             ;   in Loop: Header=BB2_5667 Depth=3
	v_cmp_ne_u32_e32 vcc, 0, v33
	v_mov_b32_e32 v6, 0
	s_and_saveexec_b64 s[38:39], vcc
	s_cbranch_execz .LBB2_6098
; %bb.6087:                             ;   in Loop: Header=BB2_5667 Depth=3
	v_bfe_u32 v6, v33, 23, 8
	v_and_b32_e32 v28, 0x7fffff, v33
	v_cmp_gt_u32_e64 s[28:29], s96, v6
	v_sub_u32_e32 v33, 0x79, v6
	v_cmp_eq_u32_e32 vcc, 0, v6
	v_cndmask_b32_e64 v33, 0, v33, s[28:29]
	v_or_b32_e32 v34, 0x800000, v28
	v_cndmask_b32_e32 v33, v33, v36, vcc
	v_cndmask_b32_e32 v28, v34, v28, vcc
	v_add_u32_e32 v34, 20, v33
	v_lshlrev_b64 v[34:35], v34, -1
	v_add_u32_e32 v48, 19, v33
	v_lshlrev_b64 v[48:49], v48, 1
	v_lshrrev_b64 v[44:45], v33, v[28:29]
	v_bfi_b32 v35, v35, 0, 0
	v_bfi_b32 v34, v34, 0, v28
	v_cmp_eq_u64_e64 s[28:29], v[34:35], v[48:49]
	v_mov_b32_e32 v46, v45
	v_mov_b32_e32 v45, v44
	s_and_saveexec_b64 s[48:49], s[28:29]
; %bb.6088:                             ;   in Loop: Header=BB2_5667 Depth=3
	v_bfe_u32 v28, v44, 20, 1
	v_add_co_u32_e64 v28, s[28:29], v44, v28
	v_add_co_u32_e64 v45, s[28:29], -1, v28
; %bb.6089:                             ;   in Loop: Header=BB2_5667 Depth=3
	s_or_b64 exec, exec, s[48:49]
	v_add_u32_e32 v6, 0xffffff81, v6
	v_cndmask_b32_e32 v6, v6, v37, vcc
	v_lshrrev_b32_e32 v28, 23, v44
	v_add3_u32 v34, v33, v6, v28
	v_add_u32_e32 v6, 6, v34
	v_and_b32_e32 v28, 0xfffff, v45
	v_add_u32_e32 v28, v28, v44
	v_cmp_ne_u32_e32 vcc, 0, v6
                                        ; implicit-def: $vgpr44_vgpr45
                                        ; implicit-def: $vgpr33
	s_and_saveexec_b64 s[28:29], vcc
	s_xor_b64 s[28:29], exec, s[28:29]
; %bb.6090:                             ;   in Loop: Header=BB2_5667 Depth=3
	v_cmp_lt_u64_e32 vcc, s[88:89], v[28:29]
	v_add_u32_e32 v33, 7, v34
	v_cndmask_b32_e32 v33, v6, v33, vcc
	v_cndmask_b32_e64 v6, 0, 1, vcc
	v_lshrrev_b64 v[44:45], v6, v[28:29]
; %bb.6091:                             ;   in Loop: Header=BB2_5667 Depth=3
	s_andn2_saveexec_b64 s[28:29], s[28:29]
; %bb.6092:                             ;   in Loop: Header=BB2_5667 Depth=3
	v_mov_b32_e32 v45, v29
	v_mov_b32_e32 v44, v28
	v_bfe_u32 v33, v28, 23, 1
; %bb.6093:                             ;   in Loop: Header=BB2_5667 Depth=3
	s_or_b64 exec, exec, s[28:29]
	v_lshrrev_b64 v[34:35], 20, v[44:45]
	v_cmp_gt_i32_e32 vcc, 16, v33
	v_cndmask_b32_e32 v45, 0, v35, vcc
	v_cndmask_b32_e32 v44, 7, v34, vcc
	v_cmp_ne_u64_e32 vcc, 0, v[44:45]
	v_cmp_ne_u32_e64 s[28:29], 0, v33
	s_or_b64 s[28:29], s[28:29], vcc
                                        ; implicit-def: $vgpr6
	s_and_saveexec_b64 s[44:45], s[28:29]
	s_xor_b64 s[28:29], exec, s[44:45]
; %bb.6094:                             ;   in Loop: Header=BB2_5667 Depth=3
	v_min_i32_e32 v6, 15, v33
	v_lshl_or_b32 v6, v6, 3, v31
	v_and_or_b32 v6, v44, 7, v6
                                        ; implicit-def: $vgpr31
; %bb.6095:                             ;   in Loop: Header=BB2_5667 Depth=3
	s_andn2_saveexec_b64 s[28:29], s[28:29]
; %bb.6096:                             ;   in Loop: Header=BB2_5667 Depth=3
	v_mov_b32_e32 v6, v31
; %bb.6097:                             ;   in Loop: Header=BB2_5667 Depth=3
	s_or_b64 exec, exec, s[28:29]
.LBB2_6098:                             ;   in Loop: Header=BB2_5667 Depth=3
	s_or_b64 exec, exec, s[38:39]
                                        ; implicit-def: $vgpr31
.LBB2_6099:                             ;   in Loop: Header=BB2_5667 Depth=3
	s_andn2_saveexec_b64 s[28:29], s[36:37]
; %bb.6100:                             ;   in Loop: Header=BB2_5667 Depth=3
	v_or_b32_e32 v6, 0x7e, v31
; %bb.6101:                             ;   in Loop: Header=BB2_5667 Depth=3
	s_or_b64 exec, exec, s[28:29]
                                        ; implicit-def: $vgpr33
.LBB2_6102:                             ;   in Loop: Header=BB2_5667 Depth=3
	s_andn2_saveexec_b64 s[28:29], s[34:35]
; %bb.6103:                             ;   in Loop: Header=BB2_5667 Depth=3
	v_or_b32_sdwa v6, v33, s85 dst_sel:DWORD dst_unused:UNUSED_PAD src0_sel:BYTE_3 src1_sel:DWORD
; %bb.6104:                             ;   in Loop: Header=BB2_5667 Depth=3
	s_or_b64 exec, exec, s[28:29]
	v_and_b32_e32 v28, 0xff, v2
	v_cmp_ne_u16_e32 vcc, 0, v28
	v_mov_b32_e32 v31, 0
	v_mov_b32_e32 v33, 0
	s_and_saveexec_b64 s[28:29], vcc
	s_cbranch_execz .LBB2_6110
; %bb.6105:                             ;   in Loop: Header=BB2_5667 Depth=3
	v_cmp_ne_u16_e32 vcc, s87, v28
	v_bfrev_b32_e32 v33, 1
	s_and_saveexec_b64 s[34:35], vcc
	s_cbranch_execz .LBB2_6109
; %bb.6106:                             ;   in Loop: Header=BB2_5667 Depth=3
	v_and_b32_e32 v34, 0x7f, v2
	v_cmp_ne_u32_e32 vcc, s85, v34
	v_mov_b32_e32 v33, 0x7f800001
	s_and_saveexec_b64 s[36:37], vcc
	s_cbranch_execz .LBB2_6108
; %bb.6107:                             ;   in Loop: Header=BB2_5667 Depth=3
	v_and_b32_e32 v35, 7, v28
	v_ffbh_u32_e32 v33, v35
	v_min_u32_e32 v49, 32, v33
	v_subrev_u32_e32 v33, 28, v49
	v_lshrrev_b32_e32 v48, 3, v34
	v_cmp_gt_u32_e32 vcc, 8, v34
	v_lshlrev_b64 v[33:34], v33, v[28:29]
	v_sub_u32_e32 v28, 29, v49
	v_and_b32_e32 v33, 7, v33
	v_cndmask_b32_e32 v28, v48, v28, vcc
	v_cndmask_b32_e32 v33, v35, v33, vcc
	v_lshlrev_b32_e32 v2, 24, v2
	v_lshlrev_b32_e32 v33, 20, v33
	v_and_b32_e32 v2, 0x80000000, v2
	v_lshl_add_u32 v28, v28, 23, v17
	v_or3_b32 v33, v2, v28, v33
.LBB2_6108:                             ;   in Loop: Header=BB2_5667 Depth=3
	s_or_b64 exec, exec, s[36:37]
.LBB2_6109:                             ;   in Loop: Header=BB2_5667 Depth=3
	s_or_b64 exec, exec, s[34:35]
.LBB2_6110:                             ;   in Loop: Header=BB2_5667 Depth=3
	s_or_b64 exec, exec, s[28:29]
	v_and_b32_e32 v28, 0xff, v3
	v_cmp_ne_u16_e32 vcc, 0, v28
	s_and_saveexec_b64 s[28:29], vcc
	s_cbranch_execz .LBB2_6116
; %bb.6111:                             ;   in Loop: Header=BB2_5667 Depth=3
	v_cmp_ne_u16_e32 vcc, s87, v28
	v_bfrev_b32_e32 v31, 1
	s_and_saveexec_b64 s[34:35], vcc
	s_cbranch_execz .LBB2_6115
; %bb.6112:                             ;   in Loop: Header=BB2_5667 Depth=3
	v_and_b32_e32 v2, 0x7f, v3
	v_cmp_ne_u32_e32 vcc, s85, v2
	v_mov_b32_e32 v31, 0x7f800001
	s_and_saveexec_b64 s[36:37], vcc
	s_cbranch_execz .LBB2_6114
; %bb.6113:                             ;   in Loop: Header=BB2_5667 Depth=3
	v_and_b32_e32 v31, 7, v28
	v_lshrrev_b32_e32 v48, 3, v2
	v_cmp_gt_u32_e32 vcc, 8, v2
	v_ffbh_u32_e32 v2, v31
	v_min_u32_e32 v2, 32, v2
	v_subrev_u32_e32 v34, 28, v2
	v_lshlrev_b64 v[34:35], v34, v[28:29]
	v_sub_u32_e32 v2, 29, v2
	v_and_b32_e32 v28, 7, v34
	v_cndmask_b32_e32 v2, v48, v2, vcc
	v_cndmask_b32_e32 v28, v31, v28, vcc
	v_lshlrev_b32_e32 v3, 24, v3
	v_lshlrev_b32_e32 v28, 20, v28
	v_and_b32_e32 v3, 0x80000000, v3
	v_lshl_add_u32 v2, v2, 23, v17
	v_or3_b32 v31, v3, v2, v28
.LBB2_6114:                             ;   in Loop: Header=BB2_5667 Depth=3
	s_or_b64 exec, exec, s[36:37]
.LBB2_6115:                             ;   in Loop: Header=BB2_5667 Depth=3
	s_or_b64 exec, exec, s[34:35]
.LBB2_6116:                             ;   in Loop: Header=BB2_5667 Depth=3
	s_or_b64 exec, exec, s[28:29]
	v_add_f32_e32 v31, v33, v31
	v_and_b32_e32 v28, 0x7f800000, v31
	v_cmp_ne_u64_e32 vcc, s[76:77], v[28:29]
                                        ; implicit-def: $vgpr3
	s_and_saveexec_b64 s[28:29], vcc
	s_xor_b64 s[34:35], exec, s[28:29]
	s_cbranch_execz .LBB2_6134
; %bb.6117:                             ;   in Loop: Header=BB2_5667 Depth=3
	v_and_b32_e32 v28, 0x7fffffff, v31
	v_cmp_gt_u64_e32 vcc, s[78:79], v[28:29]
	v_and_b32_sdwa v2, v31, s87 dst_sel:DWORD dst_unused:UNUSED_PAD src0_sel:BYTE_3 src1_sel:DWORD
                                        ; implicit-def: $vgpr3
	s_and_saveexec_b64 s[28:29], vcc
	s_xor_b64 s[36:37], exec, s[28:29]
	s_cbranch_execz .LBB2_6131
; %bb.6118:                             ;   in Loop: Header=BB2_5667 Depth=3
	v_cmp_ne_u32_e32 vcc, 0, v31
	v_mov_b32_e32 v3, 0
	s_and_saveexec_b64 s[38:39], vcc
	s_cbranch_execz .LBB2_6130
; %bb.6119:                             ;   in Loop: Header=BB2_5667 Depth=3
	v_bfe_u32 v3, v31, 23, 8
	v_and_b32_e32 v28, 0x7fffff, v31
	v_cmp_gt_u32_e64 s[28:29], s96, v3
	v_sub_u32_e32 v31, 0x79, v3
	v_cmp_eq_u32_e32 vcc, 0, v3
	v_cndmask_b32_e64 v31, 0, v31, s[28:29]
	v_or_b32_e32 v33, 0x800000, v28
	v_cndmask_b32_e32 v31, v31, v36, vcc
	v_cndmask_b32_e32 v28, v33, v28, vcc
	v_add_u32_e32 v33, 20, v31
	v_lshlrev_b64 v[33:34], v33, -1
	v_add_u32_e32 v35, 19, v31
	v_lshlrev_b64 v[48:49], v35, 1
	v_lshrrev_b64 v[44:45], v31, v[28:29]
	v_bfi_b32 v34, v34, 0, 0
	v_bfi_b32 v33, v33, 0, v28
	v_cmp_eq_u64_e64 s[28:29], v[33:34], v[48:49]
	v_mov_b32_e32 v46, v45
	v_mov_b32_e32 v45, v44
	s_and_saveexec_b64 s[48:49], s[28:29]
; %bb.6120:                             ;   in Loop: Header=BB2_5667 Depth=3
	v_bfe_u32 v28, v44, 20, 1
	v_add_co_u32_e64 v28, s[28:29], v44, v28
	v_add_co_u32_e64 v45, s[28:29], -1, v28
; %bb.6121:                             ;   in Loop: Header=BB2_5667 Depth=3
	s_or_b64 exec, exec, s[48:49]
	v_add_u32_e32 v3, 0xffffff81, v3
	v_cndmask_b32_e32 v3, v3, v37, vcc
	v_lshrrev_b32_e32 v28, 23, v44
	v_add3_u32 v33, v31, v3, v28
	v_add_u32_e32 v3, 6, v33
	v_and_b32_e32 v28, 0xfffff, v45
	v_add_u32_e32 v28, v28, v44
	v_cmp_ne_u32_e32 vcc, 0, v3
                                        ; implicit-def: $vgpr44_vgpr45
                                        ; implicit-def: $vgpr31
	s_and_saveexec_b64 s[28:29], vcc
	s_xor_b64 s[28:29], exec, s[28:29]
; %bb.6122:                             ;   in Loop: Header=BB2_5667 Depth=3
	v_cmp_lt_u64_e32 vcc, s[88:89], v[28:29]
	v_add_u32_e32 v31, 7, v33
	v_cndmask_b32_e32 v31, v3, v31, vcc
	v_cndmask_b32_e64 v3, 0, 1, vcc
	v_lshrrev_b64 v[44:45], v3, v[28:29]
; %bb.6123:                             ;   in Loop: Header=BB2_5667 Depth=3
	s_andn2_saveexec_b64 s[28:29], s[28:29]
; %bb.6124:                             ;   in Loop: Header=BB2_5667 Depth=3
	v_mov_b32_e32 v45, v29
	v_mov_b32_e32 v44, v28
	v_bfe_u32 v31, v28, 23, 1
; %bb.6125:                             ;   in Loop: Header=BB2_5667 Depth=3
	s_or_b64 exec, exec, s[28:29]
	v_lshrrev_b64 v[33:34], 20, v[44:45]
	v_cmp_gt_i32_e32 vcc, 16, v31
	v_cndmask_b32_e32 v45, 0, v34, vcc
	v_cndmask_b32_e32 v44, 7, v33, vcc
	v_cmp_ne_u64_e32 vcc, 0, v[44:45]
	v_cmp_ne_u32_e64 s[28:29], 0, v31
	s_or_b64 s[28:29], s[28:29], vcc
                                        ; implicit-def: $vgpr3
	s_and_saveexec_b64 s[44:45], s[28:29]
	s_xor_b64 s[28:29], exec, s[44:45]
; %bb.6126:                             ;   in Loop: Header=BB2_5667 Depth=3
	v_min_i32_e32 v3, 15, v31
	v_lshl_or_b32 v2, v3, 3, v2
	v_and_or_b32 v3, v44, 7, v2
                                        ; implicit-def: $vgpr2
; %bb.6127:                             ;   in Loop: Header=BB2_5667 Depth=3
	s_andn2_saveexec_b64 s[28:29], s[28:29]
; %bb.6128:                             ;   in Loop: Header=BB2_5667 Depth=3
	v_mov_b32_e32 v3, v2
; %bb.6129:                             ;   in Loop: Header=BB2_5667 Depth=3
	s_or_b64 exec, exec, s[28:29]
.LBB2_6130:                             ;   in Loop: Header=BB2_5667 Depth=3
	s_or_b64 exec, exec, s[38:39]
                                        ; implicit-def: $vgpr2
.LBB2_6131:                             ;   in Loop: Header=BB2_5667 Depth=3
	s_andn2_saveexec_b64 s[28:29], s[36:37]
; %bb.6132:                             ;   in Loop: Header=BB2_5667 Depth=3
	v_or_b32_e32 v3, 0x7e, v2
; %bb.6133:                             ;   in Loop: Header=BB2_5667 Depth=3
	s_or_b64 exec, exec, s[28:29]
                                        ; implicit-def: $vgpr31
.LBB2_6134:                             ;   in Loop: Header=BB2_5667 Depth=3
	s_andn2_saveexec_b64 s[28:29], s[34:35]
	s_cbranch_execz .LBB2_5666
; %bb.6135:                             ;   in Loop: Header=BB2_5667 Depth=3
	v_or_b32_sdwa v3, v31, s85 dst_sel:DWORD dst_unused:UNUSED_PAD src0_sel:BYTE_3 src1_sel:DWORD
	s_branch .LBB2_5666
.LBB2_6136:                             ;   in Loop: Header=BB2_3957 Depth=2
	s_or_b64 exec, exec, s[30:31]
.LBB2_6137:                             ;   in Loop: Header=BB2_3957 Depth=2
	s_or_b64 exec, exec, s[40:41]
	v_lshlrev_b32_e32 v2, 9, v25
	v_cmp_ne_u32_e32 vcc, v1, v2
	s_and_b64 exec, exec, vcc
	s_cbranch_execz .LBB2_6206
; %bb.6138:                             ;   in Loop: Header=BB2_3957 Depth=2
	v_lshlrev_b32_e32 v3, 6, v19
	v_sub_u32_e32 v3, v18, v3
	v_lshlrev_b32_e32 v5, 6, v24
	v_sub_u32_e32 v3, v3, v5
	v_add_u32_e32 v2, v2, v3
	v_sub_u32_e32 v1, v1, v2
	v_cmp_lt_i32_e32 vcc, 0, v1
	s_and_b64 exec, exec, vcc
	s_cbranch_execz .LBB2_6206
; %bb.6139:                             ;   in Loop: Header=BB2_3957 Depth=2
	s_trap 2
	ds_read_b128 v[8:11], v0
	v_add_u32_e32 v0, v2, v0
	v_ashrrev_i32_e32 v2, 31, v0
	s_mov_b64 s[30:31], 0
	s_waitcnt lgkmcnt(0)
	v_add_co_u32_e32 v8, vcc, v8, v0
	v_addc_co_u32_e32 v9, vcc, v9, v2, vcc
	v_add_co_u32_e32 v10, vcc, v10, v0
	v_addc_co_u32_e32 v11, vcc, v11, v2, vcc
	v_mov_b32_e32 v41, v9
	v_mov_b32_e32 v43, v11
	;; [unrolled: 1-line block ×4, first 2 shown]
.LBB2_6140:                             ;   Parent Loop BB2_47 Depth=1
                                        ;     Parent Loop BB2_3957 Depth=2
                                        ; =>    This Loop Header: Depth=3
                                        ;         Child Loop BB2_6204 Depth 4
	s_trap 2
	ds_read_b64 v[44:45], v0
	s_waitcnt lgkmcnt(0)
	v_cmp_eq_u32_sdwa s[40:41], v44, v29 src0_sel:BYTE_0 src1_sel:DWORD
	v_readfirstlane_b32 s28, v44
	v_readfirstlane_b32 s29, v45
	s_and_b64 vcc, exec, s[40:41]
	s_cbranch_vccnz .LBB2_6144
; %bb.6141:                             ;   in Loop: Header=BB2_6140 Depth=3
	v_cmp_eq_u32_sdwa s[40:41], v44, s87 src0_sel:BYTE_0 src1_sel:DWORD
	s_brev_b32 s44, 1
	s_and_b64 vcc, exec, s[40:41]
	s_cbranch_vccnz .LBB2_6145
; %bb.6142:                             ;   in Loop: Header=BB2_6140 Depth=3
	s_and_b32 s40, s28, 0x7f
	s_cmpk_eq_i32 s40, 0x7f
	s_mov_b32 s44, 0x7f800001
	s_cbranch_scc1 .LBB2_6145
; %bb.6143:                             ;   in Loop: Header=BB2_6140 Depth=3
	s_and_b32 s41, s28, 7
	s_flbit_i32_b32 s41, s41
	s_min_u32 s41, s41, 32
	s_lshr_b32 s44, s40, 3
	s_sub_i32 s45, s41, 28
	s_sub_i32 s41, 29, s41
	s_cmp_lt_u32 s40, 8
	s_cselect_b32 s40, s45, 0
	s_cselect_b32 s44, s41, s44
	s_lshl_b64 s[40:41], s[28:29], s40
	s_lshl_b32 s29, s40, 20
	s_lshl_b32 s28, s28, 24
	;; [unrolled: 1-line block ×3, first 2 shown]
	s_and_b32 s28, s28, 0x80000000
	s_add_i32 s40, s40, 0x3c000000
	s_and_b32 s29, s29, 0x700000
	s_or_b32 s28, s28, s40
	s_or_b32 s44, s28, s29
	s_branch .LBB2_6145
.LBB2_6144:                             ;   in Loop: Header=BB2_6140 Depth=3
	s_mov_b32 s44, 0
.LBB2_6145:                             ;   in Loop: Header=BB2_6140 Depth=3
	flat_load_ubyte v0, v[40:41] glc slc
	v_mov_b32_e32 v2, 0
	s_waitcnt vmcnt(0) lgkmcnt(0)
	v_cmp_ne_u16_e32 vcc, 0, v0
	s_and_saveexec_b64 s[28:29], vcc
	s_cbranch_execz .LBB2_6151
; %bb.6146:                             ;   in Loop: Header=BB2_6140 Depth=3
	v_cmp_ne_u16_e32 vcc, s87, v0
	v_bfrev_b32_e32 v2, 1
	s_and_saveexec_b64 s[40:41], vcc
	s_cbranch_execz .LBB2_6150
; %bb.6147:                             ;   in Loop: Header=BB2_6140 Depth=3
	v_and_b32_e32 v28, 0xffff, v0
	v_and_b32_e32 v3, 0x7f, v28
	v_cmp_ne_u32_e32 vcc, s85, v3
	v_mov_b32_e32 v2, 0x7f800001
	s_and_saveexec_b64 s[34:35], vcc
	s_cbranch_execz .LBB2_6149
; %bb.6148:                             ;   in Loop: Header=BB2_6140 Depth=3
	v_and_b32_e32 v5, 7, v28
	v_ffbh_u32_e32 v2, v5
	v_min_u32_e32 v7, 32, v2
	v_subrev_u32_e32 v2, 28, v7
	v_lshrrev_b32_e32 v6, 3, v3
	v_cmp_gt_u32_e32 vcc, 8, v3
	v_lshlrev_b64 v[2:3], v2, v[28:29]
	v_sub_u32_e32 v3, 29, v7
	v_and_b32_e32 v2, 7, v2
	v_cndmask_b32_e32 v3, v6, v3, vcc
	v_cndmask_b32_e32 v2, v5, v2, vcc
	v_lshlrev_b32_e32 v0, 24, v0
	v_lshlrev_b32_e32 v2, 20, v2
	v_and_b32_e32 v0, 0x80000000, v0
	v_lshl_add_u32 v3, v3, 23, v17
	v_or3_b32 v2, v0, v3, v2
.LBB2_6149:                             ;   in Loop: Header=BB2_6140 Depth=3
	s_or_b64 exec, exec, s[34:35]
.LBB2_6150:                             ;   in Loop: Header=BB2_6140 Depth=3
	s_or_b64 exec, exec, s[40:41]
.LBB2_6151:                             ;   in Loop: Header=BB2_6140 Depth=3
	s_or_b64 exec, exec, s[28:29]
	v_mul_f32_e32 v3, s44, v2
	v_and_b32_e32 v28, 0x7f800000, v3
	v_cmp_ne_u64_e32 vcc, s[76:77], v[28:29]
                                        ; implicit-def: $vgpr2
	s_and_saveexec_b64 s[28:29], vcc
	s_xor_b64 s[40:41], exec, s[28:29]
	s_cbranch_execz .LBB2_6169
; %bb.6152:                             ;   in Loop: Header=BB2_6140 Depth=3
	v_and_b32_e32 v28, 0x7fffffff, v3
	v_cmp_gt_u64_e32 vcc, s[78:79], v[28:29]
	v_and_b32_sdwa v0, v3, s87 dst_sel:DWORD dst_unused:UNUSED_PAD src0_sel:BYTE_3 src1_sel:DWORD
                                        ; implicit-def: $vgpr2
	s_and_saveexec_b64 s[28:29], vcc
	s_xor_b64 s[34:35], exec, s[28:29]
	s_cbranch_execz .LBB2_6166
; %bb.6153:                             ;   in Loop: Header=BB2_6140 Depth=3
	v_cmp_ne_u32_e32 vcc, 0, v3
	v_mov_b32_e32 v2, 0
	s_and_saveexec_b64 s[36:37], vcc
	s_cbranch_execz .LBB2_6165
; %bb.6154:                             ;   in Loop: Header=BB2_6140 Depth=3
	v_bfe_u32 v2, v3, 23, 8
	v_and_b32_e32 v5, 0x7fffff, v3
	v_cmp_gt_u32_e64 s[28:29], s96, v2
	v_sub_u32_e32 v3, 0x79, v2
	v_cmp_eq_u32_e32 vcc, 0, v2
	v_cndmask_b32_e64 v3, 0, v3, s[28:29]
	v_or_b32_e32 v6, 0x800000, v5
	v_cndmask_b32_e32 v3, v3, v36, vcc
	v_cndmask_b32_e32 v28, v6, v5, vcc
	v_add_u32_e32 v5, 20, v3
	v_lshlrev_b64 v[5:6], v5, -1
	v_add_u32_e32 v7, 19, v3
	v_lshlrev_b64 v[18:19], v7, 1
	v_lshrrev_b64 v[44:45], v3, v[28:29]
	v_bfi_b32 v6, v6, 0, 0
	v_bfi_b32 v5, v5, 0, v28
	v_cmp_eq_u64_e64 s[28:29], v[5:6], v[18:19]
	v_mov_b32_e32 v46, v45
	v_mov_b32_e32 v45, v44
	s_and_saveexec_b64 s[38:39], s[28:29]
; %bb.6155:                             ;   in Loop: Header=BB2_6140 Depth=3
	v_bfe_u32 v5, v44, 20, 1
	v_add_co_u32_e64 v5, s[28:29], v44, v5
	v_add_co_u32_e64 v45, s[28:29], -1, v5
; %bb.6156:                             ;   in Loop: Header=BB2_6140 Depth=3
	s_or_b64 exec, exec, s[38:39]
	v_add_u32_e32 v2, 0xffffff81, v2
	v_cndmask_b32_e32 v2, v2, v37, vcc
	v_lshrrev_b32_e32 v5, 23, v44
	v_add3_u32 v5, v3, v2, v5
	v_add_u32_e32 v2, 6, v5
	v_and_b32_e32 v3, 0xfffff, v45
	v_add_u32_e32 v28, v3, v44
	v_cmp_ne_u32_e32 vcc, 0, v2
                                        ; implicit-def: $vgpr44_vgpr45
                                        ; implicit-def: $vgpr3
	s_and_saveexec_b64 s[28:29], vcc
	s_xor_b64 s[28:29], exec, s[28:29]
; %bb.6157:                             ;   in Loop: Header=BB2_6140 Depth=3
	v_cmp_lt_u64_e32 vcc, s[88:89], v[28:29]
	v_add_u32_e32 v3, 7, v5
	v_cndmask_b32_e32 v3, v2, v3, vcc
	v_cndmask_b32_e64 v2, 0, 1, vcc
	v_lshrrev_b64 v[44:45], v2, v[28:29]
; %bb.6158:                             ;   in Loop: Header=BB2_6140 Depth=3
	s_andn2_saveexec_b64 s[28:29], s[28:29]
; %bb.6159:                             ;   in Loop: Header=BB2_6140 Depth=3
	v_mov_b32_e32 v45, v29
	v_mov_b32_e32 v44, v28
	v_bfe_u32 v3, v28, 23, 1
; %bb.6160:                             ;   in Loop: Header=BB2_6140 Depth=3
	s_or_b64 exec, exec, s[28:29]
	v_lshrrev_b64 v[5:6], 20, v[44:45]
	v_cmp_gt_i32_e32 vcc, 16, v3
	v_cndmask_b32_e32 v45, 0, v6, vcc
	v_cndmask_b32_e32 v44, 7, v5, vcc
	v_cmp_ne_u64_e32 vcc, 0, v[44:45]
	v_cmp_ne_u32_e64 s[28:29], 0, v3
	s_or_b64 s[28:29], s[28:29], vcc
                                        ; implicit-def: $vgpr2
	s_and_saveexec_b64 s[44:45], s[28:29]
	s_xor_b64 s[28:29], exec, s[44:45]
; %bb.6161:                             ;   in Loop: Header=BB2_6140 Depth=3
	v_min_i32_e32 v2, 15, v3
	v_lshl_or_b32 v0, v2, 3, v0
	v_and_or_b32 v2, v44, 7, v0
                                        ; implicit-def: $vgpr0
; %bb.6162:                             ;   in Loop: Header=BB2_6140 Depth=3
	s_andn2_saveexec_b64 s[28:29], s[28:29]
; %bb.6163:                             ;   in Loop: Header=BB2_6140 Depth=3
	v_mov_b32_e32 v2, v0
; %bb.6164:                             ;   in Loop: Header=BB2_6140 Depth=3
	s_or_b64 exec, exec, s[28:29]
.LBB2_6165:                             ;   in Loop: Header=BB2_6140 Depth=3
	s_or_b64 exec, exec, s[36:37]
                                        ; implicit-def: $vgpr0
.LBB2_6166:                             ;   in Loop: Header=BB2_6140 Depth=3
	s_andn2_saveexec_b64 s[28:29], s[34:35]
; %bb.6167:                             ;   in Loop: Header=BB2_6140 Depth=3
	v_or_b32_e32 v2, 0x7e, v0
; %bb.6168:                             ;   in Loop: Header=BB2_6140 Depth=3
	s_or_b64 exec, exec, s[28:29]
                                        ; implicit-def: $vgpr3
.LBB2_6169:                             ;   in Loop: Header=BB2_6140 Depth=3
	s_andn2_saveexec_b64 s[28:29], s[40:41]
; %bb.6170:                             ;   in Loop: Header=BB2_6140 Depth=3
	v_or_b32_sdwa v2, v3, s85 dst_sel:DWORD dst_unused:UNUSED_PAD src0_sel:BYTE_3 src1_sel:DWORD
; %bb.6171:                             ;   in Loop: Header=BB2_6140 Depth=3
	s_or_b64 exec, exec, s[28:29]
	flat_load_ubyte v3, v[42:43] glc slc
	v_and_b32_e32 v28, 0xff, v2
	v_cmp_ne_u16_e32 vcc, 0, v28
	v_mov_b32_e32 v0, 0
	v_mov_b32_e32 v5, 0
	s_and_saveexec_b64 s[28:29], vcc
	s_cbranch_execz .LBB2_6177
; %bb.6172:                             ;   in Loop: Header=BB2_6140 Depth=3
	v_cmp_ne_u16_e32 vcc, s87, v28
	v_bfrev_b32_e32 v5, 1
	s_and_saveexec_b64 s[40:41], vcc
	s_cbranch_execz .LBB2_6176
; %bb.6173:                             ;   in Loop: Header=BB2_6140 Depth=3
	v_and_b32_e32 v6, 0x7f, v2
	v_cmp_ne_u32_e32 vcc, s85, v6
	v_mov_b32_e32 v5, 0x7f800001
	s_and_saveexec_b64 s[34:35], vcc
	s_cbranch_execz .LBB2_6175
; %bb.6174:                             ;   in Loop: Header=BB2_6140 Depth=3
	v_and_b32_e32 v7, 7, v28
	v_ffbh_u32_e32 v5, v7
	v_min_u32_e32 v18, 32, v5
	v_subrev_u32_e32 v5, 28, v18
	v_lshrrev_b32_e32 v16, 3, v6
	v_cmp_gt_u32_e32 vcc, 8, v6
	v_lshlrev_b64 v[5:6], v5, v[28:29]
	v_sub_u32_e32 v6, 29, v18
	v_and_b32_e32 v5, 7, v5
	v_cndmask_b32_e32 v6, v16, v6, vcc
	v_cndmask_b32_e32 v5, v7, v5, vcc
	v_lshlrev_b32_e32 v2, 24, v2
	v_lshlrev_b32_e32 v5, 20, v5
	v_and_b32_e32 v2, 0x80000000, v2
	v_lshl_add_u32 v6, v6, 23, v17
	v_or3_b32 v5, v2, v6, v5
.LBB2_6175:                             ;   in Loop: Header=BB2_6140 Depth=3
	s_or_b64 exec, exec, s[34:35]
.LBB2_6176:                             ;   in Loop: Header=BB2_6140 Depth=3
	s_or_b64 exec, exec, s[40:41]
.LBB2_6177:                             ;   in Loop: Header=BB2_6140 Depth=3
	s_or_b64 exec, exec, s[28:29]
	s_waitcnt vmcnt(0) lgkmcnt(0)
	v_and_b32_e32 v28, 0xff, v3
	v_cmp_ne_u16_e32 vcc, 0, v28
	s_and_saveexec_b64 s[28:29], vcc
	s_cbranch_execz .LBB2_6183
; %bb.6178:                             ;   in Loop: Header=BB2_6140 Depth=3
	v_cmp_ne_u16_e32 vcc, s87, v28
	v_bfrev_b32_e32 v0, 1
	s_and_saveexec_b64 s[40:41], vcc
	s_cbranch_execz .LBB2_6182
; %bb.6179:                             ;   in Loop: Header=BB2_6140 Depth=3
	v_and_b32_e32 v2, 0x7f, v3
	v_cmp_ne_u32_e32 vcc, s85, v2
	v_mov_b32_e32 v0, 0x7f800001
	s_and_saveexec_b64 s[34:35], vcc
	s_cbranch_execz .LBB2_6181
; %bb.6180:                             ;   in Loop: Header=BB2_6140 Depth=3
	v_and_b32_e32 v0, 7, v28
	v_lshrrev_b32_e32 v6, 3, v2
	v_cmp_gt_u32_e32 vcc, 8, v2
	v_ffbh_u32_e32 v2, v0
	v_min_u32_e32 v16, 32, v2
	v_lshlrev_b32_e32 v3, 24, v3
	v_subrev_u32_e32 v2, 28, v16
	v_and_b32_e32 v7, 0x80000000, v3
	v_lshlrev_b64 v[2:3], v2, v[28:29]
	v_sub_u32_e32 v3, 29, v16
	v_and_b32_e32 v2, 7, v2
	v_cndmask_b32_e32 v3, v6, v3, vcc
	v_cndmask_b32_e32 v0, v0, v2, vcc
	v_lshlrev_b32_e32 v0, 20, v0
	v_lshl_add_u32 v2, v3, 23, v17
	v_or3_b32 v0, v7, v2, v0
.LBB2_6181:                             ;   in Loop: Header=BB2_6140 Depth=3
	s_or_b64 exec, exec, s[34:35]
.LBB2_6182:                             ;   in Loop: Header=BB2_6140 Depth=3
	s_or_b64 exec, exec, s[40:41]
.LBB2_6183:                             ;   in Loop: Header=BB2_6140 Depth=3
	s_or_b64 exec, exec, s[28:29]
	v_add_f32_e32 v3, v5, v0
	v_and_b32_e32 v28, 0x7f800000, v3
	v_cmp_ne_u64_e32 vcc, s[76:77], v[28:29]
                                        ; implicit-def: $vgpr2
	s_and_saveexec_b64 s[28:29], vcc
	s_xor_b64 s[40:41], exec, s[28:29]
	s_cbranch_execz .LBB2_6201
; %bb.6184:                             ;   in Loop: Header=BB2_6140 Depth=3
	v_and_b32_e32 v28, 0x7fffffff, v3
	v_cmp_gt_u64_e32 vcc, s[78:79], v[28:29]
	v_and_b32_sdwa v0, v3, s87 dst_sel:DWORD dst_unused:UNUSED_PAD src0_sel:BYTE_3 src1_sel:DWORD
                                        ; implicit-def: $vgpr2
	s_and_saveexec_b64 s[28:29], vcc
	s_xor_b64 s[34:35], exec, s[28:29]
	s_cbranch_execz .LBB2_6198
; %bb.6185:                             ;   in Loop: Header=BB2_6140 Depth=3
	v_cmp_ne_u32_e32 vcc, 0, v3
	v_mov_b32_e32 v2, 0
	s_and_saveexec_b64 s[36:37], vcc
	s_cbranch_execz .LBB2_6197
; %bb.6186:                             ;   in Loop: Header=BB2_6140 Depth=3
	v_bfe_u32 v2, v3, 23, 8
	v_and_b32_e32 v5, 0x7fffff, v3
	v_cmp_gt_u32_e64 s[28:29], s96, v2
	v_sub_u32_e32 v3, 0x79, v2
	v_cmp_eq_u32_e32 vcc, 0, v2
	v_cndmask_b32_e64 v3, 0, v3, s[28:29]
	v_or_b32_e32 v6, 0x800000, v5
	v_cndmask_b32_e32 v3, v3, v36, vcc
	v_cndmask_b32_e32 v28, v6, v5, vcc
	v_add_u32_e32 v5, 20, v3
	v_lshlrev_b64 v[5:6], v5, -1
	v_add_u32_e32 v7, 19, v3
	v_lshlrev_b64 v[18:19], v7, 1
	v_lshrrev_b64 v[44:45], v3, v[28:29]
	v_bfi_b32 v6, v6, 0, 0
	v_bfi_b32 v5, v5, 0, v28
	v_cmp_eq_u64_e64 s[28:29], v[5:6], v[18:19]
	v_mov_b32_e32 v46, v45
	v_mov_b32_e32 v45, v44
	s_and_saveexec_b64 s[38:39], s[28:29]
; %bb.6187:                             ;   in Loop: Header=BB2_6140 Depth=3
	v_bfe_u32 v5, v44, 20, 1
	v_add_co_u32_e64 v5, s[28:29], v44, v5
	v_add_co_u32_e64 v45, s[28:29], -1, v5
; %bb.6188:                             ;   in Loop: Header=BB2_6140 Depth=3
	s_or_b64 exec, exec, s[38:39]
	v_add_u32_e32 v2, 0xffffff81, v2
	v_cndmask_b32_e32 v2, v2, v37, vcc
	v_lshrrev_b32_e32 v5, 23, v44
	v_add3_u32 v5, v3, v2, v5
	v_add_u32_e32 v2, 6, v5
	v_and_b32_e32 v3, 0xfffff, v45
	v_add_u32_e32 v28, v3, v44
	v_cmp_ne_u32_e32 vcc, 0, v2
                                        ; implicit-def: $vgpr44_vgpr45
                                        ; implicit-def: $vgpr3
	s_and_saveexec_b64 s[28:29], vcc
	s_xor_b64 s[28:29], exec, s[28:29]
; %bb.6189:                             ;   in Loop: Header=BB2_6140 Depth=3
	v_cmp_lt_u64_e32 vcc, s[88:89], v[28:29]
	v_add_u32_e32 v3, 7, v5
	v_cndmask_b32_e32 v3, v2, v3, vcc
	v_cndmask_b32_e64 v2, 0, 1, vcc
	v_lshrrev_b64 v[44:45], v2, v[28:29]
; %bb.6190:                             ;   in Loop: Header=BB2_6140 Depth=3
	s_andn2_saveexec_b64 s[28:29], s[28:29]
; %bb.6191:                             ;   in Loop: Header=BB2_6140 Depth=3
	v_mov_b32_e32 v45, v29
	v_mov_b32_e32 v44, v28
	v_bfe_u32 v3, v28, 23, 1
; %bb.6192:                             ;   in Loop: Header=BB2_6140 Depth=3
	s_or_b64 exec, exec, s[28:29]
	v_lshrrev_b64 v[5:6], 20, v[44:45]
	v_cmp_gt_i32_e32 vcc, 16, v3
	v_cndmask_b32_e32 v45, 0, v6, vcc
	v_cndmask_b32_e32 v44, 7, v5, vcc
	v_cmp_ne_u64_e32 vcc, 0, v[44:45]
	v_cmp_ne_u32_e64 s[28:29], 0, v3
	s_or_b64 s[28:29], s[28:29], vcc
                                        ; implicit-def: $vgpr2
	s_and_saveexec_b64 s[44:45], s[28:29]
	s_xor_b64 s[28:29], exec, s[44:45]
; %bb.6193:                             ;   in Loop: Header=BB2_6140 Depth=3
	v_min_i32_e32 v2, 15, v3
	v_lshl_or_b32 v0, v2, 3, v0
	v_and_or_b32 v2, v44, 7, v0
                                        ; implicit-def: $vgpr0
; %bb.6194:                             ;   in Loop: Header=BB2_6140 Depth=3
	s_andn2_saveexec_b64 s[28:29], s[28:29]
; %bb.6195:                             ;   in Loop: Header=BB2_6140 Depth=3
	v_mov_b32_e32 v2, v0
; %bb.6196:                             ;   in Loop: Header=BB2_6140 Depth=3
	s_or_b64 exec, exec, s[28:29]
.LBB2_6197:                             ;   in Loop: Header=BB2_6140 Depth=3
	s_or_b64 exec, exec, s[36:37]
                                        ; implicit-def: $vgpr0
.LBB2_6198:                             ;   in Loop: Header=BB2_6140 Depth=3
	s_andn2_saveexec_b64 s[28:29], s[34:35]
; %bb.6199:                             ;   in Loop: Header=BB2_6140 Depth=3
	v_or_b32_e32 v2, 0x7e, v0
; %bb.6200:                             ;   in Loop: Header=BB2_6140 Depth=3
	s_or_b64 exec, exec, s[28:29]
                                        ; implicit-def: $vgpr3
.LBB2_6201:                             ;   in Loop: Header=BB2_6140 Depth=3
	s_andn2_saveexec_b64 s[28:29], s[40:41]
; %bb.6202:                             ;   in Loop: Header=BB2_6140 Depth=3
	v_or_b32_sdwa v2, v3, s85 dst_sel:DWORD dst_unused:UNUSED_PAD src0_sel:BYTE_3 src1_sel:DWORD
; %bb.6203:                             ;   in Loop: Header=BB2_6140 Depth=3
	s_or_b64 exec, exec, s[28:29]
	s_mov_b64 s[36:37], 0
	s_mov_b64 s[34:35], -1
.LBB2_6204:                             ;   Parent Loop BB2_47 Depth=1
                                        ;     Parent Loop BB2_3957 Depth=2
                                        ;       Parent Loop BB2_6140 Depth=3
                                        ; =>      This Inner Loop Header: Depth=4
	s_cmp_eq_u32 s36, 1
	s_cselect_b64 vcc, -1, 0
	v_cndmask_b32_e32 v5, v8, v10, vcc
	v_cndmask_b32_e32 v6, v9, v11, vcc
	v_add_co_u32_e64 v0, s[28:29], 64, v5
	s_cmp_eq_u32 s36, 0
	v_addc_co_u32_e64 v3, s[28:29], 0, v6, s[28:29]
	s_cselect_b64 s[28:29], -1, 0
	s_and_b64 s[40:41], exec, s[34:35]
	s_mov_b64 s[36:37], 1
	s_mov_b64 s[34:35], 0
	v_cndmask_b32_e32 v11, v11, v3, vcc
	v_cndmask_b32_e32 v10, v10, v0, vcc
	v_cndmask_b32_e64 v9, v9, v3, s[28:29]
	v_cndmask_b32_e64 v8, v8, v0, s[28:29]
	s_mov_b64 vcc, s[40:41]
	flat_store_byte v[5:6], v2 glc slc
	s_cbranch_vccnz .LBB2_6204
; %bb.6205:                             ;   in Loop: Header=BB2_6140 Depth=3
	buffer_load_dword v0, off, s[0:3], s33 offset:116 ; 4-byte Folded Reload
	buffer_load_dword v2, off, s[0:3], s33 offset:120 ; 4-byte Folded Reload
	;; [unrolled: 1-line block ×3, first 2 shown]
	s_waitcnt vmcnt(0)
	v_add_co_u32_e32 v40, vcc, v40, v0
	v_addc_co_u32_e32 v41, vcc, v41, v2, vcc
	v_add_co_u32_e32 v42, vcc, v42, v0
	v_addc_co_u32_e32 v43, vcc, v43, v2, vcc
	buffer_load_dword v2, off, s[0:3], s33 offset:108 ; 4-byte Folded Reload
	buffer_load_dword v0, off, s[0:3], s33 offset:56 ; 4-byte Folded Reload
	s_waitcnt vmcnt(0)
	v_add_co_u32_e32 v8, vcc, v8, v2
	v_addc_co_u32_e32 v9, vcc, v9, v3, vcc
	v_sub_u32_e32 v1, v1, v0
	v_cmp_gt_i32_e32 vcc, 1, v1
	s_or_b64 s[30:31], vcc, s[30:31]
	v_add_co_u32_e32 v10, vcc, v10, v2
	v_addc_co_u32_e32 v11, vcc, v11, v3, vcc
	s_andn2_b64 exec, exec, s[30:31]
	s_cbranch_execnz .LBB2_6140
.LBB2_6206:                             ;   in Loop: Header=BB2_3957 Depth=2
	s_or_b64 exec, exec, s[42:43]
	s_mov_b64 s[28:29], 0
.LBB2_6207:                             ;   in Loop: Header=BB2_3957 Depth=2
	s_and_b64 vcc, exec, s[28:29]
	s_cbranch_vccz .LBB2_8382
; %bb.6208:                             ;   in Loop: Header=BB2_3957 Depth=2
	s_mov_b64 s[28:29], -1
	s_and_saveexec_b64 s[40:41], s[24:25]
	s_cbranch_execz .LBB2_6210
; %bb.6209:                             ;   in Loop: Header=BB2_3957 Depth=2
	ds_read_b32 v0, v0 offset:720
	s_waitcnt lgkmcnt(0)
	v_and_b32_e32 v0, 15, v0
	v_cmp_eq_u32_e32 vcc, 0, v0
	s_orn2_b64 s[28:29], vcc, exec
.LBB2_6210:                             ;   in Loop: Header=BB2_3957 Depth=2
	s_or_b64 exec, exec, s[40:41]
	s_and_saveexec_b64 s[40:41], s[14:15]
	s_cbranch_execz .LBB2_6212
; %bb.6211:                             ;   in Loop: Header=BB2_3957 Depth=2
	ds_read_b32 v0, v0 offset:784
	s_waitcnt lgkmcnt(0)
	v_and_b32_e32 v0, 15, v0
	v_cmp_eq_u32_e32 vcc, 0, v0
	s_and_b64 s[42:43], s[28:29], vcc
	s_andn2_b64 s[28:29], s[28:29], exec
	s_and_b64 s[42:43], s[42:43], exec
	s_or_b64 s[28:29], s[28:29], s[42:43]
.LBB2_6212:                             ;   in Loop: Header=BB2_3957 Depth=2
	s_or_b64 exec, exec, s[40:41]
	buffer_load_dword v1, off, s[0:3], s33 offset:128 ; 4-byte Folded Reload
	s_xor_b64 s[28:29], s[28:29], -1
	v_cndmask_b32_e64 v0, 0, 1, s[28:29]
	s_mov_b64 s[30:31], -1
	v_mov_b32_e32 v19, 0
	v_cmp_ne_u32_e32 vcc, 0, v0
	v_mov_b32_e32 v24, v58
	s_cbranch_vccz .LBB2_6214
; %bb.6213:                             ;   in Loop: Header=BB2_3957 Depth=2
	s_and_saveexec_b64 s[40:41], s[30:31]
	s_cbranch_execnz .LBB2_7841
	s_branch .LBB2_8381
.LBB2_6214:                             ;   in Loop: Header=BB2_3957 Depth=2
	buffer_load_dword v0, off, s[0:3], s33 offset:148 ; 4-byte Folded Reload
	buffer_load_dword v3, off, s[0:3], s33 offset:152 ; 4-byte Folded Reload
	s_waitcnt vmcnt(0)
	v_sub_u32_e32 v1, v58, v0
	v_ashrrev_i32_e32 v0, 31, v58
	v_lshrrev_b32_e32 v0, 22, v0
	v_add_u32_e32 v0, v58, v0
	v_ashrrev_i32_e32 v2, 10, v0
	v_and_b32_e32 v0, 0xfffffc00, v0
	v_sub_u32_e32 v5, v58, v0
	v_sub_u32_e32 v2, v2, v3
	v_cmp_lt_i32_e64 s[28:29], 15, v5
	v_addc_co_u32_e64 v18, vcc, 0, v2, s[28:29]
	v_cmp_lt_i32_e32 vcc, 15, v1
	s_and_saveexec_b64 s[42:43], vcc
	s_cbranch_execz .LBB2_7026
; %bb.6215:                             ;   in Loop: Header=BB2_3957 Depth=2
	s_trap 2
	ds_read_b64 v[2:3], v0
	buffer_load_dword v5, off, s[0:3], s33 offset:148 ; 4-byte Folded Reload
	buffer_load_dword v6, off, s[0:3], s33 offset:156 ; 4-byte Folded Reload
	;; [unrolled: 1-line block ×3, first 2 shown]
	s_mov_b64 s[30:31], 0
	s_waitcnt lgkmcnt(0)
	v_readfirstlane_b32 s40, v2
	s_and_b32 s41, s40, 7
	s_flbit_i32_b32 s41, s41
	s_min_u32 s41, s41, 32
	s_and_b32 s44, s40, 0x7f
	s_bfe_u32 s45, s40, 0x40003
	s_waitcnt vmcnt(1)
	v_add_co_u32_e32 v40, vcc, v6, v5
	s_waitcnt vmcnt(0)
	v_addc_co_u32_e32 v41, vcc, 0, v7, vcc
	buffer_load_dword v6, off, s[0:3], s33 offset:140 ; 4-byte Folded Reload
	buffer_load_dword v7, off, s[0:3], s33 offset:144 ; 4-byte Folded Reload
	v_add_co_u32_e32 v42, vcc, v2, v5
	v_addc_co_u32_e32 v43, vcc, 0, v3, vcc
	s_waitcnt vmcnt(1)
	v_add_co_u32_e32 v44, vcc, v6, v5
	s_waitcnt vmcnt(0)
	v_addc_co_u32_e32 v45, vcc, 0, v7, vcc
	s_sub_i32 vcc_lo, s41, 28
	s_sub_i32 s41, 29, s41
	s_cmp_lt_u32 s44, 8
	s_cselect_b32 vcc_lo, vcc_lo, 0
	s_cselect_b32 s41, s41, s45
	v_lshlrev_b64 v[2:3], vcc_lo, v[2:3]
	s_lshl_b32 s45, s40, 24
	s_lshl_b32 s41, s41, 23
	s_and_b32 s45, s45, 0x80000000
	s_add_i32 s41, s41, 0x3c000000
	v_lshlrev_b32_e32 v2, 20, v2
	s_or_b32 s41, s45, s41
	v_and_b32_e32 v2, 0x700000, v2
	s_cmpk_lg_i32 s44, 0x7f
	v_or_b32_e32 v2, s41, v2
	s_cselect_b64 vcc, -1, 0
	v_cndmask_b32_e32 v19, v4, v2, vcc
	s_and_b32 s44, s40, 0xff
	s_branch .LBB2_6217
.LBB2_6216:                             ;   in Loop: Header=BB2_6217 Depth=3
	s_or_b64 exec, exec, s[40:41]
	v_lshl_or_b32 v9, v31, 8, v23
	v_lshlrev_b32_e32 v10, 16, v33
	v_lshlrev_b32_e32 v11, 24, v30
	v_or3_b32 v47, v9, v10, v11
	v_lshl_or_b32 v6, v6, 8, v24
	v_lshlrev_b32_e32 v2, 16, v2
	v_lshlrev_b32_e32 v9, 24, v34
	v_add_co_u32_e32 v40, vcc, v40, v15
	v_or3_b32 v46, v6, v2, v9
	v_lshl_or_b32 v2, v22, 8, v7
	v_lshlrev_b32_e32 v6, 16, v48
	v_lshlrev_b32_e32 v7, 24, v49
	v_addc_co_u32_e32 v41, vcc, 0, v41, vcc
	v_or3_b32 v48, v2, v6, v7
	v_lshlrev_b32_e32 v2, 24, v8
	v_lshlrev_b32_e32 v6, 16, v16
	v_lshl_or_b32 v3, v5, 8, v3
	v_add_co_u32_e32 v42, vcc, v42, v15
	v_or3_b32 v49, v3, v6, v2
	v_addc_co_u32_e32 v43, vcc, 0, v43, vcc
	global_store_dwordx4 v[44:45], v[46:49], off glc slc
	v_add_co_u32_e32 v44, vcc, v44, v15
	v_addc_co_u32_e32 v45, vcc, 0, v45, vcc
	v_sub_u32_e32 v1, v1, v15
	v_cmp_gt_i32_e32 vcc, 16, v1
	s_or_b64 s[30:31], vcc, s[30:31]
	v_sub_u32_e32 v18, v18, v14
	s_andn2_b64 exec, exec, s[30:31]
	s_cbranch_execz .LBB2_7025
.LBB2_6217:                             ;   Parent Loop BB2_47 Depth=1
                                        ;     Parent Loop BB2_3957 Depth=2
                                        ; =>    This Inner Loop Header: Depth=3
	s_cmpk_lt_i32 s44, 0x80
	s_cbranch_scc1 .LBB2_6221
; %bb.6218:                             ;   in Loop: Header=BB2_6217 Depth=3
	s_and_b32 s45, 0xffff, s44
	s_mov_b64 s[40:41], -1
	s_cmpk_eq_i32 s45, 0x80
	s_cbranch_scc0 .LBB2_6220
; %bb.6219:                             ;   in Loop: Header=BB2_6217 Depth=3
	s_mov_b64 s[40:41], 0
.LBB2_6220:                             ;   in Loop: Header=BB2_6217 Depth=3
	s_brev_b32 s45, 1
	s_branch .LBB2_6223
.LBB2_6221:                             ;   in Loop: Header=BB2_6217 Depth=3
	s_mov_b64 s[40:41], 0
	s_brev_b32 s45, 1
	s_cbranch_execz .LBB2_6223
; %bb.6222:                             ;   in Loop: Header=BB2_6217 Depth=3
	s_and_b32 s40, 0xffff, s44
	s_cmp_lg_u32 s40, 0
	s_mov_b32 s45, 0
	s_cselect_b64 s[40:41], -1, 0
.LBB2_6223:                             ;   in Loop: Header=BB2_6217 Depth=3
	s_andn2_b64 vcc, exec, s[40:41]
	v_mov_b32_e32 v3, s45
	s_cbranch_vccnz .LBB2_6225
; %bb.6224:                             ;   in Loop: Header=BB2_6217 Depth=3
	v_mov_b32_e32 v3, v19
.LBB2_6225:                             ;   in Loop: Header=BB2_6217 Depth=3
	global_load_dwordx4 v[8:11], v[40:41], off glc slc
	v_mov_b32_e32 v2, 0
	s_waitcnt vmcnt(0)
	v_cmp_ne_u16_sdwa vcc, v8, v29 src0_sel:BYTE_0 src1_sel:DWORD
	s_and_saveexec_b64 s[40:41], vcc
	s_cbranch_execz .LBB2_6231
; %bb.6226:                             ;   in Loop: Header=BB2_6217 Depth=3
	v_cmp_ne_u16_sdwa vcc, v8, s87 src0_sel:BYTE_0 src1_sel:DWORD
	v_bfrev_b32_e32 v2, 1
	s_and_saveexec_b64 s[34:35], vcc
	s_cbranch_execz .LBB2_6230
; %bb.6227:                             ;   in Loop: Header=BB2_6217 Depth=3
	v_and_b32_e32 v5, 0x7f, v8
	v_cmp_ne_u32_e32 vcc, s85, v5
	v_mov_b32_e32 v2, 0x7f800001
	s_and_saveexec_b64 s[36:37], vcc
	s_cbranch_execz .LBB2_6229
; %bb.6228:                             ;   in Loop: Header=BB2_6217 Depth=3
	v_and_b32_e32 v2, 7, v8
	v_ffbh_u32_e32 v2, v2
	v_min_u32_e32 v2, 32, v2
	v_lshrrev_b32_e32 v6, 3, v5
	v_cmp_gt_u32_e32 vcc, 8, v5
	v_subrev_u32_e32 v5, 28, v2
	v_sub_u32_e32 v2, 29, v2
	v_cndmask_b32_e32 v5, 0, v5, vcc
	v_cndmask_b32_e32 v2, v6, v2, vcc
	v_lshlrev_b64 v[5:6], v5, v[8:9]
	v_lshlrev_b32_e32 v6, 24, v8
	v_lshlrev_b32_e32 v5, 20, v5
	v_and_b32_e32 v5, 0x700000, v5
	v_and_b32_e32 v6, 0x80000000, v6
	v_lshl_add_u32 v2, v2, 23, v17
	v_or3_b32 v2, v6, v2, v5
.LBB2_6229:                             ;   in Loop: Header=BB2_6217 Depth=3
	s_or_b64 exec, exec, s[36:37]
.LBB2_6230:                             ;   in Loop: Header=BB2_6217 Depth=3
	s_or_b64 exec, exec, s[34:35]
.LBB2_6231:                             ;   in Loop: Header=BB2_6217 Depth=3
	s_or_b64 exec, exec, s[40:41]
	v_mul_f32_e32 v6, v3, v2
	v_and_b32_e32 v28, 0x7f800000, v6
	v_cmp_ne_u64_e32 vcc, s[76:77], v[28:29]
                                        ; implicit-def: $vgpr2
	s_and_saveexec_b64 s[40:41], vcc
	s_xor_b64 s[34:35], exec, s[40:41]
	s_cbranch_execz .LBB2_6245
; %bb.6232:                             ;   in Loop: Header=BB2_6217 Depth=3
	v_and_b32_e32 v28, 0x7fffffff, v6
	v_cmp_gt_u64_e32 vcc, s[78:79], v[28:29]
	v_and_b32_sdwa v5, v6, s87 dst_sel:DWORD dst_unused:UNUSED_PAD src0_sel:BYTE_3 src1_sel:DWORD
                                        ; implicit-def: $vgpr2
	s_and_saveexec_b64 s[40:41], vcc
	s_xor_b64 s[36:37], exec, s[40:41]
	s_cbranch_execz .LBB2_6242
; %bb.6233:                             ;   in Loop: Header=BB2_6217 Depth=3
	v_mov_b32_e32 v2, 0
	v_cmp_ne_u32_e32 vcc, 0, v6
	s_and_saveexec_b64 s[38:39], vcc
	s_cbranch_execz .LBB2_6241
; %bb.6234:                             ;   in Loop: Header=BB2_6217 Depth=3
	v_bfe_u32 v2, v6, 23, 8
	v_and_b32_e32 v7, 0x7fffff, v6
	v_cmp_gt_u32_e64 s[40:41], s96, v2
	v_sub_u32_e32 v6, 0x79, v2
	v_cmp_eq_u32_e32 vcc, 0, v2
	v_cndmask_b32_e64 v6, 0, v6, s[40:41]
	v_or_b32_e32 v16, 0x800000, v7
	v_cndmask_b32_e32 v6, v6, v36, vcc
	v_cndmask_b32_e32 v28, v16, v7, vcc
	v_add_u32_e32 v7, 20, v6
	v_lshlrev_b64 v[22:23], v7, -1
	v_add_u32_e32 v7, 19, v6
	v_lshlrev_b64 v[24:25], v7, 1
	v_lshrrev_b64 v[46:47], v6, v[28:29]
	v_bfi_b32 v23, v23, 0, 0
	v_bfi_b32 v22, v22, 0, v28
	v_cmp_eq_u64_e64 s[40:41], v[22:23], v[24:25]
	v_mov_b32_e32 v56, v47
	v_mov_b32_e32 v55, v46
	s_and_saveexec_b64 s[48:49], s[40:41]
; %bb.6235:                             ;   in Loop: Header=BB2_6217 Depth=3
	v_bfe_u32 v7, v46, 20, 1
	v_add_co_u32_e64 v7, s[40:41], v46, v7
	v_add_co_u32_e64 v55, s[40:41], -1, v7
; %bb.6236:                             ;   in Loop: Header=BB2_6217 Depth=3
	s_or_b64 exec, exec, s[48:49]
	v_add_u32_e32 v2, 0xffffff81, v2
	v_cndmask_b32_e32 v2, v2, v37, vcc
	v_lshrrev_b32_e32 v7, 23, v46
	v_add3_u32 v7, v6, v2, v7
	v_add_u32_e32 v6, 6, v7
	v_and_b32_e32 v2, 0xfffff, v55
	v_add_u32_e32 v28, v2, v46
	v_cmp_ne_u32_e32 vcc, 0, v6
                                        ; implicit-def: $vgpr46_vgpr47
                                        ; implicit-def: $vgpr2
	s_and_saveexec_b64 s[40:41], vcc
	s_xor_b64 s[40:41], exec, s[40:41]
; %bb.6237:                             ;   in Loop: Header=BB2_6217 Depth=3
	v_cmp_lt_u64_e32 vcc, s[88:89], v[28:29]
	v_add_u32_e32 v2, 7, v7
	v_cndmask_b32_e32 v2, v6, v2, vcc
	v_cndmask_b32_e64 v6, 0, 1, vcc
	v_lshrrev_b64 v[46:47], v6, v[28:29]
; %bb.6238:                             ;   in Loop: Header=BB2_6217 Depth=3
	s_andn2_saveexec_b64 s[40:41], s[40:41]
; %bb.6239:                             ;   in Loop: Header=BB2_6217 Depth=3
	v_mov_b32_e32 v47, v29
	v_bfe_u32 v2, v28, 23, 1
	v_mov_b32_e32 v46, v28
; %bb.6240:                             ;   in Loop: Header=BB2_6217 Depth=3
	s_or_b64 exec, exec, s[40:41]
	v_lshrrev_b64 v[6:7], 20, v[46:47]
	v_cmp_gt_i32_e32 vcc, 16, v2
	v_cndmask_b32_e32 v7, 0, v7, vcc
	v_cndmask_b32_e32 v6, 7, v6, vcc
	v_cmp_eq_u32_e32 vcc, 0, v2
	v_min_i32_e32 v2, 15, v2
	v_cmp_eq_u64_e64 s[40:41], 0, v[6:7]
	v_lshlrev_b32_e32 v2, 3, v2
	v_and_b32_e32 v2, 0xf8, v2
	v_and_or_b32 v2, v6, 7, v2
	s_and_b64 s[40:41], vcc, s[40:41]
	v_cndmask_b32_e64 v2, v2, 0, s[40:41]
	v_or_b32_e32 v2, v2, v5
.LBB2_6241:                             ;   in Loop: Header=BB2_6217 Depth=3
	s_or_b64 exec, exec, s[38:39]
                                        ; implicit-def: $vgpr5
.LBB2_6242:                             ;   in Loop: Header=BB2_6217 Depth=3
	s_andn2_saveexec_b64 s[40:41], s[36:37]
; %bb.6243:                             ;   in Loop: Header=BB2_6217 Depth=3
	v_or_b32_e32 v2, 0x7e, v5
; %bb.6244:                             ;   in Loop: Header=BB2_6217 Depth=3
	s_or_b64 exec, exec, s[40:41]
                                        ; implicit-def: $vgpr6
.LBB2_6245:                             ;   in Loop: Header=BB2_6217 Depth=3
	s_andn2_saveexec_b64 s[40:41], s[34:35]
; %bb.6246:                             ;   in Loop: Header=BB2_6217 Depth=3
	v_or_b32_sdwa v2, v6, s85 dst_sel:DWORD dst_unused:UNUSED_PAD src0_sel:BYTE_3 src1_sel:DWORD
; %bb.6247:                             ;   in Loop: Header=BB2_6217 Depth=3
	s_or_b64 exec, exec, s[40:41]
	v_lshrrev_b16_e32 v28, 8, v8
	v_cmp_ne_u16_e32 vcc, 0, v28
	v_mov_b32_e32 v5, 0
	s_and_saveexec_b64 s[40:41], vcc
	s_cbranch_execz .LBB2_6253
; %bb.6248:                             ;   in Loop: Header=BB2_6217 Depth=3
	v_cmp_ne_u16_e32 vcc, s87, v28
	v_bfrev_b32_e32 v5, 1
	s_and_saveexec_b64 s[34:35], vcc
	s_cbranch_execz .LBB2_6252
; %bb.6249:                             ;   in Loop: Header=BB2_6217 Depth=3
	v_and_b32_e32 v6, 0x7f, v28
	v_cmp_ne_u32_e32 vcc, s85, v6
	v_mov_b32_e32 v5, 0x7f800001
	s_and_saveexec_b64 s[36:37], vcc
	s_cbranch_execz .LBB2_6251
; %bb.6250:                             ;   in Loop: Header=BB2_6217 Depth=3
	v_and_b32_e32 v7, 7, v28
	v_ffbh_u32_e32 v5, v7
	v_min_u32_e32 v22, 32, v5
	v_subrev_u32_e32 v5, 28, v22
	v_lshrrev_b32_e32 v16, 3, v6
	v_cmp_gt_u32_e32 vcc, 8, v6
	v_lshlrev_b64 v[5:6], v5, v[28:29]
	v_sub_u32_e32 v6, 29, v22
	v_and_b32_e32 v5, 7, v5
	v_cndmask_b32_e32 v6, v16, v6, vcc
	v_cndmask_b32_e32 v5, v7, v5, vcc
	v_lshlrev_b32_e32 v7, 16, v8
	v_lshlrev_b32_e32 v5, 20, v5
	v_and_b32_e32 v7, 0x80000000, v7
	v_lshl_add_u32 v6, v6, 23, v17
	v_or3_b32 v5, v7, v6, v5
.LBB2_6251:                             ;   in Loop: Header=BB2_6217 Depth=3
	s_or_b64 exec, exec, s[36:37]
.LBB2_6252:                             ;   in Loop: Header=BB2_6217 Depth=3
	s_or_b64 exec, exec, s[34:35]
.LBB2_6253:                             ;   in Loop: Header=BB2_6217 Depth=3
	s_or_b64 exec, exec, s[40:41]
	v_mul_f32_e32 v7, v3, v5
	v_and_b32_e32 v28, 0x7f800000, v7
	v_cmp_ne_u64_e32 vcc, s[76:77], v[28:29]
                                        ; implicit-def: $vgpr6
	s_and_saveexec_b64 s[40:41], vcc
	s_xor_b64 s[34:35], exec, s[40:41]
	s_cbranch_execz .LBB2_6267
; %bb.6254:                             ;   in Loop: Header=BB2_6217 Depth=3
	v_and_b32_e32 v28, 0x7fffffff, v7
	v_cmp_gt_u64_e32 vcc, s[78:79], v[28:29]
	v_and_b32_sdwa v5, v7, s87 dst_sel:DWORD dst_unused:UNUSED_PAD src0_sel:BYTE_3 src1_sel:DWORD
                                        ; implicit-def: $vgpr6
	s_and_saveexec_b64 s[40:41], vcc
	s_xor_b64 s[36:37], exec, s[40:41]
	s_cbranch_execz .LBB2_6264
; %bb.6255:                             ;   in Loop: Header=BB2_6217 Depth=3
	v_mov_b32_e32 v6, 0
	v_cmp_ne_u32_e32 vcc, 0, v7
	s_and_saveexec_b64 s[38:39], vcc
	s_cbranch_execz .LBB2_6263
; %bb.6256:                             ;   in Loop: Header=BB2_6217 Depth=3
	v_bfe_u32 v6, v7, 23, 8
	v_and_b32_e32 v16, 0x7fffff, v7
	v_cmp_gt_u32_e64 s[40:41], s96, v6
	v_sub_u32_e32 v7, 0x79, v6
	v_cmp_eq_u32_e32 vcc, 0, v6
	v_cndmask_b32_e64 v7, 0, v7, s[40:41]
	v_or_b32_e32 v22, 0x800000, v16
	v_cndmask_b32_e32 v7, v7, v36, vcc
	v_cndmask_b32_e32 v28, v22, v16, vcc
	v_add_u32_e32 v16, 20, v7
	v_lshlrev_b64 v[22:23], v16, -1
	v_add_u32_e32 v16, 19, v7
	v_lshlrev_b64 v[24:25], v16, 1
	v_lshrrev_b64 v[46:47], v7, v[28:29]
	v_bfi_b32 v23, v23, 0, 0
	v_bfi_b32 v22, v22, 0, v28
	v_cmp_eq_u64_e64 s[40:41], v[22:23], v[24:25]
	v_mov_b32_e32 v56, v47
	v_mov_b32_e32 v55, v46
	s_and_saveexec_b64 s[48:49], s[40:41]
; %bb.6257:                             ;   in Loop: Header=BB2_6217 Depth=3
	v_bfe_u32 v16, v46, 20, 1
	v_add_co_u32_e64 v16, s[40:41], v46, v16
	v_add_co_u32_e64 v55, s[40:41], -1, v16
; %bb.6258:                             ;   in Loop: Header=BB2_6217 Depth=3
	s_or_b64 exec, exec, s[48:49]
	v_add_u32_e32 v6, 0xffffff81, v6
	v_cndmask_b32_e32 v6, v6, v37, vcc
	v_lshrrev_b32_e32 v16, 23, v46
	v_add3_u32 v16, v7, v6, v16
	v_add_u32_e32 v7, 6, v16
	v_and_b32_e32 v6, 0xfffff, v55
	v_add_u32_e32 v28, v6, v46
	v_cmp_ne_u32_e32 vcc, 0, v7
                                        ; implicit-def: $vgpr46_vgpr47
                                        ; implicit-def: $vgpr6
	s_and_saveexec_b64 s[40:41], vcc
	s_xor_b64 s[40:41], exec, s[40:41]
; %bb.6259:                             ;   in Loop: Header=BB2_6217 Depth=3
	v_cmp_lt_u64_e32 vcc, s[88:89], v[28:29]
	v_add_u32_e32 v6, 7, v16
	v_cndmask_b32_e32 v6, v7, v6, vcc
	v_cndmask_b32_e64 v7, 0, 1, vcc
	v_lshrrev_b64 v[46:47], v7, v[28:29]
; %bb.6260:                             ;   in Loop: Header=BB2_6217 Depth=3
	s_andn2_saveexec_b64 s[40:41], s[40:41]
; %bb.6261:                             ;   in Loop: Header=BB2_6217 Depth=3
	v_mov_b32_e32 v47, v29
	v_bfe_u32 v6, v28, 23, 1
	v_mov_b32_e32 v46, v28
; %bb.6262:                             ;   in Loop: Header=BB2_6217 Depth=3
	s_or_b64 exec, exec, s[40:41]
	v_lshrrev_b64 v[22:23], 20, v[46:47]
	v_cmp_gt_i32_e32 vcc, 16, v6
	v_cndmask_b32_e32 v23, 0, v23, vcc
	v_cndmask_b32_e32 v22, 7, v22, vcc
	v_cmp_eq_u32_e32 vcc, 0, v6
	v_min_i32_e32 v6, 15, v6
	v_cmp_eq_u64_e64 s[40:41], 0, v[22:23]
	v_lshlrev_b32_e32 v6, 3, v6
	v_and_b32_e32 v6, 0xf8, v6
	v_and_or_b32 v6, v22, 7, v6
	s_and_b64 s[40:41], vcc, s[40:41]
	v_cndmask_b32_e64 v6, v6, 0, s[40:41]
	v_or_b32_e32 v6, v6, v5
.LBB2_6263:                             ;   in Loop: Header=BB2_6217 Depth=3
	s_or_b64 exec, exec, s[38:39]
                                        ; implicit-def: $vgpr5
.LBB2_6264:                             ;   in Loop: Header=BB2_6217 Depth=3
	s_andn2_saveexec_b64 s[40:41], s[36:37]
; %bb.6265:                             ;   in Loop: Header=BB2_6217 Depth=3
	v_or_b32_e32 v6, 0x7e, v5
; %bb.6266:                             ;   in Loop: Header=BB2_6217 Depth=3
	s_or_b64 exec, exec, s[40:41]
                                        ; implicit-def: $vgpr7
.LBB2_6267:                             ;   in Loop: Header=BB2_6217 Depth=3
	s_andn2_saveexec_b64 s[40:41], s[34:35]
; %bb.6268:                             ;   in Loop: Header=BB2_6217 Depth=3
	v_or_b32_sdwa v6, v7, s85 dst_sel:DWORD dst_unused:UNUSED_PAD src0_sel:BYTE_3 src1_sel:DWORD
; %bb.6269:                             ;   in Loop: Header=BB2_6217 Depth=3
	s_or_b64 exec, exec, s[40:41]
	v_lshrrev_b32_e32 v28, 16, v8
	v_cmp_ne_u16_sdwa vcc, v28, v29 src0_sel:BYTE_0 src1_sel:DWORD
	v_mov_b32_e32 v5, 0
	s_and_saveexec_b64 s[40:41], vcc
	s_cbranch_execz .LBB2_6275
; %bb.6270:                             ;   in Loop: Header=BB2_6217 Depth=3
	v_cmp_ne_u16_sdwa vcc, v28, s87 src0_sel:BYTE_0 src1_sel:DWORD
	v_bfrev_b32_e32 v5, 1
	s_and_saveexec_b64 s[34:35], vcc
	s_cbranch_execz .LBB2_6274
; %bb.6271:                             ;   in Loop: Header=BB2_6217 Depth=3
	v_bfe_u32 v7, v8, 16, 7
	v_cmp_ne_u32_e32 vcc, s85, v7
	v_mov_b32_e32 v5, 0x7f800001
	s_and_saveexec_b64 s[36:37], vcc
	s_cbranch_execz .LBB2_6273
; %bb.6272:                             ;   in Loop: Header=BB2_6217 Depth=3
	v_and_b32_e32 v5, 7, v28
	v_lshrrev_b32_e32 v16, 3, v7
	v_cmp_gt_u32_e32 vcc, 8, v7
	v_ffbh_u32_e32 v7, v5
	v_min_u32_e32 v7, 32, v7
	v_subrev_u32_e32 v22, 28, v7
	v_lshlrev_b64 v[22:23], v22, v[28:29]
	v_sub_u32_e32 v7, 29, v7
	v_and_b32_e32 v22, 7, v22
	v_cndmask_b32_e32 v7, v16, v7, vcc
	v_cndmask_b32_e32 v5, v5, v22, vcc
	v_lshlrev_b32_e32 v16, 24, v28
	v_lshlrev_b32_e32 v5, 20, v5
	v_and_b32_e32 v16, 0x80000000, v16
	v_lshl_add_u32 v7, v7, 23, v17
	v_or3_b32 v5, v16, v7, v5
.LBB2_6273:                             ;   in Loop: Header=BB2_6217 Depth=3
	s_or_b64 exec, exec, s[36:37]
.LBB2_6274:                             ;   in Loop: Header=BB2_6217 Depth=3
	s_or_b64 exec, exec, s[34:35]
.LBB2_6275:                             ;   in Loop: Header=BB2_6217 Depth=3
	s_or_b64 exec, exec, s[40:41]
	v_mul_f32_e32 v7, v3, v5
	v_and_b32_e32 v28, 0x7f800000, v7
	v_cmp_ne_u64_e32 vcc, s[76:77], v[28:29]
                                        ; implicit-def: $vgpr24
	s_and_saveexec_b64 s[40:41], vcc
	s_xor_b64 s[34:35], exec, s[40:41]
	s_cbranch_execz .LBB2_6289
; %bb.6276:                             ;   in Loop: Header=BB2_6217 Depth=3
	v_and_b32_e32 v28, 0x7fffffff, v7
	v_cmp_gt_u64_e32 vcc, s[78:79], v[28:29]
	v_and_b32_sdwa v5, v7, s87 dst_sel:DWORD dst_unused:UNUSED_PAD src0_sel:BYTE_3 src1_sel:DWORD
                                        ; implicit-def: $vgpr24
	s_and_saveexec_b64 s[40:41], vcc
	s_xor_b64 s[36:37], exec, s[40:41]
	s_cbranch_execz .LBB2_6286
; %bb.6277:                             ;   in Loop: Header=BB2_6217 Depth=3
	v_mov_b32_e32 v24, 0
	v_cmp_ne_u32_e32 vcc, 0, v7
	s_and_saveexec_b64 s[38:39], vcc
	s_cbranch_execz .LBB2_6285
; %bb.6278:                             ;   in Loop: Header=BB2_6217 Depth=3
	v_and_b32_e32 v22, 0x7fffff, v7
	v_bfe_u32 v7, v7, 23, 8
	v_cmp_gt_u32_e64 s[40:41], s96, v7
	v_sub_u32_e32 v16, 0x79, v7
	v_cmp_eq_u32_e32 vcc, 0, v7
	v_cndmask_b32_e64 v16, 0, v16, s[40:41]
	v_or_b32_e32 v23, 0x800000, v22
	v_cndmask_b32_e32 v16, v16, v36, vcc
	v_cndmask_b32_e32 v28, v23, v22, vcc
	v_add_u32_e32 v22, 20, v16
	v_lshlrev_b64 v[22:23], v22, -1
	v_add_u32_e32 v24, 19, v16
	v_lshlrev_b64 v[24:25], v24, 1
	v_lshrrev_b64 v[46:47], v16, v[28:29]
	v_bfi_b32 v23, v23, 0, 0
	v_bfi_b32 v22, v22, 0, v28
	v_cmp_eq_u64_e64 s[40:41], v[22:23], v[24:25]
	v_mov_b32_e32 v56, v47
	v_mov_b32_e32 v55, v46
	s_and_saveexec_b64 s[48:49], s[40:41]
; %bb.6279:                             ;   in Loop: Header=BB2_6217 Depth=3
	v_bfe_u32 v22, v46, 20, 1
	v_add_co_u32_e64 v22, s[40:41], v46, v22
	v_add_co_u32_e64 v55, s[40:41], -1, v22
; %bb.6280:                             ;   in Loop: Header=BB2_6217 Depth=3
	s_or_b64 exec, exec, s[48:49]
	v_add_u32_e32 v7, 0xffffff81, v7
	v_cndmask_b32_e32 v7, v7, v37, vcc
	v_lshrrev_b32_e32 v22, 23, v46
	v_add3_u32 v22, v16, v7, v22
	v_add_u32_e32 v16, 6, v22
	v_and_b32_e32 v7, 0xfffff, v55
	v_add_u32_e32 v28, v7, v46
	v_cmp_ne_u32_e32 vcc, 0, v16
                                        ; implicit-def: $vgpr46_vgpr47
                                        ; implicit-def: $vgpr7
	s_and_saveexec_b64 s[40:41], vcc
	s_xor_b64 s[40:41], exec, s[40:41]
; %bb.6281:                             ;   in Loop: Header=BB2_6217 Depth=3
	v_cmp_lt_u64_e32 vcc, s[88:89], v[28:29]
	v_add_u32_e32 v7, 7, v22
	v_cndmask_b32_e32 v7, v16, v7, vcc
	v_cndmask_b32_e64 v16, 0, 1, vcc
	v_lshrrev_b64 v[46:47], v16, v[28:29]
; %bb.6282:                             ;   in Loop: Header=BB2_6217 Depth=3
	s_andn2_saveexec_b64 s[40:41], s[40:41]
; %bb.6283:                             ;   in Loop: Header=BB2_6217 Depth=3
	v_mov_b32_e32 v47, v29
	v_bfe_u32 v7, v28, 23, 1
	v_mov_b32_e32 v46, v28
; %bb.6284:                             ;   in Loop: Header=BB2_6217 Depth=3
	s_or_b64 exec, exec, s[40:41]
	v_lshrrev_b64 v[22:23], 20, v[46:47]
	v_cmp_gt_i32_e32 vcc, 16, v7
	v_cndmask_b32_e32 v23, 0, v23, vcc
	v_cndmask_b32_e32 v22, 7, v22, vcc
	v_cmp_eq_u32_e32 vcc, 0, v7
	v_min_i32_e32 v7, 15, v7
	v_cmp_eq_u64_e64 s[40:41], 0, v[22:23]
	v_lshlrev_b32_e32 v7, 3, v7
	v_and_b32_e32 v7, 0xf8, v7
	v_and_or_b32 v7, v22, 7, v7
	s_and_b64 s[40:41], vcc, s[40:41]
	v_cndmask_b32_e64 v7, v7, 0, s[40:41]
	v_or_b32_e32 v24, v7, v5
.LBB2_6285:                             ;   in Loop: Header=BB2_6217 Depth=3
	s_or_b64 exec, exec, s[38:39]
                                        ; implicit-def: $vgpr5
.LBB2_6286:                             ;   in Loop: Header=BB2_6217 Depth=3
	s_andn2_saveexec_b64 s[40:41], s[36:37]
; %bb.6287:                             ;   in Loop: Header=BB2_6217 Depth=3
	v_or_b32_e32 v24, 0x7e, v5
; %bb.6288:                             ;   in Loop: Header=BB2_6217 Depth=3
	s_or_b64 exec, exec, s[40:41]
                                        ; implicit-def: $vgpr7
.LBB2_6289:                             ;   in Loop: Header=BB2_6217 Depth=3
	s_andn2_saveexec_b64 s[40:41], s[34:35]
; %bb.6290:                             ;   in Loop: Header=BB2_6217 Depth=3
	v_or_b32_sdwa v24, v7, s85 dst_sel:DWORD dst_unused:UNUSED_PAD src0_sel:BYTE_3 src1_sel:DWORD
; %bb.6291:                             ;   in Loop: Header=BB2_6217 Depth=3
	s_or_b64 exec, exec, s[40:41]
	v_cmp_lt_u32_e32 vcc, s57, v8
	v_mov_b32_e32 v5, 0
	s_and_saveexec_b64 s[40:41], vcc
	s_cbranch_execz .LBB2_6297
; %bb.6292:                             ;   in Loop: Header=BB2_6217 Depth=3
	v_lshrrev_b32_e32 v28, 24, v8
	v_cmp_ne_u32_e32 vcc, s87, v28
	v_bfrev_b32_e32 v5, 1
	s_and_saveexec_b64 s[34:35], vcc
	s_cbranch_execz .LBB2_6296
; %bb.6293:                             ;   in Loop: Header=BB2_6217 Depth=3
	v_bfe_u32 v7, v8, 24, 7
	v_cmp_ne_u32_e32 vcc, s85, v7
	v_mov_b32_e32 v5, 0x7f800001
	s_and_saveexec_b64 s[36:37], vcc
	s_cbranch_execz .LBB2_6295
; %bb.6294:                             ;   in Loop: Header=BB2_6217 Depth=3
	v_and_b32_e32 v5, 7, v28
	v_lshrrev_b32_e32 v16, 3, v7
	v_cmp_gt_u32_e32 vcc, 8, v7
	v_ffbh_u32_e32 v7, v5
	v_min_u32_e32 v7, 32, v7
	v_subrev_u32_e32 v22, 28, v7
	v_lshlrev_b64 v[22:23], v22, v[28:29]
	v_sub_u32_e32 v7, 29, v7
	v_and_b32_e32 v22, 7, v22
	v_cndmask_b32_e32 v7, v16, v7, vcc
	v_cndmask_b32_e32 v5, v5, v22, vcc
	v_lshlrev_b32_e32 v16, 24, v28
	v_lshlrev_b32_e32 v5, 20, v5
	v_and_b32_e32 v16, 0x80000000, v16
	v_lshl_add_u32 v7, v7, 23, v17
	v_or3_b32 v5, v16, v7, v5
.LBB2_6295:                             ;   in Loop: Header=BB2_6217 Depth=3
	s_or_b64 exec, exec, s[36:37]
.LBB2_6296:                             ;   in Loop: Header=BB2_6217 Depth=3
	s_or_b64 exec, exec, s[34:35]
.LBB2_6297:                             ;   in Loop: Header=BB2_6217 Depth=3
	s_or_b64 exec, exec, s[40:41]
	v_mul_f32_e32 v7, v3, v5
	v_and_b32_e32 v28, 0x7f800000, v7
	v_cmp_ne_u64_e32 vcc, s[76:77], v[28:29]
                                        ; implicit-def: $vgpr34
	s_and_saveexec_b64 s[40:41], vcc
	s_xor_b64 s[34:35], exec, s[40:41]
	s_cbranch_execz .LBB2_6311
; %bb.6298:                             ;   in Loop: Header=BB2_6217 Depth=3
	v_and_b32_e32 v28, 0x7fffffff, v7
	v_cmp_gt_u64_e32 vcc, s[78:79], v[28:29]
	v_and_b32_sdwa v5, v7, s87 dst_sel:DWORD dst_unused:UNUSED_PAD src0_sel:BYTE_3 src1_sel:DWORD
                                        ; implicit-def: $vgpr34
	s_and_saveexec_b64 s[40:41], vcc
	s_xor_b64 s[36:37], exec, s[40:41]
	s_cbranch_execz .LBB2_6308
; %bb.6299:                             ;   in Loop: Header=BB2_6217 Depth=3
	v_mov_b32_e32 v34, 0
	v_cmp_ne_u32_e32 vcc, 0, v7
	s_and_saveexec_b64 s[38:39], vcc
	s_cbranch_execz .LBB2_6307
; %bb.6300:                             ;   in Loop: Header=BB2_6217 Depth=3
	v_and_b32_e32 v22, 0x7fffff, v7
	v_bfe_u32 v7, v7, 23, 8
	v_cmp_gt_u32_e64 s[40:41], s96, v7
	v_sub_u32_e32 v16, 0x79, v7
	v_cmp_eq_u32_e32 vcc, 0, v7
	v_cndmask_b32_e64 v16, 0, v16, s[40:41]
	v_or_b32_e32 v23, 0x800000, v22
	v_cndmask_b32_e32 v16, v16, v36, vcc
	v_cndmask_b32_e32 v28, v23, v22, vcc
	v_add_u32_e32 v22, 20, v16
	v_lshlrev_b64 v[22:23], v22, -1
	v_add_u32_e32 v25, 19, v16
	v_lshlrev_b64 v[30:31], v25, 1
	v_lshrrev_b64 v[46:47], v16, v[28:29]
	v_bfi_b32 v23, v23, 0, 0
	v_bfi_b32 v22, v22, 0, v28
	v_cmp_eq_u64_e64 s[40:41], v[22:23], v[30:31]
	v_mov_b32_e32 v56, v47
	v_mov_b32_e32 v55, v46
	s_and_saveexec_b64 s[48:49], s[40:41]
; %bb.6301:                             ;   in Loop: Header=BB2_6217 Depth=3
	v_bfe_u32 v22, v46, 20, 1
	v_add_co_u32_e64 v22, s[40:41], v46, v22
	v_add_co_u32_e64 v55, s[40:41], -1, v22
; %bb.6302:                             ;   in Loop: Header=BB2_6217 Depth=3
	s_or_b64 exec, exec, s[48:49]
	v_add_u32_e32 v7, 0xffffff81, v7
	v_cndmask_b32_e32 v7, v7, v37, vcc
	v_lshrrev_b32_e32 v22, 23, v46
	v_add3_u32 v22, v16, v7, v22
	v_add_u32_e32 v16, 6, v22
	v_and_b32_e32 v7, 0xfffff, v55
	v_add_u32_e32 v28, v7, v46
	v_cmp_ne_u32_e32 vcc, 0, v16
                                        ; implicit-def: $vgpr46_vgpr47
                                        ; implicit-def: $vgpr7
	s_and_saveexec_b64 s[40:41], vcc
	s_xor_b64 s[40:41], exec, s[40:41]
; %bb.6303:                             ;   in Loop: Header=BB2_6217 Depth=3
	v_cmp_lt_u64_e32 vcc, s[88:89], v[28:29]
	v_add_u32_e32 v7, 7, v22
	v_cndmask_b32_e32 v7, v16, v7, vcc
	v_cndmask_b32_e64 v16, 0, 1, vcc
	v_lshrrev_b64 v[46:47], v16, v[28:29]
; %bb.6304:                             ;   in Loop: Header=BB2_6217 Depth=3
	s_andn2_saveexec_b64 s[40:41], s[40:41]
; %bb.6305:                             ;   in Loop: Header=BB2_6217 Depth=3
	v_mov_b32_e32 v47, v29
	v_bfe_u32 v7, v28, 23, 1
	v_mov_b32_e32 v46, v28
; %bb.6306:                             ;   in Loop: Header=BB2_6217 Depth=3
	s_or_b64 exec, exec, s[40:41]
	v_lshrrev_b64 v[22:23], 20, v[46:47]
	v_cmp_gt_i32_e32 vcc, 16, v7
	v_cndmask_b32_e32 v23, 0, v23, vcc
	v_cndmask_b32_e32 v22, 7, v22, vcc
	v_cmp_eq_u32_e32 vcc, 0, v7
	v_min_i32_e32 v7, 15, v7
	v_cmp_eq_u64_e64 s[40:41], 0, v[22:23]
	v_lshlrev_b32_e32 v7, 3, v7
	v_and_b32_e32 v7, 0xf8, v7
	v_and_or_b32 v7, v22, 7, v7
	s_and_b64 s[40:41], vcc, s[40:41]
	v_cndmask_b32_e64 v7, v7, 0, s[40:41]
	v_or_b32_e32 v34, v7, v5
.LBB2_6307:                             ;   in Loop: Header=BB2_6217 Depth=3
	s_or_b64 exec, exec, s[38:39]
                                        ; implicit-def: $vgpr5
.LBB2_6308:                             ;   in Loop: Header=BB2_6217 Depth=3
	s_andn2_saveexec_b64 s[40:41], s[36:37]
; %bb.6309:                             ;   in Loop: Header=BB2_6217 Depth=3
	v_or_b32_e32 v34, 0x7e, v5
; %bb.6310:                             ;   in Loop: Header=BB2_6217 Depth=3
	s_or_b64 exec, exec, s[40:41]
                                        ; implicit-def: $vgpr7
.LBB2_6311:                             ;   in Loop: Header=BB2_6217 Depth=3
	s_andn2_saveexec_b64 s[40:41], s[34:35]
; %bb.6312:                             ;   in Loop: Header=BB2_6217 Depth=3
	v_or_b32_sdwa v34, v7, s85 dst_sel:DWORD dst_unused:UNUSED_PAD src0_sel:BYTE_3 src1_sel:DWORD
; %bb.6313:                             ;   in Loop: Header=BB2_6217 Depth=3
	s_or_b64 exec, exec, s[40:41]
	v_mov_b32_e32 v28, v9
	v_cmp_ne_u16_sdwa vcc, v9, v29 src0_sel:BYTE_0 src1_sel:DWORD
	v_mov_b32_e32 v5, 0
	s_and_saveexec_b64 s[40:41], vcc
	s_cbranch_execz .LBB2_6319
; %bb.6314:                             ;   in Loop: Header=BB2_6217 Depth=3
	v_cmp_ne_u16_sdwa vcc, v9, s87 src0_sel:BYTE_0 src1_sel:DWORD
	v_bfrev_b32_e32 v5, 1
	s_and_saveexec_b64 s[34:35], vcc
	s_cbranch_execz .LBB2_6318
; %bb.6315:                             ;   in Loop: Header=BB2_6217 Depth=3
	v_and_b32_e32 v7, 0x7f, v9
	v_cmp_ne_u32_e32 vcc, s85, v7
	v_mov_b32_e32 v5, 0x7f800001
	s_and_saveexec_b64 s[36:37], vcc
	s_cbranch_execz .LBB2_6317
; %bb.6316:                             ;   in Loop: Header=BB2_6217 Depth=3
	v_and_b32_e32 v5, 7, v9
	v_ffbh_u32_e32 v5, v5
	v_min_u32_e32 v5, 32, v5
	v_lshrrev_b32_e32 v16, 3, v7
	v_cmp_gt_u32_e32 vcc, 8, v7
	v_subrev_u32_e32 v7, 28, v5
	v_cndmask_b32_e32 v7, 0, v7, vcc
	v_lshlrev_b64 v[22:23], v7, v[28:29]
	v_sub_u32_e32 v5, 29, v5
	v_cndmask_b32_e32 v5, v16, v5, vcc
	v_lshlrev_b32_e32 v7, 20, v22
	v_lshlrev_b32_e32 v16, 24, v28
	v_and_b32_e32 v7, 0x700000, v7
	v_and_b32_e32 v16, 0x80000000, v16
	v_lshl_add_u32 v5, v5, 23, v17
	v_or3_b32 v5, v16, v5, v7
.LBB2_6317:                             ;   in Loop: Header=BB2_6217 Depth=3
	s_or_b64 exec, exec, s[36:37]
.LBB2_6318:                             ;   in Loop: Header=BB2_6217 Depth=3
	s_or_b64 exec, exec, s[34:35]
.LBB2_6319:                             ;   in Loop: Header=BB2_6217 Depth=3
	s_or_b64 exec, exec, s[40:41]
	v_mul_f32_e32 v7, v3, v5
	v_and_b32_e32 v22, 0x7f800000, v7
	v_mov_b32_e32 v23, v29
	v_cmp_ne_u64_e32 vcc, s[76:77], v[22:23]
                                        ; implicit-def: $vgpr31
	s_and_saveexec_b64 s[40:41], vcc
	s_xor_b64 s[34:35], exec, s[40:41]
	s_cbranch_execz .LBB2_6333
; %bb.6320:                             ;   in Loop: Header=BB2_6217 Depth=3
	v_and_b32_e32 v22, 0x7fffffff, v7
	v_mov_b32_e32 v23, v29
	v_cmp_gt_u64_e32 vcc, s[78:79], v[22:23]
	v_and_b32_sdwa v5, v7, s87 dst_sel:DWORD dst_unused:UNUSED_PAD src0_sel:BYTE_3 src1_sel:DWORD
                                        ; implicit-def: $vgpr31
	s_and_saveexec_b64 s[40:41], vcc
	s_xor_b64 s[36:37], exec, s[40:41]
	s_cbranch_execz .LBB2_6330
; %bb.6321:                             ;   in Loop: Header=BB2_6217 Depth=3
	v_mov_b32_e32 v31, 0
	v_cmp_ne_u32_e32 vcc, 0, v7
	s_and_saveexec_b64 s[38:39], vcc
	s_cbranch_execz .LBB2_6329
; %bb.6322:                             ;   in Loop: Header=BB2_6217 Depth=3
	v_and_b32_e32 v22, 0x7fffff, v7
	v_bfe_u32 v7, v7, 23, 8
	v_cmp_gt_u32_e64 s[40:41], s96, v7
	v_sub_u32_e32 v16, 0x79, v7
	v_cmp_eq_u32_e32 vcc, 0, v7
	v_cndmask_b32_e64 v16, 0, v16, s[40:41]
	v_cndmask_b32_e32 v16, v16, v36, vcc
	v_or_b32_e32 v23, 0x800000, v22
	v_add_u32_e32 v25, 20, v16
	v_cndmask_b32_e32 v22, v23, v22, vcc
	v_mov_b32_e32 v23, v29
	v_lshlrev_b64 v[30:31], v25, -1
	v_add_u32_e32 v25, 19, v16
	v_lshlrev_b64 v[48:49], v25, 1
	v_lshrrev_b64 v[46:47], v16, v[22:23]
	v_bfi_b32 v31, v31, 0, 0
	v_bfi_b32 v30, v30, 0, v22
	v_cmp_eq_u64_e64 s[40:41], v[30:31], v[48:49]
	v_mov_b32_e32 v56, v47
	v_mov_b32_e32 v55, v46
	s_and_saveexec_b64 s[48:49], s[40:41]
; %bb.6323:                             ;   in Loop: Header=BB2_6217 Depth=3
	v_bfe_u32 v22, v46, 20, 1
	v_add_co_u32_e64 v22, s[40:41], v46, v22
	v_add_co_u32_e64 v55, s[40:41], -1, v22
; %bb.6324:                             ;   in Loop: Header=BB2_6217 Depth=3
	s_or_b64 exec, exec, s[48:49]
	v_add_u32_e32 v7, 0xffffff81, v7
	v_cndmask_b32_e32 v7, v7, v37, vcc
	v_lshrrev_b32_e32 v22, 23, v46
	v_add3_u32 v22, v16, v7, v22
	v_add_u32_e32 v16, 6, v22
	v_and_b32_e32 v7, 0xfffff, v55
	v_add_u32_e32 v46, v7, v46
	v_mov_b32_e32 v47, v29
	v_cmp_ne_u32_e32 vcc, 0, v16
                                        ; implicit-def: $vgpr7
	s_and_saveexec_b64 s[40:41], vcc
	s_xor_b64 s[40:41], exec, s[40:41]
; %bb.6325:                             ;   in Loop: Header=BB2_6217 Depth=3
	v_cmp_lt_u64_e32 vcc, s[88:89], v[46:47]
	v_add_u32_e32 v7, 7, v22
	v_cndmask_b32_e32 v7, v16, v7, vcc
	v_cndmask_b32_e64 v16, 0, 1, vcc
	v_lshrrev_b64 v[46:47], v16, v[46:47]
; %bb.6326:                             ;   in Loop: Header=BB2_6217 Depth=3
	s_andn2_saveexec_b64 s[40:41], s[40:41]
; %bb.6327:                             ;   in Loop: Header=BB2_6217 Depth=3
	v_bfe_u32 v7, v46, 23, 1
; %bb.6328:                             ;   in Loop: Header=BB2_6217 Depth=3
	s_or_b64 exec, exec, s[40:41]
	v_lshrrev_b64 v[22:23], 20, v[46:47]
	v_cmp_gt_i32_e32 vcc, 16, v7
	v_cndmask_b32_e32 v23, 0, v23, vcc
	v_cndmask_b32_e32 v22, 7, v22, vcc
	v_cmp_eq_u32_e32 vcc, 0, v7
	v_min_i32_e32 v7, 15, v7
	v_cmp_eq_u64_e64 s[40:41], 0, v[22:23]
	v_lshlrev_b32_e32 v7, 3, v7
	v_and_b32_e32 v7, 0xf8, v7
	v_and_or_b32 v7, v22, 7, v7
	s_and_b64 s[40:41], vcc, s[40:41]
	v_cndmask_b32_e64 v7, v7, 0, s[40:41]
	v_or_b32_e32 v31, v7, v5
.LBB2_6329:                             ;   in Loop: Header=BB2_6217 Depth=3
	s_or_b64 exec, exec, s[38:39]
                                        ; implicit-def: $vgpr5
.LBB2_6330:                             ;   in Loop: Header=BB2_6217 Depth=3
	s_andn2_saveexec_b64 s[40:41], s[36:37]
; %bb.6331:                             ;   in Loop: Header=BB2_6217 Depth=3
	v_or_b32_e32 v31, 0x7e, v5
; %bb.6332:                             ;   in Loop: Header=BB2_6217 Depth=3
	s_or_b64 exec, exec, s[40:41]
                                        ; implicit-def: $vgpr7
.LBB2_6333:                             ;   in Loop: Header=BB2_6217 Depth=3
	s_andn2_saveexec_b64 s[40:41], s[34:35]
; %bb.6334:                             ;   in Loop: Header=BB2_6217 Depth=3
	v_or_b32_sdwa v31, v7, s85 dst_sel:DWORD dst_unused:UNUSED_PAD src0_sel:BYTE_3 src1_sel:DWORD
; %bb.6335:                             ;   in Loop: Header=BB2_6217 Depth=3
	s_or_b64 exec, exec, s[40:41]
	v_lshrrev_b16_e32 v30, 8, v28
	v_cmp_ne_u16_e32 vcc, 0, v30
	v_mov_b32_e32 v5, 0
	s_and_saveexec_b64 s[40:41], vcc
	s_cbranch_execz .LBB2_6341
; %bb.6336:                             ;   in Loop: Header=BB2_6217 Depth=3
	v_cmp_ne_u16_e32 vcc, s87, v30
	v_bfrev_b32_e32 v5, 1
	s_and_saveexec_b64 s[34:35], vcc
	s_cbranch_execz .LBB2_6340
; %bb.6337:                             ;   in Loop: Header=BB2_6217 Depth=3
	v_and_b32_e32 v7, 0x7f, v30
	v_cmp_ne_u32_e32 vcc, s85, v7
	v_mov_b32_e32 v5, 0x7f800001
	s_and_saveexec_b64 s[36:37], vcc
	s_cbranch_execz .LBB2_6339
; %bb.6338:                             ;   in Loop: Header=BB2_6217 Depth=3
	v_and_b32_e32 v5, 7, v30
	v_lshrrev_b32_e32 v16, 3, v7
	v_cmp_gt_u32_e32 vcc, 8, v7
	v_ffbh_u32_e32 v7, v5
	v_min_u32_e32 v7, 32, v7
	v_subrev_u32_e32 v22, 28, v7
	v_lshlrev_b64 v[22:23], v22, v[30:31]
	v_sub_u32_e32 v7, 29, v7
	v_and_b32_e32 v22, 7, v22
	v_cndmask_b32_e32 v7, v16, v7, vcc
	v_cndmask_b32_e32 v5, v5, v22, vcc
	v_lshlrev_b32_e32 v16, 16, v28
	v_lshlrev_b32_e32 v5, 20, v5
	v_and_b32_e32 v16, 0x80000000, v16
	v_lshl_add_u32 v7, v7, 23, v17
	v_or3_b32 v5, v16, v7, v5
.LBB2_6339:                             ;   in Loop: Header=BB2_6217 Depth=3
	s_or_b64 exec, exec, s[36:37]
.LBB2_6340:                             ;   in Loop: Header=BB2_6217 Depth=3
	s_or_b64 exec, exec, s[34:35]
.LBB2_6341:                             ;   in Loop: Header=BB2_6217 Depth=3
	s_or_b64 exec, exec, s[40:41]
	v_mul_f32_e32 v7, v3, v5
	v_and_b32_e32 v28, 0x7f800000, v7
	v_cmp_ne_u64_e32 vcc, s[76:77], v[28:29]
                                        ; implicit-def: $vgpr51
	s_and_saveexec_b64 s[40:41], vcc
	s_xor_b64 s[34:35], exec, s[40:41]
	s_cbranch_execz .LBB2_6355
; %bb.6342:                             ;   in Loop: Header=BB2_6217 Depth=3
	v_and_b32_e32 v28, 0x7fffffff, v7
	v_cmp_gt_u64_e32 vcc, s[78:79], v[28:29]
	v_and_b32_sdwa v5, v7, s87 dst_sel:DWORD dst_unused:UNUSED_PAD src0_sel:BYTE_3 src1_sel:DWORD
                                        ; implicit-def: $vgpr51
	s_and_saveexec_b64 s[40:41], vcc
	s_xor_b64 s[36:37], exec, s[40:41]
	s_cbranch_execz .LBB2_6352
; %bb.6343:                             ;   in Loop: Header=BB2_6217 Depth=3
	v_mov_b32_e32 v51, 0
	v_cmp_ne_u32_e32 vcc, 0, v7
	s_and_saveexec_b64 s[38:39], vcc
	s_cbranch_execz .LBB2_6351
; %bb.6344:                             ;   in Loop: Header=BB2_6217 Depth=3
	v_and_b32_e32 v22, 0x7fffff, v7
	v_bfe_u32 v7, v7, 23, 8
	v_cmp_gt_u32_e64 s[40:41], s96, v7
	v_sub_u32_e32 v16, 0x79, v7
	v_cmp_eq_u32_e32 vcc, 0, v7
	v_cndmask_b32_e64 v16, 0, v16, s[40:41]
	v_or_b32_e32 v23, 0x800000, v22
	v_cndmask_b32_e32 v16, v16, v36, vcc
	v_cndmask_b32_e32 v28, v23, v22, vcc
	v_add_u32_e32 v22, 20, v16
	v_lshlrev_b64 v[22:23], v22, -1
	v_add_u32_e32 v25, 19, v16
	v_lshlrev_b64 v[48:49], v25, 1
	v_lshrrev_b64 v[46:47], v16, v[28:29]
	v_bfi_b32 v23, v23, 0, 0
	v_bfi_b32 v22, v22, 0, v28
	v_cmp_eq_u64_e64 s[40:41], v[22:23], v[48:49]
	v_mov_b32_e32 v56, v47
	v_mov_b32_e32 v55, v46
	s_and_saveexec_b64 s[48:49], s[40:41]
; %bb.6345:                             ;   in Loop: Header=BB2_6217 Depth=3
	v_bfe_u32 v22, v46, 20, 1
	v_add_co_u32_e64 v22, s[40:41], v46, v22
	v_add_co_u32_e64 v55, s[40:41], -1, v22
; %bb.6346:                             ;   in Loop: Header=BB2_6217 Depth=3
	s_or_b64 exec, exec, s[48:49]
	v_add_u32_e32 v7, 0xffffff81, v7
	v_cndmask_b32_e32 v7, v7, v37, vcc
	v_lshrrev_b32_e32 v22, 23, v46
	v_add3_u32 v22, v16, v7, v22
	v_add_u32_e32 v16, 6, v22
	v_and_b32_e32 v7, 0xfffff, v55
	v_add_u32_e32 v28, v7, v46
	v_cmp_ne_u32_e32 vcc, 0, v16
                                        ; implicit-def: $vgpr46_vgpr47
                                        ; implicit-def: $vgpr7
	s_and_saveexec_b64 s[40:41], vcc
	s_xor_b64 s[40:41], exec, s[40:41]
; %bb.6347:                             ;   in Loop: Header=BB2_6217 Depth=3
	v_cmp_lt_u64_e32 vcc, s[88:89], v[28:29]
	v_add_u32_e32 v7, 7, v22
	v_cndmask_b32_e32 v7, v16, v7, vcc
	v_cndmask_b32_e64 v16, 0, 1, vcc
	v_lshrrev_b64 v[46:47], v16, v[28:29]
; %bb.6348:                             ;   in Loop: Header=BB2_6217 Depth=3
	s_andn2_saveexec_b64 s[40:41], s[40:41]
; %bb.6349:                             ;   in Loop: Header=BB2_6217 Depth=3
	v_mov_b32_e32 v47, v29
	v_bfe_u32 v7, v28, 23, 1
	v_mov_b32_e32 v46, v28
; %bb.6350:                             ;   in Loop: Header=BB2_6217 Depth=3
	s_or_b64 exec, exec, s[40:41]
	v_lshrrev_b64 v[22:23], 20, v[46:47]
	v_cmp_gt_i32_e32 vcc, 16, v7
	v_cndmask_b32_e32 v23, 0, v23, vcc
	v_cndmask_b32_e32 v22, 7, v22, vcc
	v_cmp_eq_u32_e32 vcc, 0, v7
	v_min_i32_e32 v7, 15, v7
	v_cmp_eq_u64_e64 s[40:41], 0, v[22:23]
	v_lshlrev_b32_e32 v7, 3, v7
	v_and_b32_e32 v7, 0xf8, v7
	v_and_or_b32 v7, v22, 7, v7
	s_and_b64 s[40:41], vcc, s[40:41]
	v_cndmask_b32_e64 v7, v7, 0, s[40:41]
	v_or_b32_e32 v51, v7, v5
.LBB2_6351:                             ;   in Loop: Header=BB2_6217 Depth=3
	s_or_b64 exec, exec, s[38:39]
                                        ; implicit-def: $vgpr5
.LBB2_6352:                             ;   in Loop: Header=BB2_6217 Depth=3
	s_andn2_saveexec_b64 s[40:41], s[36:37]
; %bb.6353:                             ;   in Loop: Header=BB2_6217 Depth=3
	v_or_b32_e32 v51, 0x7e, v5
; %bb.6354:                             ;   in Loop: Header=BB2_6217 Depth=3
	s_or_b64 exec, exec, s[40:41]
                                        ; implicit-def: $vgpr7
.LBB2_6355:                             ;   in Loop: Header=BB2_6217 Depth=3
	s_andn2_saveexec_b64 s[40:41], s[34:35]
; %bb.6356:                             ;   in Loop: Header=BB2_6217 Depth=3
	v_or_b32_sdwa v51, v7, s85 dst_sel:DWORD dst_unused:UNUSED_PAD src0_sel:BYTE_3 src1_sel:DWORD
; %bb.6357:                             ;   in Loop: Header=BB2_6217 Depth=3
	s_or_b64 exec, exec, s[40:41]
	v_lshrrev_b32_e32 v28, 16, v9
	v_cmp_ne_u16_sdwa vcc, v28, v29 src0_sel:BYTE_0 src1_sel:DWORD
	v_mov_b32_e32 v5, 0
	s_and_saveexec_b64 s[40:41], vcc
	s_cbranch_execz .LBB2_6363
; %bb.6358:                             ;   in Loop: Header=BB2_6217 Depth=3
	v_cmp_ne_u16_sdwa vcc, v28, s87 src0_sel:BYTE_0 src1_sel:DWORD
	v_bfrev_b32_e32 v5, 1
	s_and_saveexec_b64 s[34:35], vcc
	s_cbranch_execz .LBB2_6362
; %bb.6359:                             ;   in Loop: Header=BB2_6217 Depth=3
	v_bfe_u32 v7, v9, 16, 7
	v_cmp_ne_u32_e32 vcc, s85, v7
	v_mov_b32_e32 v5, 0x7f800001
	s_and_saveexec_b64 s[36:37], vcc
	s_cbranch_execz .LBB2_6361
; %bb.6360:                             ;   in Loop: Header=BB2_6217 Depth=3
	v_and_b32_e32 v5, 7, v28
	v_lshrrev_b32_e32 v16, 3, v7
	v_cmp_gt_u32_e32 vcc, 8, v7
	v_ffbh_u32_e32 v7, v5
	v_min_u32_e32 v7, 32, v7
	v_subrev_u32_e32 v22, 28, v7
	v_lshlrev_b64 v[22:23], v22, v[28:29]
	v_sub_u32_e32 v7, 29, v7
	v_and_b32_e32 v22, 7, v22
	v_cndmask_b32_e32 v7, v16, v7, vcc
	v_cndmask_b32_e32 v5, v5, v22, vcc
	v_lshlrev_b32_e32 v16, 24, v28
	v_lshlrev_b32_e32 v5, 20, v5
	v_and_b32_e32 v16, 0x80000000, v16
	v_lshl_add_u32 v7, v7, 23, v17
	v_or3_b32 v5, v16, v7, v5
.LBB2_6361:                             ;   in Loop: Header=BB2_6217 Depth=3
	s_or_b64 exec, exec, s[36:37]
.LBB2_6362:                             ;   in Loop: Header=BB2_6217 Depth=3
	s_or_b64 exec, exec, s[34:35]
.LBB2_6363:                             ;   in Loop: Header=BB2_6217 Depth=3
	s_or_b64 exec, exec, s[40:41]
	v_mul_f32_e32 v7, v3, v5
	v_and_b32_e32 v28, 0x7f800000, v7
	v_cmp_ne_u64_e32 vcc, s[76:77], v[28:29]
                                        ; implicit-def: $vgpr23
	s_and_saveexec_b64 s[40:41], vcc
	s_xor_b64 s[34:35], exec, s[40:41]
	s_cbranch_execz .LBB2_6377
; %bb.6364:                             ;   in Loop: Header=BB2_6217 Depth=3
	v_and_b32_e32 v28, 0x7fffffff, v7
	v_cmp_gt_u64_e32 vcc, s[78:79], v[28:29]
	v_and_b32_sdwa v5, v7, s87 dst_sel:DWORD dst_unused:UNUSED_PAD src0_sel:BYTE_3 src1_sel:DWORD
                                        ; implicit-def: $vgpr23
	s_and_saveexec_b64 s[40:41], vcc
	s_xor_b64 s[36:37], exec, s[40:41]
	s_cbranch_execz .LBB2_6374
; %bb.6365:                             ;   in Loop: Header=BB2_6217 Depth=3
	v_mov_b32_e32 v23, 0
	v_cmp_ne_u32_e32 vcc, 0, v7
	s_and_saveexec_b64 s[38:39], vcc
	s_cbranch_execz .LBB2_6373
; %bb.6366:                             ;   in Loop: Header=BB2_6217 Depth=3
	v_and_b32_e32 v22, 0x7fffff, v7
	v_bfe_u32 v7, v7, 23, 8
	v_cmp_gt_u32_e64 s[40:41], s96, v7
	v_sub_u32_e32 v16, 0x79, v7
	v_cmp_eq_u32_e32 vcc, 0, v7
	v_cndmask_b32_e64 v16, 0, v16, s[40:41]
	v_or_b32_e32 v23, 0x800000, v22
	v_cndmask_b32_e32 v16, v16, v36, vcc
	v_cndmask_b32_e32 v28, v23, v22, vcc
	v_add_u32_e32 v22, 20, v16
	v_lshlrev_b64 v[22:23], v22, -1
	v_add_u32_e32 v25, 19, v16
	v_lshlrev_b64 v[48:49], v25, 1
	v_lshrrev_b64 v[46:47], v16, v[28:29]
	v_bfi_b32 v23, v23, 0, 0
	v_bfi_b32 v22, v22, 0, v28
	v_cmp_eq_u64_e64 s[40:41], v[22:23], v[48:49]
	v_mov_b32_e32 v56, v47
	v_mov_b32_e32 v55, v46
	s_and_saveexec_b64 s[48:49], s[40:41]
; %bb.6367:                             ;   in Loop: Header=BB2_6217 Depth=3
	v_bfe_u32 v22, v46, 20, 1
	v_add_co_u32_e64 v22, s[40:41], v46, v22
	v_add_co_u32_e64 v55, s[40:41], -1, v22
; %bb.6368:                             ;   in Loop: Header=BB2_6217 Depth=3
	s_or_b64 exec, exec, s[48:49]
	v_add_u32_e32 v7, 0xffffff81, v7
	v_cndmask_b32_e32 v7, v7, v37, vcc
	v_lshrrev_b32_e32 v22, 23, v46
	v_add3_u32 v22, v16, v7, v22
	v_add_u32_e32 v16, 6, v22
	v_and_b32_e32 v7, 0xfffff, v55
	v_add_u32_e32 v28, v7, v46
	v_cmp_ne_u32_e32 vcc, 0, v16
                                        ; implicit-def: $vgpr46_vgpr47
                                        ; implicit-def: $vgpr7
	s_and_saveexec_b64 s[40:41], vcc
	s_xor_b64 s[40:41], exec, s[40:41]
; %bb.6369:                             ;   in Loop: Header=BB2_6217 Depth=3
	v_cmp_lt_u64_e32 vcc, s[88:89], v[28:29]
	v_add_u32_e32 v7, 7, v22
	v_cndmask_b32_e32 v7, v16, v7, vcc
	v_cndmask_b32_e64 v16, 0, 1, vcc
	v_lshrrev_b64 v[46:47], v16, v[28:29]
; %bb.6370:                             ;   in Loop: Header=BB2_6217 Depth=3
	s_andn2_saveexec_b64 s[40:41], s[40:41]
; %bb.6371:                             ;   in Loop: Header=BB2_6217 Depth=3
	v_mov_b32_e32 v47, v29
	v_bfe_u32 v7, v28, 23, 1
	v_mov_b32_e32 v46, v28
; %bb.6372:                             ;   in Loop: Header=BB2_6217 Depth=3
	s_or_b64 exec, exec, s[40:41]
	v_lshrrev_b64 v[22:23], 20, v[46:47]
	v_cmp_gt_i32_e32 vcc, 16, v7
	v_cndmask_b32_e32 v23, 0, v23, vcc
	v_cndmask_b32_e32 v22, 7, v22, vcc
	v_cmp_eq_u32_e32 vcc, 0, v7
	v_min_i32_e32 v7, 15, v7
	v_cmp_eq_u64_e64 s[40:41], 0, v[22:23]
	v_lshlrev_b32_e32 v7, 3, v7
	v_and_b32_e32 v7, 0xf8, v7
	v_and_or_b32 v7, v22, 7, v7
	s_and_b64 s[40:41], vcc, s[40:41]
	v_cndmask_b32_e64 v7, v7, 0, s[40:41]
	v_or_b32_e32 v23, v7, v5
.LBB2_6373:                             ;   in Loop: Header=BB2_6217 Depth=3
	s_or_b64 exec, exec, s[38:39]
                                        ; implicit-def: $vgpr5
.LBB2_6374:                             ;   in Loop: Header=BB2_6217 Depth=3
	s_andn2_saveexec_b64 s[40:41], s[36:37]
; %bb.6375:                             ;   in Loop: Header=BB2_6217 Depth=3
	v_or_b32_e32 v23, 0x7e, v5
; %bb.6376:                             ;   in Loop: Header=BB2_6217 Depth=3
	s_or_b64 exec, exec, s[40:41]
                                        ; implicit-def: $vgpr7
.LBB2_6377:                             ;   in Loop: Header=BB2_6217 Depth=3
	s_andn2_saveexec_b64 s[40:41], s[34:35]
; %bb.6378:                             ;   in Loop: Header=BB2_6217 Depth=3
	v_or_b32_sdwa v23, v7, s85 dst_sel:DWORD dst_unused:UNUSED_PAD src0_sel:BYTE_3 src1_sel:DWORD
; %bb.6379:                             ;   in Loop: Header=BB2_6217 Depth=3
	s_or_b64 exec, exec, s[40:41]
	v_cmp_lt_u64_e32 vcc, s[56:57], v[8:9]
	v_mov_b32_e32 v5, 0
	s_and_saveexec_b64 s[40:41], vcc
	s_cbranch_execz .LBB2_6385
; %bb.6380:                             ;   in Loop: Header=BB2_6217 Depth=3
	v_lshrrev_b32_e32 v8, 24, v9
	v_cmp_ne_u32_e32 vcc, s87, v8
	v_bfrev_b32_e32 v5, 1
	s_and_saveexec_b64 s[34:35], vcc
	s_cbranch_execz .LBB2_6384
; %bb.6381:                             ;   in Loop: Header=BB2_6217 Depth=3
	v_bfe_u32 v7, v9, 24, 7
	v_cmp_ne_u32_e32 vcc, s85, v7
	v_mov_b32_e32 v5, 0x7f800001
	s_and_saveexec_b64 s[36:37], vcc
	s_cbranch_execz .LBB2_6383
; %bb.6382:                             ;   in Loop: Header=BB2_6217 Depth=3
	v_and_b32_e32 v5, 7, v8
	v_lshrrev_b32_e32 v9, 3, v7
	v_cmp_gt_u32_e32 vcc, 8, v7
	v_ffbh_u32_e32 v7, v5
	v_min_u32_e32 v7, 32, v7
	v_subrev_u32_e32 v16, 28, v7
	v_lshlrev_b64 v[48:49], v16, v[8:9]
	v_sub_u32_e32 v7, 29, v7
	v_and_b32_e32 v16, 7, v48
	v_cndmask_b32_e32 v7, v9, v7, vcc
	v_cndmask_b32_e32 v5, v5, v16, vcc
	v_lshlrev_b32_e32 v8, 24, v8
	v_lshlrev_b32_e32 v5, 20, v5
	v_and_b32_e32 v8, 0x80000000, v8
	v_lshl_add_u32 v7, v7, 23, v17
	v_or3_b32 v5, v8, v7, v5
.LBB2_6383:                             ;   in Loop: Header=BB2_6217 Depth=3
	s_or_b64 exec, exec, s[36:37]
.LBB2_6384:                             ;   in Loop: Header=BB2_6217 Depth=3
	s_or_b64 exec, exec, s[34:35]
.LBB2_6385:                             ;   in Loop: Header=BB2_6217 Depth=3
	s_or_b64 exec, exec, s[40:41]
	v_mul_f32_e32 v7, v3, v5
	v_and_b32_e32 v28, 0x7f800000, v7
	v_cmp_ne_u64_e32 vcc, s[76:77], v[28:29]
                                        ; implicit-def: $vgpr33
	s_and_saveexec_b64 s[40:41], vcc
	s_xor_b64 s[34:35], exec, s[40:41]
	s_cbranch_execz .LBB2_6399
; %bb.6386:                             ;   in Loop: Header=BB2_6217 Depth=3
	v_and_b32_e32 v28, 0x7fffffff, v7
	v_cmp_gt_u64_e32 vcc, s[78:79], v[28:29]
	v_and_b32_sdwa v5, v7, s87 dst_sel:DWORD dst_unused:UNUSED_PAD src0_sel:BYTE_3 src1_sel:DWORD
                                        ; implicit-def: $vgpr33
	s_and_saveexec_b64 s[40:41], vcc
	s_xor_b64 s[36:37], exec, s[40:41]
	s_cbranch_execz .LBB2_6396
; %bb.6387:                             ;   in Loop: Header=BB2_6217 Depth=3
	v_mov_b32_e32 v33, 0
	v_cmp_ne_u32_e32 vcc, 0, v7
	s_and_saveexec_b64 s[38:39], vcc
	s_cbranch_execz .LBB2_6395
; %bb.6388:                             ;   in Loop: Header=BB2_6217 Depth=3
	v_and_b32_e32 v8, 0x7fffff, v7
	v_bfe_u32 v7, v7, 23, 8
	v_cmp_gt_u32_e64 s[40:41], s96, v7
	v_sub_u32_e32 v9, 0x79, v7
	v_cmp_eq_u32_e32 vcc, 0, v7
	v_cndmask_b32_e64 v9, 0, v9, s[40:41]
	v_or_b32_e32 v22, 0x800000, v8
	v_cndmask_b32_e32 v16, v9, v36, vcc
	v_cndmask_b32_e32 v28, v22, v8, vcc
	v_add_u32_e32 v8, 20, v16
	v_lshlrev_b64 v[8:9], v8, -1
	v_add_u32_e32 v22, 19, v16
	v_lshlrev_b64 v[48:49], v22, 1
	v_bfi_b32 v9, v9, 0, 0
	v_bfi_b32 v8, v8, 0, v28
	v_cmp_eq_u64_e64 s[40:41], v[8:9], v[48:49]
	v_lshrrev_b64 v[8:9], v16, v[28:29]
	v_mov_b32_e32 v47, v9
	v_mov_b32_e32 v46, v8
	s_and_saveexec_b64 s[48:49], s[40:41]
; %bb.6389:                             ;   in Loop: Header=BB2_6217 Depth=3
	v_bfe_u32 v9, v8, 20, 1
	v_add_co_u32_e64 v9, s[40:41], v8, v9
	v_add_co_u32_e64 v46, s[40:41], -1, v9
; %bb.6390:                             ;   in Loop: Header=BB2_6217 Depth=3
	s_or_b64 exec, exec, s[48:49]
	v_add_u32_e32 v7, 0xffffff81, v7
	v_cndmask_b32_e32 v7, v7, v37, vcc
	v_lshrrev_b32_e32 v9, 23, v8
	v_add3_u32 v22, v16, v7, v9
	v_add_u32_e32 v16, 6, v22
	v_and_b32_e32 v7, 0xfffff, v46
	v_add_u32_e32 v28, v7, v8
	v_cmp_ne_u32_e32 vcc, 0, v16
                                        ; implicit-def: $vgpr8_vgpr9
                                        ; implicit-def: $vgpr7
	s_and_saveexec_b64 s[40:41], vcc
	s_xor_b64 s[40:41], exec, s[40:41]
; %bb.6391:                             ;   in Loop: Header=BB2_6217 Depth=3
	v_cmp_lt_u64_e32 vcc, s[88:89], v[28:29]
	v_add_u32_e32 v7, 7, v22
	v_cndmask_b32_e64 v8, 0, 1, vcc
	v_cndmask_b32_e32 v7, v16, v7, vcc
	v_lshrrev_b64 v[8:9], v8, v[28:29]
; %bb.6392:                             ;   in Loop: Header=BB2_6217 Depth=3
	s_andn2_saveexec_b64 s[40:41], s[40:41]
; %bb.6393:                             ;   in Loop: Header=BB2_6217 Depth=3
	v_mov_b32_e32 v8, v28
	v_bfe_u32 v7, v28, 23, 1
	v_mov_b32_e32 v9, v29
; %bb.6394:                             ;   in Loop: Header=BB2_6217 Depth=3
	s_or_b64 exec, exec, s[40:41]
	v_lshrrev_b64 v[8:9], 20, v[8:9]
	v_cmp_gt_i32_e32 vcc, 16, v7
	v_cndmask_b32_e32 v9, 0, v9, vcc
	v_cndmask_b32_e32 v8, 7, v8, vcc
	v_cmp_eq_u32_e32 vcc, 0, v7
	v_min_i32_e32 v7, 15, v7
	v_cmp_eq_u64_e64 s[40:41], 0, v[8:9]
	v_lshlrev_b32_e32 v7, 3, v7
	v_and_b32_e32 v7, 0xf8, v7
	v_and_or_b32 v7, v8, 7, v7
	s_and_b64 s[40:41], vcc, s[40:41]
	v_cndmask_b32_e64 v7, v7, 0, s[40:41]
	v_or_b32_e32 v33, v7, v5
.LBB2_6395:                             ;   in Loop: Header=BB2_6217 Depth=3
	s_or_b64 exec, exec, s[38:39]
                                        ; implicit-def: $vgpr5
.LBB2_6396:                             ;   in Loop: Header=BB2_6217 Depth=3
	s_andn2_saveexec_b64 s[40:41], s[36:37]
; %bb.6397:                             ;   in Loop: Header=BB2_6217 Depth=3
	v_or_b32_e32 v33, 0x7e, v5
; %bb.6398:                             ;   in Loop: Header=BB2_6217 Depth=3
	s_or_b64 exec, exec, s[40:41]
                                        ; implicit-def: $vgpr7
.LBB2_6399:                             ;   in Loop: Header=BB2_6217 Depth=3
	s_andn2_saveexec_b64 s[40:41], s[34:35]
; %bb.6400:                             ;   in Loop: Header=BB2_6217 Depth=3
	v_or_b32_sdwa v33, v7, s85 dst_sel:DWORD dst_unused:UNUSED_PAD src0_sel:BYTE_3 src1_sel:DWORD
; %bb.6401:                             ;   in Loop: Header=BB2_6217 Depth=3
	s_or_b64 exec, exec, s[40:41]
	v_cmp_ne_u16_sdwa vcc, v10, v29 src0_sel:BYTE_0 src1_sel:DWORD
	v_mov_b32_e32 v5, 0
	s_and_saveexec_b64 s[40:41], vcc
	s_cbranch_execz .LBB2_6407
; %bb.6402:                             ;   in Loop: Header=BB2_6217 Depth=3
	v_cmp_ne_u16_sdwa vcc, v10, s87 src0_sel:BYTE_0 src1_sel:DWORD
	v_bfrev_b32_e32 v5, 1
	s_and_saveexec_b64 s[34:35], vcc
	s_cbranch_execz .LBB2_6406
; %bb.6403:                             ;   in Loop: Header=BB2_6217 Depth=3
	v_and_b32_e32 v7, 0x7f, v10
	v_cmp_ne_u32_e32 vcc, s85, v7
	v_mov_b32_e32 v5, 0x7f800001
	s_and_saveexec_b64 s[36:37], vcc
	s_cbranch_execz .LBB2_6405
; %bb.6404:                             ;   in Loop: Header=BB2_6217 Depth=3
	v_and_b32_e32 v5, 7, v10
	v_ffbh_u32_e32 v5, v5
	v_min_u32_e32 v5, 32, v5
	v_lshrrev_b32_e32 v8, 3, v7
	v_cmp_gt_u32_e32 vcc, 8, v7
	v_subrev_u32_e32 v7, 28, v5
	v_sub_u32_e32 v5, 29, v5
	v_cndmask_b32_e32 v7, 0, v7, vcc
	v_cndmask_b32_e32 v5, v8, v5, vcc
	v_lshlrev_b64 v[7:8], v7, v[10:11]
	v_lshlrev_b32_e32 v8, 24, v10
	v_lshlrev_b32_e32 v7, 20, v7
	v_and_b32_e32 v7, 0x700000, v7
	v_and_b32_e32 v8, 0x80000000, v8
	v_lshl_add_u32 v5, v5, 23, v17
	v_or3_b32 v5, v8, v5, v7
.LBB2_6405:                             ;   in Loop: Header=BB2_6217 Depth=3
	s_or_b64 exec, exec, s[36:37]
.LBB2_6406:                             ;   in Loop: Header=BB2_6217 Depth=3
	s_or_b64 exec, exec, s[34:35]
.LBB2_6407:                             ;   in Loop: Header=BB2_6217 Depth=3
	s_or_b64 exec, exec, s[40:41]
	v_mul_f32_e32 v8, v3, v5
	v_and_b32_e32 v28, 0x7f800000, v8
	v_cmp_ne_u64_e32 vcc, s[76:77], v[28:29]
                                        ; implicit-def: $vgpr7
	s_and_saveexec_b64 s[40:41], vcc
	s_xor_b64 s[34:35], exec, s[40:41]
	s_cbranch_execz .LBB2_6421
; %bb.6408:                             ;   in Loop: Header=BB2_6217 Depth=3
	v_and_b32_e32 v28, 0x7fffffff, v8
	v_cmp_gt_u64_e32 vcc, s[78:79], v[28:29]
	v_and_b32_sdwa v5, v8, s87 dst_sel:DWORD dst_unused:UNUSED_PAD src0_sel:BYTE_3 src1_sel:DWORD
                                        ; implicit-def: $vgpr7
	s_and_saveexec_b64 s[40:41], vcc
	s_xor_b64 s[36:37], exec, s[40:41]
	s_cbranch_execz .LBB2_6418
; %bb.6409:                             ;   in Loop: Header=BB2_6217 Depth=3
	v_mov_b32_e32 v7, 0
	v_cmp_ne_u32_e32 vcc, 0, v8
	s_and_saveexec_b64 s[38:39], vcc
	s_cbranch_execz .LBB2_6417
; %bb.6410:                             ;   in Loop: Header=BB2_6217 Depth=3
	v_bfe_u32 v7, v8, 23, 8
	v_and_b32_e32 v9, 0x7fffff, v8
	v_cmp_gt_u32_e64 s[40:41], s96, v7
	v_sub_u32_e32 v8, 0x79, v7
	v_cmp_eq_u32_e32 vcc, 0, v7
	v_cndmask_b32_e64 v8, 0, v8, s[40:41]
	v_cndmask_b32_e32 v16, v8, v36, vcc
	v_or_b32_e32 v22, 0x800000, v9
	v_add_u32_e32 v8, 20, v16
	v_cndmask_b32_e32 v28, v22, v9, vcc
	v_lshlrev_b64 v[8:9], v8, -1
	v_add_u32_e32 v22, 19, v16
	v_lshlrev_b64 v[48:49], v22, 1
	v_bfi_b32 v9, v9, 0, 0
	v_bfi_b32 v8, v8, 0, v28
	v_cmp_eq_u64_e64 s[40:41], v[8:9], v[48:49]
	v_lshrrev_b64 v[8:9], v16, v[28:29]
	v_mov_b32_e32 v47, v9
	v_mov_b32_e32 v46, v8
	s_and_saveexec_b64 s[48:49], s[40:41]
; %bb.6411:                             ;   in Loop: Header=BB2_6217 Depth=3
	v_bfe_u32 v9, v8, 20, 1
	v_add_co_u32_e64 v9, s[40:41], v8, v9
	v_add_co_u32_e64 v46, s[40:41], -1, v9
; %bb.6412:                             ;   in Loop: Header=BB2_6217 Depth=3
	s_or_b64 exec, exec, s[48:49]
	v_add_u32_e32 v7, 0xffffff81, v7
	v_cndmask_b32_e32 v7, v7, v37, vcc
	v_lshrrev_b32_e32 v9, 23, v8
	v_add3_u32 v22, v16, v7, v9
	v_add_u32_e32 v16, 6, v22
	v_and_b32_e32 v7, 0xfffff, v46
	v_add_u32_e32 v28, v7, v8
	v_cmp_ne_u32_e32 vcc, 0, v16
                                        ; implicit-def: $vgpr8_vgpr9
                                        ; implicit-def: $vgpr7
	s_and_saveexec_b64 s[40:41], vcc
	s_xor_b64 s[40:41], exec, s[40:41]
; %bb.6413:                             ;   in Loop: Header=BB2_6217 Depth=3
	v_cmp_lt_u64_e32 vcc, s[88:89], v[28:29]
	v_add_u32_e32 v7, 7, v22
	v_cndmask_b32_e64 v8, 0, 1, vcc
	v_cndmask_b32_e32 v7, v16, v7, vcc
	v_lshrrev_b64 v[8:9], v8, v[28:29]
; %bb.6414:                             ;   in Loop: Header=BB2_6217 Depth=3
	s_andn2_saveexec_b64 s[40:41], s[40:41]
; %bb.6415:                             ;   in Loop: Header=BB2_6217 Depth=3
	v_mov_b32_e32 v8, v28
	v_bfe_u32 v7, v28, 23, 1
	v_mov_b32_e32 v9, v29
; %bb.6416:                             ;   in Loop: Header=BB2_6217 Depth=3
	s_or_b64 exec, exec, s[40:41]
	v_lshrrev_b64 v[8:9], 20, v[8:9]
	v_cmp_gt_i32_e32 vcc, 16, v7
	v_cndmask_b32_e32 v9, 0, v9, vcc
	v_cndmask_b32_e32 v8, 7, v8, vcc
	v_cmp_eq_u32_e32 vcc, 0, v7
	v_min_i32_e32 v7, 15, v7
	v_cmp_eq_u64_e64 s[40:41], 0, v[8:9]
	v_lshlrev_b32_e32 v7, 3, v7
	v_and_b32_e32 v7, 0xf8, v7
	v_and_or_b32 v7, v8, 7, v7
	s_and_b64 s[40:41], vcc, s[40:41]
	v_cndmask_b32_e64 v7, v7, 0, s[40:41]
	v_or_b32_e32 v7, v7, v5
.LBB2_6417:                             ;   in Loop: Header=BB2_6217 Depth=3
	s_or_b64 exec, exec, s[38:39]
                                        ; implicit-def: $vgpr5
.LBB2_6418:                             ;   in Loop: Header=BB2_6217 Depth=3
	s_andn2_saveexec_b64 s[40:41], s[36:37]
; %bb.6419:                             ;   in Loop: Header=BB2_6217 Depth=3
	v_or_b32_e32 v7, 0x7e, v5
; %bb.6420:                             ;   in Loop: Header=BB2_6217 Depth=3
	s_or_b64 exec, exec, s[40:41]
                                        ; implicit-def: $vgpr8
.LBB2_6421:                             ;   in Loop: Header=BB2_6217 Depth=3
	s_andn2_saveexec_b64 s[40:41], s[34:35]
; %bb.6422:                             ;   in Loop: Header=BB2_6217 Depth=3
	v_or_b32_sdwa v7, v8, s85 dst_sel:DWORD dst_unused:UNUSED_PAD src0_sel:BYTE_3 src1_sel:DWORD
; %bb.6423:                             ;   in Loop: Header=BB2_6217 Depth=3
	s_or_b64 exec, exec, s[40:41]
	v_lshrrev_b16_e32 v8, 8, v10
	v_cmp_ne_u16_e32 vcc, 0, v8
	v_mov_b32_e32 v5, 0
	s_and_saveexec_b64 s[40:41], vcc
	s_cbranch_execz .LBB2_6429
; %bb.6424:                             ;   in Loop: Header=BB2_6217 Depth=3
	v_cmp_ne_u16_e32 vcc, s87, v8
	v_bfrev_b32_e32 v5, 1
	s_and_saveexec_b64 s[34:35], vcc
	s_cbranch_execz .LBB2_6428
; %bb.6425:                             ;   in Loop: Header=BB2_6217 Depth=3
	v_and_b32_e32 v9, 0x7f, v8
	v_cmp_ne_u32_e32 vcc, s85, v9
	v_mov_b32_e32 v5, 0x7f800001
	s_and_saveexec_b64 s[36:37], vcc
	s_cbranch_execz .LBB2_6427
; %bb.6426:                             ;   in Loop: Header=BB2_6217 Depth=3
	v_and_b32_e32 v5, 7, v8
	v_lshrrev_b32_e32 v16, 3, v9
	v_cmp_gt_u32_e32 vcc, 8, v9
	v_ffbh_u32_e32 v9, v5
	v_min_u32_e32 v22, 32, v9
	v_subrev_u32_e32 v9, 28, v22
	v_lshlrev_b64 v[8:9], v9, v[8:9]
	v_sub_u32_e32 v9, 29, v22
	v_and_b32_e32 v8, 7, v8
	v_cndmask_b32_e32 v9, v16, v9, vcc
	v_cndmask_b32_e32 v5, v5, v8, vcc
	v_lshlrev_b32_e32 v8, 16, v10
	v_lshlrev_b32_e32 v5, 20, v5
	v_and_b32_e32 v8, 0x80000000, v8
	v_lshl_add_u32 v9, v9, 23, v17
	v_or3_b32 v5, v8, v9, v5
.LBB2_6427:                             ;   in Loop: Header=BB2_6217 Depth=3
	s_or_b64 exec, exec, s[36:37]
.LBB2_6428:                             ;   in Loop: Header=BB2_6217 Depth=3
	s_or_b64 exec, exec, s[34:35]
.LBB2_6429:                             ;   in Loop: Header=BB2_6217 Depth=3
	s_or_b64 exec, exec, s[40:41]
	v_mul_f32_e32 v8, v3, v5
	v_and_b32_e32 v28, 0x7f800000, v8
	v_cmp_ne_u64_e32 vcc, s[76:77], v[28:29]
                                        ; implicit-def: $vgpr48
	s_and_saveexec_b64 s[40:41], vcc
	s_xor_b64 s[34:35], exec, s[40:41]
	s_cbranch_execz .LBB2_6443
; %bb.6430:                             ;   in Loop: Header=BB2_6217 Depth=3
	v_and_b32_e32 v28, 0x7fffffff, v8
	v_cmp_gt_u64_e32 vcc, s[78:79], v[28:29]
	v_and_b32_sdwa v5, v8, s87 dst_sel:DWORD dst_unused:UNUSED_PAD src0_sel:BYTE_3 src1_sel:DWORD
                                        ; implicit-def: $vgpr48
	s_and_saveexec_b64 s[40:41], vcc
	s_xor_b64 s[36:37], exec, s[40:41]
	s_cbranch_execz .LBB2_6440
; %bb.6431:                             ;   in Loop: Header=BB2_6217 Depth=3
	v_mov_b32_e32 v48, 0
	v_cmp_ne_u32_e32 vcc, 0, v8
	s_and_saveexec_b64 s[38:39], vcc
	s_cbranch_execz .LBB2_6439
; %bb.6432:                             ;   in Loop: Header=BB2_6217 Depth=3
	v_bfe_u32 v16, v8, 23, 8
	v_and_b32_e32 v9, 0x7fffff, v8
	v_cmp_gt_u32_e64 s[40:41], s96, v16
	v_sub_u32_e32 v8, 0x79, v16
	v_cmp_eq_u32_e32 vcc, 0, v16
	v_cndmask_b32_e64 v8, 0, v8, s[40:41]
	v_cndmask_b32_e32 v22, v8, v36, vcc
	v_or_b32_e32 v25, 0x800000, v9
	v_add_u32_e32 v8, 20, v22
	v_cndmask_b32_e32 v28, v25, v9, vcc
	v_lshlrev_b64 v[8:9], v8, -1
	v_add_u32_e32 v25, 19, v22
	v_lshlrev_b64 v[48:49], v25, 1
	v_bfi_b32 v9, v9, 0, 0
	v_bfi_b32 v8, v8, 0, v28
	v_cmp_eq_u64_e64 s[40:41], v[8:9], v[48:49]
	v_lshrrev_b64 v[8:9], v22, v[28:29]
	v_mov_b32_e32 v47, v9
	v_mov_b32_e32 v46, v8
	s_and_saveexec_b64 s[48:49], s[40:41]
; %bb.6433:                             ;   in Loop: Header=BB2_6217 Depth=3
	v_bfe_u32 v9, v8, 20, 1
	v_add_co_u32_e64 v9, s[40:41], v8, v9
	v_add_co_u32_e64 v46, s[40:41], -1, v9
; %bb.6434:                             ;   in Loop: Header=BB2_6217 Depth=3
	s_or_b64 exec, exec, s[48:49]
	v_add_u32_e32 v9, 0xffffff81, v16
	v_cndmask_b32_e32 v9, v9, v37, vcc
	v_lshrrev_b32_e32 v16, 23, v8
	v_add3_u32 v25, v22, v9, v16
	v_add_u32_e32 v22, 6, v25
	v_and_b32_e32 v9, 0xfffff, v46
	v_add_u32_e32 v28, v9, v8
	v_cmp_ne_u32_e32 vcc, 0, v22
                                        ; implicit-def: $vgpr8_vgpr9
                                        ; implicit-def: $vgpr16
	s_and_saveexec_b64 s[40:41], vcc
	s_xor_b64 s[40:41], exec, s[40:41]
; %bb.6435:                             ;   in Loop: Header=BB2_6217 Depth=3
	v_cmp_lt_u64_e32 vcc, s[88:89], v[28:29]
	v_add_u32_e32 v8, 7, v25
	v_cndmask_b32_e32 v16, v22, v8, vcc
	v_cndmask_b32_e64 v8, 0, 1, vcc
	v_lshrrev_b64 v[8:9], v8, v[28:29]
; %bb.6436:                             ;   in Loop: Header=BB2_6217 Depth=3
	s_andn2_saveexec_b64 s[40:41], s[40:41]
; %bb.6437:                             ;   in Loop: Header=BB2_6217 Depth=3
	v_mov_b32_e32 v8, v28
	v_bfe_u32 v16, v28, 23, 1
	v_mov_b32_e32 v9, v29
; %bb.6438:                             ;   in Loop: Header=BB2_6217 Depth=3
	s_or_b64 exec, exec, s[40:41]
	v_lshrrev_b64 v[8:9], 20, v[8:9]
	v_cmp_gt_i32_e32 vcc, 16, v16
	v_cndmask_b32_e32 v9, 0, v9, vcc
	v_cndmask_b32_e32 v8, 7, v8, vcc
	v_cmp_eq_u64_e64 s[40:41], 0, v[8:9]
	v_min_i32_e32 v9, 15, v16
	v_lshlrev_b32_e32 v9, 3, v9
	v_cmp_eq_u32_e32 vcc, 0, v16
	v_and_b32_e32 v9, 0xf8, v9
	v_and_or_b32 v8, v8, 7, v9
	s_and_b64 s[40:41], vcc, s[40:41]
	v_cndmask_b32_e64 v8, v8, 0, s[40:41]
	v_or_b32_e32 v48, v8, v5
.LBB2_6439:                             ;   in Loop: Header=BB2_6217 Depth=3
	s_or_b64 exec, exec, s[38:39]
                                        ; implicit-def: $vgpr5
.LBB2_6440:                             ;   in Loop: Header=BB2_6217 Depth=3
	s_andn2_saveexec_b64 s[40:41], s[36:37]
; %bb.6441:                             ;   in Loop: Header=BB2_6217 Depth=3
	v_or_b32_e32 v48, 0x7e, v5
; %bb.6442:                             ;   in Loop: Header=BB2_6217 Depth=3
	s_or_b64 exec, exec, s[40:41]
                                        ; implicit-def: $vgpr8
.LBB2_6443:                             ;   in Loop: Header=BB2_6217 Depth=3
	s_andn2_saveexec_b64 s[40:41], s[34:35]
; %bb.6444:                             ;   in Loop: Header=BB2_6217 Depth=3
	v_or_b32_sdwa v48, v8, s85 dst_sel:DWORD dst_unused:UNUSED_PAD src0_sel:BYTE_3 src1_sel:DWORD
; %bb.6445:                             ;   in Loop: Header=BB2_6217 Depth=3
	s_or_b64 exec, exec, s[40:41]
	v_lshrrev_b32_e32 v8, 16, v10
	v_cmp_ne_u16_sdwa vcc, v8, v29 src0_sel:BYTE_0 src1_sel:DWORD
	v_mov_b32_e32 v5, 0
	s_and_saveexec_b64 s[40:41], vcc
	s_cbranch_execz .LBB2_6451
; %bb.6446:                             ;   in Loop: Header=BB2_6217 Depth=3
	v_cmp_ne_u16_sdwa vcc, v8, s87 src0_sel:BYTE_0 src1_sel:DWORD
	v_bfrev_b32_e32 v5, 1
	s_and_saveexec_b64 s[34:35], vcc
	s_cbranch_execz .LBB2_6450
; %bb.6447:                             ;   in Loop: Header=BB2_6217 Depth=3
	v_bfe_u32 v9, v10, 16, 7
	v_cmp_ne_u32_e32 vcc, s85, v9
	v_mov_b32_e32 v5, 0x7f800001
	s_and_saveexec_b64 s[36:37], vcc
	s_cbranch_execz .LBB2_6449
; %bb.6448:                             ;   in Loop: Header=BB2_6217 Depth=3
	v_and_b32_e32 v5, 7, v8
	v_lshrrev_b32_e32 v16, 3, v9
	v_cmp_gt_u32_e32 vcc, 8, v9
	v_ffbh_u32_e32 v9, v5
	v_min_u32_e32 v9, 32, v9
	v_subrev_u32_e32 v22, 28, v9
	v_lshlrev_b64 v[46:47], v22, v[8:9]
	v_sub_u32_e32 v9, 29, v9
	v_and_b32_e32 v22, 7, v46
	v_cndmask_b32_e32 v9, v16, v9, vcc
	v_cndmask_b32_e32 v5, v5, v22, vcc
	v_lshlrev_b32_e32 v8, 24, v8
	v_lshlrev_b32_e32 v5, 20, v5
	v_and_b32_e32 v8, 0x80000000, v8
	v_lshl_add_u32 v9, v9, 23, v17
	v_or3_b32 v5, v8, v9, v5
.LBB2_6449:                             ;   in Loop: Header=BB2_6217 Depth=3
	s_or_b64 exec, exec, s[36:37]
.LBB2_6450:                             ;   in Loop: Header=BB2_6217 Depth=3
	s_or_b64 exec, exec, s[34:35]
.LBB2_6451:                             ;   in Loop: Header=BB2_6217 Depth=3
	s_or_b64 exec, exec, s[40:41]
	v_mul_f32_e32 v8, v3, v5
	v_and_b32_e32 v28, 0x7f800000, v8
	v_cmp_ne_u64_e32 vcc, s[76:77], v[28:29]
                                        ; implicit-def: $vgpr49
	s_and_saveexec_b64 s[40:41], vcc
	s_xor_b64 s[34:35], exec, s[40:41]
	s_cbranch_execz .LBB2_6465
; %bb.6452:                             ;   in Loop: Header=BB2_6217 Depth=3
	v_and_b32_e32 v28, 0x7fffffff, v8
	v_cmp_gt_u64_e32 vcc, s[78:79], v[28:29]
	v_and_b32_sdwa v5, v8, s87 dst_sel:DWORD dst_unused:UNUSED_PAD src0_sel:BYTE_3 src1_sel:DWORD
                                        ; implicit-def: $vgpr49
	s_and_saveexec_b64 s[40:41], vcc
	s_xor_b64 s[36:37], exec, s[40:41]
	s_cbranch_execz .LBB2_6462
; %bb.6453:                             ;   in Loop: Header=BB2_6217 Depth=3
	v_mov_b32_e32 v49, 0
	v_cmp_ne_u32_e32 vcc, 0, v8
	s_and_saveexec_b64 s[38:39], vcc
	s_cbranch_execz .LBB2_6461
; %bb.6454:                             ;   in Loop: Header=BB2_6217 Depth=3
	v_bfe_u32 v16, v8, 23, 8
	v_and_b32_e32 v9, 0x7fffff, v8
	v_cmp_gt_u32_e64 s[40:41], s96, v16
	v_sub_u32_e32 v8, 0x79, v16
	v_cmp_eq_u32_e32 vcc, 0, v16
	v_cndmask_b32_e64 v8, 0, v8, s[40:41]
	v_cndmask_b32_e32 v22, v8, v36, vcc
	v_or_b32_e32 v25, 0x800000, v9
	v_add_u32_e32 v8, 20, v22
	v_cndmask_b32_e32 v28, v25, v9, vcc
	v_lshlrev_b64 v[8:9], v8, -1
	v_add_u32_e32 v25, 19, v22
	v_lshlrev_b64 v[46:47], v25, 1
	v_bfi_b32 v9, v9, 0, 0
	v_bfi_b32 v8, v8, 0, v28
	v_cmp_eq_u64_e64 s[40:41], v[8:9], v[46:47]
	v_lshrrev_b64 v[8:9], v22, v[28:29]
	v_mov_b32_e32 v47, v9
	v_mov_b32_e32 v46, v8
	s_and_saveexec_b64 s[48:49], s[40:41]
; %bb.6455:                             ;   in Loop: Header=BB2_6217 Depth=3
	v_bfe_u32 v9, v8, 20, 1
	v_add_co_u32_e64 v9, s[40:41], v8, v9
	v_add_co_u32_e64 v46, s[40:41], -1, v9
; %bb.6456:                             ;   in Loop: Header=BB2_6217 Depth=3
	s_or_b64 exec, exec, s[48:49]
	v_add_u32_e32 v9, 0xffffff81, v16
	v_cndmask_b32_e32 v9, v9, v37, vcc
	v_lshrrev_b32_e32 v16, 23, v8
	v_add3_u32 v25, v22, v9, v16
	v_add_u32_e32 v22, 6, v25
	v_and_b32_e32 v9, 0xfffff, v46
	v_add_u32_e32 v28, v9, v8
	v_cmp_ne_u32_e32 vcc, 0, v22
                                        ; implicit-def: $vgpr8_vgpr9
                                        ; implicit-def: $vgpr16
	s_and_saveexec_b64 s[40:41], vcc
	s_xor_b64 s[40:41], exec, s[40:41]
; %bb.6457:                             ;   in Loop: Header=BB2_6217 Depth=3
	v_cmp_lt_u64_e32 vcc, s[88:89], v[28:29]
	v_add_u32_e32 v8, 7, v25
	v_cndmask_b32_e32 v16, v22, v8, vcc
	v_cndmask_b32_e64 v8, 0, 1, vcc
	v_lshrrev_b64 v[8:9], v8, v[28:29]
; %bb.6458:                             ;   in Loop: Header=BB2_6217 Depth=3
	s_andn2_saveexec_b64 s[40:41], s[40:41]
; %bb.6459:                             ;   in Loop: Header=BB2_6217 Depth=3
	v_mov_b32_e32 v8, v28
	v_bfe_u32 v16, v28, 23, 1
	v_mov_b32_e32 v9, v29
; %bb.6460:                             ;   in Loop: Header=BB2_6217 Depth=3
	s_or_b64 exec, exec, s[40:41]
	v_lshrrev_b64 v[8:9], 20, v[8:9]
	v_cmp_gt_i32_e32 vcc, 16, v16
	v_cndmask_b32_e32 v9, 0, v9, vcc
	v_cndmask_b32_e32 v8, 7, v8, vcc
	v_cmp_eq_u64_e64 s[40:41], 0, v[8:9]
	v_min_i32_e32 v9, 15, v16
	v_lshlrev_b32_e32 v9, 3, v9
	v_cmp_eq_u32_e32 vcc, 0, v16
	v_and_b32_e32 v9, 0xf8, v9
	v_and_or_b32 v8, v8, 7, v9
	s_and_b64 s[40:41], vcc, s[40:41]
	v_cndmask_b32_e64 v8, v8, 0, s[40:41]
	v_or_b32_e32 v49, v8, v5
.LBB2_6461:                             ;   in Loop: Header=BB2_6217 Depth=3
	s_or_b64 exec, exec, s[38:39]
                                        ; implicit-def: $vgpr5
.LBB2_6462:                             ;   in Loop: Header=BB2_6217 Depth=3
	s_andn2_saveexec_b64 s[40:41], s[36:37]
; %bb.6463:                             ;   in Loop: Header=BB2_6217 Depth=3
	v_or_b32_e32 v49, 0x7e, v5
; %bb.6464:                             ;   in Loop: Header=BB2_6217 Depth=3
	s_or_b64 exec, exec, s[40:41]
                                        ; implicit-def: $vgpr8
.LBB2_6465:                             ;   in Loop: Header=BB2_6217 Depth=3
	s_andn2_saveexec_b64 s[40:41], s[34:35]
; %bb.6466:                             ;   in Loop: Header=BB2_6217 Depth=3
	v_or_b32_sdwa v49, v8, s85 dst_sel:DWORD dst_unused:UNUSED_PAD src0_sel:BYTE_3 src1_sel:DWORD
; %bb.6467:                             ;   in Loop: Header=BB2_6217 Depth=3
	s_or_b64 exec, exec, s[40:41]
	v_cmp_lt_u32_e32 vcc, s57, v10
	v_mov_b32_e32 v5, 0
	s_and_saveexec_b64 s[40:41], vcc
	s_cbranch_execz .LBB2_6473
; %bb.6468:                             ;   in Loop: Header=BB2_6217 Depth=3
	v_lshrrev_b32_e32 v8, 24, v10
	v_cmp_ne_u32_e32 vcc, s87, v8
	v_bfrev_b32_e32 v5, 1
	s_and_saveexec_b64 s[34:35], vcc
	s_cbranch_execz .LBB2_6472
; %bb.6469:                             ;   in Loop: Header=BB2_6217 Depth=3
	v_bfe_u32 v9, v10, 24, 7
	v_cmp_ne_u32_e32 vcc, s85, v9
	v_mov_b32_e32 v5, 0x7f800001
	s_and_saveexec_b64 s[36:37], vcc
	s_cbranch_execz .LBB2_6471
; %bb.6470:                             ;   in Loop: Header=BB2_6217 Depth=3
	v_and_b32_e32 v5, 7, v8
	v_lshrrev_b32_e32 v16, 3, v9
	v_cmp_gt_u32_e32 vcc, 8, v9
	v_ffbh_u32_e32 v9, v5
	v_min_u32_e32 v9, 32, v9
	v_subrev_u32_e32 v22, 28, v9
	v_lshlrev_b64 v[46:47], v22, v[8:9]
	v_sub_u32_e32 v9, 29, v9
	v_and_b32_e32 v22, 7, v46
	v_cndmask_b32_e32 v9, v16, v9, vcc
	v_cndmask_b32_e32 v5, v5, v22, vcc
	v_lshlrev_b32_e32 v8, 24, v8
	v_lshlrev_b32_e32 v5, 20, v5
	v_and_b32_e32 v8, 0x80000000, v8
	v_lshl_add_u32 v9, v9, 23, v17
	v_or3_b32 v5, v8, v9, v5
.LBB2_6471:                             ;   in Loop: Header=BB2_6217 Depth=3
	s_or_b64 exec, exec, s[36:37]
.LBB2_6472:                             ;   in Loop: Header=BB2_6217 Depth=3
	s_or_b64 exec, exec, s[34:35]
.LBB2_6473:                             ;   in Loop: Header=BB2_6217 Depth=3
	s_or_b64 exec, exec, s[40:41]
	v_mul_f32_e32 v8, v3, v5
	v_and_b32_e32 v28, 0x7f800000, v8
	v_cmp_ne_u64_e32 vcc, s[76:77], v[28:29]
                                        ; implicit-def: $vgpr22
	s_and_saveexec_b64 s[40:41], vcc
	s_xor_b64 s[34:35], exec, s[40:41]
	s_cbranch_execz .LBB2_6487
; %bb.6474:                             ;   in Loop: Header=BB2_6217 Depth=3
	v_and_b32_e32 v28, 0x7fffffff, v8
	v_cmp_gt_u64_e32 vcc, s[78:79], v[28:29]
	v_and_b32_sdwa v5, v8, s87 dst_sel:DWORD dst_unused:UNUSED_PAD src0_sel:BYTE_3 src1_sel:DWORD
                                        ; implicit-def: $vgpr22
	s_and_saveexec_b64 s[40:41], vcc
	s_xor_b64 s[36:37], exec, s[40:41]
	s_cbranch_execz .LBB2_6484
; %bb.6475:                             ;   in Loop: Header=BB2_6217 Depth=3
	v_mov_b32_e32 v22, 0
	v_cmp_ne_u32_e32 vcc, 0, v8
	s_and_saveexec_b64 s[38:39], vcc
	s_cbranch_execz .LBB2_6483
; %bb.6476:                             ;   in Loop: Header=BB2_6217 Depth=3
	v_bfe_u32 v16, v8, 23, 8
	v_and_b32_e32 v9, 0x7fffff, v8
	v_cmp_gt_u32_e64 s[40:41], s96, v16
	v_sub_u32_e32 v8, 0x79, v16
	v_cmp_eq_u32_e32 vcc, 0, v16
	v_cndmask_b32_e64 v8, 0, v8, s[40:41]
	v_cndmask_b32_e32 v22, v8, v36, vcc
	v_or_b32_e32 v25, 0x800000, v9
	v_add_u32_e32 v8, 20, v22
	v_cndmask_b32_e32 v28, v25, v9, vcc
	v_lshlrev_b64 v[8:9], v8, -1
	v_add_u32_e32 v25, 19, v22
	v_lshlrev_b64 v[46:47], v25, 1
	v_bfi_b32 v9, v9, 0, 0
	v_bfi_b32 v8, v8, 0, v28
	v_cmp_eq_u64_e64 s[40:41], v[8:9], v[46:47]
	v_lshrrev_b64 v[8:9], v22, v[28:29]
	v_mov_b32_e32 v47, v9
	v_mov_b32_e32 v46, v8
	s_and_saveexec_b64 s[48:49], s[40:41]
; %bb.6477:                             ;   in Loop: Header=BB2_6217 Depth=3
	v_bfe_u32 v9, v8, 20, 1
	v_add_co_u32_e64 v9, s[40:41], v8, v9
	v_add_co_u32_e64 v46, s[40:41], -1, v9
; %bb.6478:                             ;   in Loop: Header=BB2_6217 Depth=3
	s_or_b64 exec, exec, s[48:49]
	v_add_u32_e32 v9, 0xffffff81, v16
	v_cndmask_b32_e32 v9, v9, v37, vcc
	v_lshrrev_b32_e32 v16, 23, v8
	v_add3_u32 v25, v22, v9, v16
	v_add_u32_e32 v22, 6, v25
	v_and_b32_e32 v9, 0xfffff, v46
	v_add_u32_e32 v28, v9, v8
	v_cmp_ne_u32_e32 vcc, 0, v22
                                        ; implicit-def: $vgpr8_vgpr9
                                        ; implicit-def: $vgpr16
	s_and_saveexec_b64 s[40:41], vcc
	s_xor_b64 s[40:41], exec, s[40:41]
; %bb.6479:                             ;   in Loop: Header=BB2_6217 Depth=3
	v_cmp_lt_u64_e32 vcc, s[88:89], v[28:29]
	v_add_u32_e32 v8, 7, v25
	v_cndmask_b32_e32 v16, v22, v8, vcc
	v_cndmask_b32_e64 v8, 0, 1, vcc
	v_lshrrev_b64 v[8:9], v8, v[28:29]
; %bb.6480:                             ;   in Loop: Header=BB2_6217 Depth=3
	s_andn2_saveexec_b64 s[40:41], s[40:41]
; %bb.6481:                             ;   in Loop: Header=BB2_6217 Depth=3
	v_mov_b32_e32 v8, v28
	v_bfe_u32 v16, v28, 23, 1
	v_mov_b32_e32 v9, v29
; %bb.6482:                             ;   in Loop: Header=BB2_6217 Depth=3
	s_or_b64 exec, exec, s[40:41]
	v_lshrrev_b64 v[8:9], 20, v[8:9]
	v_cmp_gt_i32_e32 vcc, 16, v16
	v_cndmask_b32_e32 v9, 0, v9, vcc
	v_cndmask_b32_e32 v8, 7, v8, vcc
	v_cmp_eq_u64_e64 s[40:41], 0, v[8:9]
	v_min_i32_e32 v9, 15, v16
	v_lshlrev_b32_e32 v9, 3, v9
	v_cmp_eq_u32_e32 vcc, 0, v16
	v_and_b32_e32 v9, 0xf8, v9
	v_and_or_b32 v8, v8, 7, v9
	s_and_b64 s[40:41], vcc, s[40:41]
	v_cndmask_b32_e64 v8, v8, 0, s[40:41]
	v_or_b32_e32 v22, v8, v5
.LBB2_6483:                             ;   in Loop: Header=BB2_6217 Depth=3
	s_or_b64 exec, exec, s[38:39]
                                        ; implicit-def: $vgpr5
.LBB2_6484:                             ;   in Loop: Header=BB2_6217 Depth=3
	s_andn2_saveexec_b64 s[40:41], s[36:37]
; %bb.6485:                             ;   in Loop: Header=BB2_6217 Depth=3
	v_or_b32_e32 v22, 0x7e, v5
; %bb.6486:                             ;   in Loop: Header=BB2_6217 Depth=3
	s_or_b64 exec, exec, s[40:41]
                                        ; implicit-def: $vgpr8
.LBB2_6487:                             ;   in Loop: Header=BB2_6217 Depth=3
	s_andn2_saveexec_b64 s[40:41], s[34:35]
; %bb.6488:                             ;   in Loop: Header=BB2_6217 Depth=3
	v_or_b32_sdwa v22, v8, s85 dst_sel:DWORD dst_unused:UNUSED_PAD src0_sel:BYTE_3 src1_sel:DWORD
; %bb.6489:                             ;   in Loop: Header=BB2_6217 Depth=3
	s_or_b64 exec, exec, s[40:41]
	v_mov_b32_e32 v28, v11
	v_cmp_ne_u16_sdwa vcc, v11, v29 src0_sel:BYTE_0 src1_sel:DWORD
	v_mov_b32_e32 v5, 0
	s_and_saveexec_b64 s[40:41], vcc
	s_cbranch_execz .LBB2_6495
; %bb.6490:                             ;   in Loop: Header=BB2_6217 Depth=3
	v_cmp_ne_u16_sdwa vcc, v11, s87 src0_sel:BYTE_0 src1_sel:DWORD
	v_bfrev_b32_e32 v5, 1
	s_and_saveexec_b64 s[34:35], vcc
	s_cbranch_execz .LBB2_6494
; %bb.6491:                             ;   in Loop: Header=BB2_6217 Depth=3
	v_and_b32_e32 v8, 0x7f, v11
	v_cmp_ne_u32_e32 vcc, s85, v8
	v_mov_b32_e32 v5, 0x7f800001
	s_and_saveexec_b64 s[36:37], vcc
	s_cbranch_execz .LBB2_6493
; %bb.6492:                             ;   in Loop: Header=BB2_6217 Depth=3
	v_and_b32_e32 v5, 7, v11
	v_ffbh_u32_e32 v5, v5
	v_min_u32_e32 v5, 32, v5
	v_lshrrev_b32_e32 v9, 3, v8
	v_cmp_gt_u32_e32 vcc, 8, v8
	v_subrev_u32_e32 v8, 28, v5
	v_sub_u32_e32 v5, 29, v5
	v_cndmask_b32_e32 v8, 0, v8, vcc
	v_cndmask_b32_e32 v5, v9, v5, vcc
	v_lshlrev_b64 v[8:9], v8, v[28:29]
	v_lshlrev_b32_e32 v9, 24, v28
	v_lshlrev_b32_e32 v8, 20, v8
	v_and_b32_e32 v8, 0x700000, v8
	v_and_b32_e32 v9, 0x80000000, v9
	v_lshl_add_u32 v5, v5, 23, v17
	v_or3_b32 v5, v9, v5, v8
.LBB2_6493:                             ;   in Loop: Header=BB2_6217 Depth=3
	s_or_b64 exec, exec, s[36:37]
.LBB2_6494:                             ;   in Loop: Header=BB2_6217 Depth=3
	s_or_b64 exec, exec, s[34:35]
.LBB2_6495:                             ;   in Loop: Header=BB2_6217 Depth=3
	s_or_b64 exec, exec, s[40:41]
	v_mul_f32_e32 v8, v3, v5
	v_and_b32_e32 v46, 0x7f800000, v8
	v_mov_b32_e32 v47, v29
	v_cmp_ne_u64_e32 vcc, s[76:77], v[46:47]
                                        ; implicit-def: $vgpr25
	s_and_saveexec_b64 s[40:41], vcc
	s_xor_b64 s[34:35], exec, s[40:41]
	s_cbranch_execz .LBB2_6509
; %bb.6496:                             ;   in Loop: Header=BB2_6217 Depth=3
	v_and_b32_e32 v46, 0x7fffffff, v8
	v_mov_b32_e32 v47, v29
	v_cmp_gt_u64_e32 vcc, s[78:79], v[46:47]
	v_and_b32_sdwa v5, v8, s87 dst_sel:DWORD dst_unused:UNUSED_PAD src0_sel:BYTE_3 src1_sel:DWORD
                                        ; implicit-def: $vgpr25
	s_and_saveexec_b64 s[40:41], vcc
	s_xor_b64 s[36:37], exec, s[40:41]
	s_cbranch_execz .LBB2_6506
; %bb.6497:                             ;   in Loop: Header=BB2_6217 Depth=3
	v_mov_b32_e32 v25, 0
	v_cmp_ne_u32_e32 vcc, 0, v8
	s_and_saveexec_b64 s[38:39], vcc
	s_cbranch_execz .LBB2_6505
; %bb.6498:                             ;   in Loop: Header=BB2_6217 Depth=3
	v_bfe_u32 v16, v8, 23, 8
	v_and_b32_e32 v9, 0x7fffff, v8
	v_cmp_gt_u32_e64 s[40:41], s96, v16
	v_sub_u32_e32 v8, 0x79, v16
	v_cmp_eq_u32_e32 vcc, 0, v16
	v_cndmask_b32_e64 v8, 0, v8, s[40:41]
	v_or_b32_e32 v30, 0x800000, v9
	v_cndmask_b32_e32 v25, v8, v36, vcc
	v_cndmask_b32_e32 v8, v30, v9, vcc
	v_add_u32_e32 v30, 20, v25
	v_lshlrev_b64 v[46:47], v30, -1
	v_mov_b32_e32 v9, v29
	v_add_u32_e32 v30, 19, v25
	v_bfi_b32 v46, v46, 0, v8
	v_lshlrev_b64 v[55:56], v30, 1
	v_lshrrev_b64 v[8:9], v25, v[8:9]
	v_bfi_b32 v47, v47, 0, 0
	v_cmp_eq_u64_e64 s[40:41], v[46:47], v[55:56]
	v_mov_b32_e32 v47, v9
	v_mov_b32_e32 v46, v8
	s_and_saveexec_b64 s[48:49], s[40:41]
; %bb.6499:                             ;   in Loop: Header=BB2_6217 Depth=3
	v_bfe_u32 v9, v8, 20, 1
	v_add_co_u32_e64 v9, s[40:41], v8, v9
	v_add_co_u32_e64 v46, s[40:41], -1, v9
; %bb.6500:                             ;   in Loop: Header=BB2_6217 Depth=3
	s_or_b64 exec, exec, s[48:49]
	v_add_u32_e32 v9, 0xffffff81, v16
	v_cndmask_b32_e32 v9, v9, v37, vcc
	v_lshrrev_b32_e32 v16, 23, v8
	v_add3_u32 v30, v25, v9, v16
	v_add_u32_e32 v25, 6, v30
	v_and_b32_e32 v9, 0xfffff, v46
	v_add_u32_e32 v8, v9, v8
	v_mov_b32_e32 v9, v29
	v_cmp_ne_u32_e32 vcc, 0, v25
                                        ; implicit-def: $vgpr16
	s_and_saveexec_b64 s[40:41], vcc
	s_xor_b64 s[40:41], exec, s[40:41]
; %bb.6501:                             ;   in Loop: Header=BB2_6217 Depth=3
	v_cmp_lt_u64_e32 vcc, s[88:89], v[8:9]
	v_add_u32_e32 v16, 7, v30
	v_cndmask_b32_e32 v16, v25, v16, vcc
	v_cndmask_b32_e64 v25, 0, 1, vcc
	v_lshrrev_b64 v[8:9], v25, v[8:9]
; %bb.6502:                             ;   in Loop: Header=BB2_6217 Depth=3
	s_andn2_saveexec_b64 s[40:41], s[40:41]
; %bb.6503:                             ;   in Loop: Header=BB2_6217 Depth=3
	v_bfe_u32 v16, v8, 23, 1
; %bb.6504:                             ;   in Loop: Header=BB2_6217 Depth=3
	s_or_b64 exec, exec, s[40:41]
	v_lshrrev_b64 v[8:9], 20, v[8:9]
	v_cmp_gt_i32_e32 vcc, 16, v16
	v_cndmask_b32_e32 v9, 0, v9, vcc
	v_cndmask_b32_e32 v8, 7, v8, vcc
	v_cmp_eq_u64_e64 s[40:41], 0, v[8:9]
	v_min_i32_e32 v9, 15, v16
	v_lshlrev_b32_e32 v9, 3, v9
	v_cmp_eq_u32_e32 vcc, 0, v16
	v_and_b32_e32 v9, 0xf8, v9
	v_and_or_b32 v8, v8, 7, v9
	s_and_b64 s[40:41], vcc, s[40:41]
	v_cndmask_b32_e64 v8, v8, 0, s[40:41]
	v_or_b32_e32 v25, v8, v5
.LBB2_6505:                             ;   in Loop: Header=BB2_6217 Depth=3
	s_or_b64 exec, exec, s[38:39]
                                        ; implicit-def: $vgpr5
.LBB2_6506:                             ;   in Loop: Header=BB2_6217 Depth=3
	s_andn2_saveexec_b64 s[40:41], s[36:37]
; %bb.6507:                             ;   in Loop: Header=BB2_6217 Depth=3
	v_or_b32_e32 v25, 0x7e, v5
; %bb.6508:                             ;   in Loop: Header=BB2_6217 Depth=3
	s_or_b64 exec, exec, s[40:41]
                                        ; implicit-def: $vgpr8
.LBB2_6509:                             ;   in Loop: Header=BB2_6217 Depth=3
	s_andn2_saveexec_b64 s[40:41], s[34:35]
; %bb.6510:                             ;   in Loop: Header=BB2_6217 Depth=3
	v_or_b32_sdwa v25, v8, s85 dst_sel:DWORD dst_unused:UNUSED_PAD src0_sel:BYTE_3 src1_sel:DWORD
; %bb.6511:                             ;   in Loop: Header=BB2_6217 Depth=3
	s_or_b64 exec, exec, s[40:41]
	v_lshrrev_b16_e32 v8, 8, v28
	v_cmp_ne_u16_e32 vcc, 0, v8
	v_mov_b32_e32 v5, 0
	s_and_saveexec_b64 s[40:41], vcc
	s_cbranch_execz .LBB2_6517
; %bb.6512:                             ;   in Loop: Header=BB2_6217 Depth=3
	v_cmp_ne_u16_e32 vcc, s87, v8
	v_bfrev_b32_e32 v5, 1
	s_and_saveexec_b64 s[34:35], vcc
	s_cbranch_execz .LBB2_6516
; %bb.6513:                             ;   in Loop: Header=BB2_6217 Depth=3
	v_and_b32_e32 v9, 0x7f, v8
	v_cmp_ne_u32_e32 vcc, s85, v9
	v_mov_b32_e32 v5, 0x7f800001
	s_and_saveexec_b64 s[36:37], vcc
	s_cbranch_execz .LBB2_6515
; %bb.6514:                             ;   in Loop: Header=BB2_6217 Depth=3
	v_and_b32_e32 v5, 7, v8
	v_lshrrev_b32_e32 v16, 3, v9
	v_cmp_gt_u32_e32 vcc, 8, v9
	v_ffbh_u32_e32 v9, v5
	v_min_u32_e32 v30, 32, v9
	v_subrev_u32_e32 v9, 28, v30
	v_lshlrev_b64 v[8:9], v9, v[8:9]
	v_sub_u32_e32 v9, 29, v30
	v_and_b32_e32 v8, 7, v8
	v_cndmask_b32_e32 v9, v16, v9, vcc
	v_cndmask_b32_e32 v5, v5, v8, vcc
	v_lshlrev_b32_e32 v8, 16, v28
	v_lshlrev_b32_e32 v5, 20, v5
	v_and_b32_e32 v8, 0x80000000, v8
	v_lshl_add_u32 v9, v9, 23, v17
	v_or3_b32 v5, v8, v9, v5
.LBB2_6515:                             ;   in Loop: Header=BB2_6217 Depth=3
	s_or_b64 exec, exec, s[36:37]
.LBB2_6516:                             ;   in Loop: Header=BB2_6217 Depth=3
	s_or_b64 exec, exec, s[34:35]
.LBB2_6517:                             ;   in Loop: Header=BB2_6217 Depth=3
	s_or_b64 exec, exec, s[40:41]
	v_mul_f32_e32 v8, v3, v5
	v_and_b32_e32 v28, 0x7f800000, v8
	v_cmp_ne_u64_e32 vcc, s[76:77], v[28:29]
                                        ; implicit-def: $vgpr16
	s_and_saveexec_b64 s[40:41], vcc
	s_xor_b64 s[34:35], exec, s[40:41]
	s_cbranch_execz .LBB2_6531
; %bb.6518:                             ;   in Loop: Header=BB2_6217 Depth=3
	v_and_b32_e32 v28, 0x7fffffff, v8
	v_cmp_gt_u64_e32 vcc, s[78:79], v[28:29]
	v_and_b32_sdwa v5, v8, s87 dst_sel:DWORD dst_unused:UNUSED_PAD src0_sel:BYTE_3 src1_sel:DWORD
                                        ; implicit-def: $vgpr16
	s_and_saveexec_b64 s[40:41], vcc
	s_xor_b64 s[36:37], exec, s[40:41]
	s_cbranch_execz .LBB2_6528
; %bb.6519:                             ;   in Loop: Header=BB2_6217 Depth=3
	v_mov_b32_e32 v16, 0
	v_cmp_ne_u32_e32 vcc, 0, v8
	s_and_saveexec_b64 s[38:39], vcc
	s_cbranch_execz .LBB2_6527
; %bb.6520:                             ;   in Loop: Header=BB2_6217 Depth=3
	v_bfe_u32 v16, v8, 23, 8
	v_and_b32_e32 v9, 0x7fffff, v8
	v_cmp_gt_u32_e64 s[40:41], s96, v16
	v_sub_u32_e32 v8, 0x79, v16
	v_cmp_eq_u32_e32 vcc, 0, v16
	v_cndmask_b32_e64 v8, 0, v8, s[40:41]
	v_cndmask_b32_e32 v30, v8, v36, vcc
	v_or_b32_e32 v28, 0x800000, v9
	v_add_u32_e32 v8, 20, v30
	v_cndmask_b32_e32 v28, v28, v9, vcc
	v_lshlrev_b64 v[8:9], v8, -1
	v_add_u32_e32 v35, 19, v30
	v_lshlrev_b64 v[46:47], v35, 1
	v_bfi_b32 v9, v9, 0, 0
	v_bfi_b32 v8, v8, 0, v28
	v_cmp_eq_u64_e64 s[40:41], v[8:9], v[46:47]
	v_lshrrev_b64 v[8:9], v30, v[28:29]
	v_mov_b32_e32 v47, v9
	v_mov_b32_e32 v46, v8
	s_and_saveexec_b64 s[48:49], s[40:41]
; %bb.6521:                             ;   in Loop: Header=BB2_6217 Depth=3
	v_bfe_u32 v9, v8, 20, 1
	v_add_co_u32_e64 v9, s[40:41], v8, v9
	v_add_co_u32_e64 v46, s[40:41], -1, v9
; %bb.6522:                             ;   in Loop: Header=BB2_6217 Depth=3
	s_or_b64 exec, exec, s[48:49]
	v_add_u32_e32 v9, 0xffffff81, v16
	v_cndmask_b32_e32 v9, v9, v37, vcc
	v_lshrrev_b32_e32 v16, 23, v8
	v_add3_u32 v52, v30, v9, v16
	v_add_u32_e32 v30, 6, v52
	v_and_b32_e32 v9, 0xfffff, v46
	v_add_u32_e32 v28, v9, v8
	v_cmp_ne_u32_e32 vcc, 0, v30
                                        ; implicit-def: $vgpr8_vgpr9
                                        ; implicit-def: $vgpr16
	s_and_saveexec_b64 s[40:41], vcc
	s_xor_b64 s[40:41], exec, s[40:41]
; %bb.6523:                             ;   in Loop: Header=BB2_6217 Depth=3
	v_cmp_lt_u64_e32 vcc, s[88:89], v[28:29]
	v_add_u32_e32 v8, 7, v52
	v_cndmask_b32_e32 v16, v30, v8, vcc
	v_cndmask_b32_e64 v8, 0, 1, vcc
	v_lshrrev_b64 v[8:9], v8, v[28:29]
; %bb.6524:                             ;   in Loop: Header=BB2_6217 Depth=3
	s_andn2_saveexec_b64 s[40:41], s[40:41]
; %bb.6525:                             ;   in Loop: Header=BB2_6217 Depth=3
	v_mov_b32_e32 v8, v28
	v_bfe_u32 v16, v28, 23, 1
	v_mov_b32_e32 v9, v29
; %bb.6526:                             ;   in Loop: Header=BB2_6217 Depth=3
	s_or_b64 exec, exec, s[40:41]
	v_lshrrev_b64 v[8:9], 20, v[8:9]
	v_cmp_gt_i32_e32 vcc, 16, v16
	v_cndmask_b32_e32 v9, 0, v9, vcc
	v_cndmask_b32_e32 v8, 7, v8, vcc
	v_cmp_eq_u64_e64 s[40:41], 0, v[8:9]
	v_min_i32_e32 v9, 15, v16
	v_lshlrev_b32_e32 v9, 3, v9
	v_cmp_eq_u32_e32 vcc, 0, v16
	v_and_b32_e32 v9, 0xf8, v9
	v_and_or_b32 v8, v8, 7, v9
	s_and_b64 s[40:41], vcc, s[40:41]
	v_cndmask_b32_e64 v8, v8, 0, s[40:41]
	v_or_b32_e32 v16, v8, v5
.LBB2_6527:                             ;   in Loop: Header=BB2_6217 Depth=3
	s_or_b64 exec, exec, s[38:39]
                                        ; implicit-def: $vgpr5
.LBB2_6528:                             ;   in Loop: Header=BB2_6217 Depth=3
	s_andn2_saveexec_b64 s[40:41], s[36:37]
; %bb.6529:                             ;   in Loop: Header=BB2_6217 Depth=3
	v_or_b32_e32 v16, 0x7e, v5
; %bb.6530:                             ;   in Loop: Header=BB2_6217 Depth=3
	s_or_b64 exec, exec, s[40:41]
                                        ; implicit-def: $vgpr8
.LBB2_6531:                             ;   in Loop: Header=BB2_6217 Depth=3
	s_andn2_saveexec_b64 s[40:41], s[34:35]
; %bb.6532:                             ;   in Loop: Header=BB2_6217 Depth=3
	v_or_b32_sdwa v16, v8, s85 dst_sel:DWORD dst_unused:UNUSED_PAD src0_sel:BYTE_3 src1_sel:DWORD
; %bb.6533:                             ;   in Loop: Header=BB2_6217 Depth=3
	s_or_b64 exec, exec, s[40:41]
	v_lshrrev_b32_e32 v8, 16, v11
	v_cmp_ne_u16_sdwa vcc, v8, v29 src0_sel:BYTE_0 src1_sel:DWORD
	v_mov_b32_e32 v5, 0
	s_and_saveexec_b64 s[40:41], vcc
	s_cbranch_execz .LBB2_6539
; %bb.6534:                             ;   in Loop: Header=BB2_6217 Depth=3
	v_cmp_ne_u16_sdwa vcc, v8, s87 src0_sel:BYTE_0 src1_sel:DWORD
	v_bfrev_b32_e32 v5, 1
	s_and_saveexec_b64 s[34:35], vcc
	s_cbranch_execz .LBB2_6538
; %bb.6535:                             ;   in Loop: Header=BB2_6217 Depth=3
	v_bfe_u32 v9, v11, 16, 7
	v_cmp_ne_u32_e32 vcc, s85, v9
	v_mov_b32_e32 v5, 0x7f800001
	s_and_saveexec_b64 s[36:37], vcc
	s_cbranch_execz .LBB2_6537
; %bb.6536:                             ;   in Loop: Header=BB2_6217 Depth=3
	v_and_b32_e32 v5, 7, v8
	v_lshrrev_b32_e32 v28, 3, v9
	v_cmp_gt_u32_e32 vcc, 8, v9
	v_ffbh_u32_e32 v9, v5
	v_min_u32_e32 v9, 32, v9
	v_subrev_u32_e32 v30, 28, v9
	v_lshlrev_b64 v[46:47], v30, v[8:9]
	v_sub_u32_e32 v9, 29, v9
	v_and_b32_e32 v30, 7, v46
	v_cndmask_b32_e32 v9, v28, v9, vcc
	v_cndmask_b32_e32 v5, v5, v30, vcc
	v_lshlrev_b32_e32 v8, 24, v8
	v_lshlrev_b32_e32 v5, 20, v5
	v_and_b32_e32 v8, 0x80000000, v8
	v_lshl_add_u32 v9, v9, 23, v17
	v_or3_b32 v5, v8, v9, v5
.LBB2_6537:                             ;   in Loop: Header=BB2_6217 Depth=3
	s_or_b64 exec, exec, s[36:37]
.LBB2_6538:                             ;   in Loop: Header=BB2_6217 Depth=3
	s_or_b64 exec, exec, s[34:35]
.LBB2_6539:                             ;   in Loop: Header=BB2_6217 Depth=3
	s_or_b64 exec, exec, s[40:41]
	v_mul_f32_e32 v8, v3, v5
	v_and_b32_e32 v28, 0x7f800000, v8
	v_cmp_ne_u64_e32 vcc, s[76:77], v[28:29]
                                        ; implicit-def: $vgpr5
	s_and_saveexec_b64 s[40:41], vcc
	s_xor_b64 s[34:35], exec, s[40:41]
	s_cbranch_execz .LBB2_6553
; %bb.6540:                             ;   in Loop: Header=BB2_6217 Depth=3
	v_and_b32_e32 v28, 0x7fffffff, v8
	v_cmp_gt_u64_e32 vcc, s[78:79], v[28:29]
	v_and_b32_sdwa v30, v8, s87 dst_sel:DWORD dst_unused:UNUSED_PAD src0_sel:BYTE_3 src1_sel:DWORD
                                        ; implicit-def: $vgpr5
	s_and_saveexec_b64 s[40:41], vcc
	s_xor_b64 s[36:37], exec, s[40:41]
	s_cbranch_execz .LBB2_6550
; %bb.6541:                             ;   in Loop: Header=BB2_6217 Depth=3
	v_mov_b32_e32 v5, 0
	v_cmp_ne_u32_e32 vcc, 0, v8
	s_and_saveexec_b64 s[38:39], vcc
	s_cbranch_execz .LBB2_6549
; %bb.6542:                             ;   in Loop: Header=BB2_6217 Depth=3
	v_bfe_u32 v5, v8, 23, 8
	v_and_b32_e32 v9, 0x7fffff, v8
	v_cmp_gt_u32_e64 s[40:41], s96, v5
	v_sub_u32_e32 v8, 0x79, v5
	v_cmp_eq_u32_e32 vcc, 0, v5
	v_cndmask_b32_e64 v8, 0, v8, s[40:41]
	v_cndmask_b32_e32 v52, v8, v36, vcc
	v_or_b32_e32 v28, 0x800000, v9
	v_add_u32_e32 v8, 20, v52
	v_cndmask_b32_e32 v28, v28, v9, vcc
	v_lshlrev_b64 v[8:9], v8, -1
	v_add_u32_e32 v35, 19, v52
	v_lshlrev_b64 v[46:47], v35, 1
	v_bfi_b32 v9, v9, 0, 0
	v_bfi_b32 v8, v8, 0, v28
	v_cmp_eq_u64_e64 s[40:41], v[8:9], v[46:47]
	v_lshrrev_b64 v[8:9], v52, v[28:29]
	v_mov_b32_e32 v47, v9
	v_mov_b32_e32 v46, v8
	s_and_saveexec_b64 s[48:49], s[40:41]
; %bb.6543:                             ;   in Loop: Header=BB2_6217 Depth=3
	v_bfe_u32 v9, v8, 20, 1
	v_add_co_u32_e64 v9, s[40:41], v8, v9
	v_add_co_u32_e64 v46, s[40:41], -1, v9
; %bb.6544:                             ;   in Loop: Header=BB2_6217 Depth=3
	s_or_b64 exec, exec, s[48:49]
	v_add_u32_e32 v5, 0xffffff81, v5
	v_cndmask_b32_e32 v5, v5, v37, vcc
	v_lshrrev_b32_e32 v9, 23, v8
	v_add3_u32 v55, v52, v5, v9
	v_add_u32_e32 v52, 6, v55
	v_and_b32_e32 v5, 0xfffff, v46
	v_add_u32_e32 v28, v5, v8
	v_cmp_ne_u32_e32 vcc, 0, v52
                                        ; implicit-def: $vgpr8_vgpr9
                                        ; implicit-def: $vgpr5
	s_and_saveexec_b64 s[40:41], vcc
	s_xor_b64 s[40:41], exec, s[40:41]
; %bb.6545:                             ;   in Loop: Header=BB2_6217 Depth=3
	v_cmp_lt_u64_e32 vcc, s[88:89], v[28:29]
	v_add_u32_e32 v5, 7, v55
	v_cndmask_b32_e64 v8, 0, 1, vcc
	v_cndmask_b32_e32 v5, v52, v5, vcc
	v_lshrrev_b64 v[8:9], v8, v[28:29]
; %bb.6546:                             ;   in Loop: Header=BB2_6217 Depth=3
	s_andn2_saveexec_b64 s[40:41], s[40:41]
; %bb.6547:                             ;   in Loop: Header=BB2_6217 Depth=3
	v_mov_b32_e32 v8, v28
	v_bfe_u32 v5, v28, 23, 1
	v_mov_b32_e32 v9, v29
; %bb.6548:                             ;   in Loop: Header=BB2_6217 Depth=3
	s_or_b64 exec, exec, s[40:41]
	v_lshrrev_b64 v[8:9], 20, v[8:9]
	v_cmp_gt_i32_e32 vcc, 16, v5
	v_cndmask_b32_e32 v9, 0, v9, vcc
	v_cndmask_b32_e32 v8, 7, v8, vcc
	v_cmp_eq_u32_e32 vcc, 0, v5
	v_min_i32_e32 v5, 15, v5
	v_cmp_eq_u64_e64 s[40:41], 0, v[8:9]
	v_lshlrev_b32_e32 v5, 3, v5
	v_and_b32_e32 v5, 0xf8, v5
	v_and_or_b32 v5, v8, 7, v5
	s_and_b64 s[40:41], vcc, s[40:41]
	v_cndmask_b32_e64 v5, v5, 0, s[40:41]
	v_or_b32_e32 v5, v5, v30
.LBB2_6549:                             ;   in Loop: Header=BB2_6217 Depth=3
	s_or_b64 exec, exec, s[38:39]
                                        ; implicit-def: $vgpr30
.LBB2_6550:                             ;   in Loop: Header=BB2_6217 Depth=3
	s_andn2_saveexec_b64 s[40:41], s[36:37]
; %bb.6551:                             ;   in Loop: Header=BB2_6217 Depth=3
	v_or_b32_e32 v5, 0x7e, v30
; %bb.6552:                             ;   in Loop: Header=BB2_6217 Depth=3
	s_or_b64 exec, exec, s[40:41]
                                        ; implicit-def: $vgpr8
.LBB2_6553:                             ;   in Loop: Header=BB2_6217 Depth=3
	s_andn2_saveexec_b64 s[40:41], s[34:35]
; %bb.6554:                             ;   in Loop: Header=BB2_6217 Depth=3
	v_or_b32_sdwa v5, v8, s85 dst_sel:DWORD dst_unused:UNUSED_PAD src0_sel:BYTE_3 src1_sel:DWORD
; %bb.6555:                             ;   in Loop: Header=BB2_6217 Depth=3
	s_or_b64 exec, exec, s[40:41]
	v_cmp_lt_u64_e32 vcc, s[56:57], v[10:11]
	v_mov_b32_e32 v9, 0
	s_and_saveexec_b64 s[40:41], vcc
	s_cbranch_execz .LBB2_6561
; %bb.6556:                             ;   in Loop: Header=BB2_6217 Depth=3
	v_lshrrev_b32_e32 v8, 24, v11
	v_cmp_ne_u32_e32 vcc, s87, v8
	v_bfrev_b32_e32 v9, 1
	s_and_saveexec_b64 s[34:35], vcc
	s_cbranch_execz .LBB2_6560
; %bb.6557:                             ;   in Loop: Header=BB2_6217 Depth=3
	v_bfe_u32 v10, v11, 24, 7
	v_cmp_ne_u32_e32 vcc, s85, v10
	v_mov_b32_e32 v9, 0x7f800001
	s_and_saveexec_b64 s[36:37], vcc
	s_cbranch_execz .LBB2_6559
; %bb.6558:                             ;   in Loop: Header=BB2_6217 Depth=3
	v_and_b32_e32 v11, 7, v8
	v_ffbh_u32_e32 v9, v11
	v_min_u32_e32 v30, 32, v9
	v_subrev_u32_e32 v9, 28, v30
	v_lshrrev_b32_e32 v28, 3, v10
	v_cmp_gt_u32_e32 vcc, 8, v10
	v_lshlrev_b64 v[9:10], v9, v[8:9]
	v_sub_u32_e32 v10, 29, v30
	v_and_b32_e32 v9, 7, v9
	v_cndmask_b32_e32 v10, v28, v10, vcc
	v_cndmask_b32_e32 v9, v11, v9, vcc
	v_lshlrev_b32_e32 v8, 24, v8
	v_lshlrev_b32_e32 v9, 20, v9
	v_and_b32_e32 v8, 0x80000000, v8
	v_lshl_add_u32 v10, v10, 23, v17
	v_or3_b32 v9, v8, v10, v9
.LBB2_6559:                             ;   in Loop: Header=BB2_6217 Depth=3
	s_or_b64 exec, exec, s[36:37]
.LBB2_6560:                             ;   in Loop: Header=BB2_6217 Depth=3
	s_or_b64 exec, exec, s[34:35]
.LBB2_6561:                             ;   in Loop: Header=BB2_6217 Depth=3
	s_or_b64 exec, exec, s[40:41]
	v_mul_f32_e32 v8, v3, v9
	v_and_b32_e32 v28, 0x7f800000, v8
	v_cmp_ne_u64_e32 vcc, s[76:77], v[28:29]
                                        ; implicit-def: $vgpr3
	s_and_saveexec_b64 s[40:41], vcc
	s_xor_b64 s[34:35], exec, s[40:41]
	s_cbranch_execz .LBB2_6575
; %bb.6562:                             ;   in Loop: Header=BB2_6217 Depth=3
	v_and_b32_e32 v28, 0x7fffffff, v8
	v_cmp_gt_u64_e32 vcc, s[78:79], v[28:29]
	v_and_b32_sdwa v11, v8, s87 dst_sel:DWORD dst_unused:UNUSED_PAD src0_sel:BYTE_3 src1_sel:DWORD
                                        ; implicit-def: $vgpr3
	s_and_saveexec_b64 s[40:41], vcc
	s_xor_b64 s[36:37], exec, s[40:41]
	s_cbranch_execz .LBB2_6572
; %bb.6563:                             ;   in Loop: Header=BB2_6217 Depth=3
	v_mov_b32_e32 v3, 0
	v_cmp_ne_u32_e32 vcc, 0, v8
	s_and_saveexec_b64 s[38:39], vcc
	s_cbranch_execz .LBB2_6571
; %bb.6564:                             ;   in Loop: Header=BB2_6217 Depth=3
	v_bfe_u32 v3, v8, 23, 8
	v_and_b32_e32 v9, 0x7fffff, v8
	v_cmp_gt_u32_e64 s[40:41], s96, v3
	v_sub_u32_e32 v8, 0x79, v3
	v_cmp_eq_u32_e32 vcc, 0, v3
	v_cndmask_b32_e64 v8, 0, v8, s[40:41]
	v_cndmask_b32_e32 v30, v8, v36, vcc
	v_or_b32_e32 v10, 0x800000, v9
	v_add_u32_e32 v8, 20, v30
	v_cndmask_b32_e32 v28, v10, v9, vcc
	v_lshlrev_b64 v[8:9], v8, -1
	v_add_u32_e32 v10, 19, v30
	v_lshlrev_b64 v[46:47], v10, 1
	v_bfi_b32 v9, v9, 0, 0
	v_bfi_b32 v8, v8, 0, v28
	v_cmp_eq_u64_e64 s[40:41], v[8:9], v[46:47]
	v_lshrrev_b64 v[8:9], v30, v[28:29]
	v_mov_b32_e32 v10, v9
	v_mov_b32_e32 v9, v8
	s_and_saveexec_b64 s[48:49], s[40:41]
; %bb.6565:                             ;   in Loop: Header=BB2_6217 Depth=3
	v_bfe_u32 v9, v8, 20, 1
	v_add_co_u32_e64 v9, s[40:41], v8, v9
	v_add_co_u32_e64 v9, s[40:41], -1, v9
; %bb.6566:                             ;   in Loop: Header=BB2_6217 Depth=3
	s_or_b64 exec, exec, s[48:49]
	v_add_u32_e32 v3, 0xffffff81, v3
	v_cndmask_b32_e32 v3, v3, v37, vcc
	v_lshrrev_b32_e32 v10, 23, v8
	v_add3_u32 v30, v30, v3, v10
	v_add_u32_e32 v10, 6, v30
	v_and_b32_e32 v3, 0xfffff, v9
	v_add_u32_e32 v28, v3, v8
	v_cmp_ne_u32_e32 vcc, 0, v10
                                        ; implicit-def: $vgpr8_vgpr9
                                        ; implicit-def: $vgpr3
	s_and_saveexec_b64 s[40:41], vcc
	s_xor_b64 s[40:41], exec, s[40:41]
; %bb.6567:                             ;   in Loop: Header=BB2_6217 Depth=3
	v_cmp_lt_u64_e32 vcc, s[88:89], v[28:29]
	v_add_u32_e32 v3, 7, v30
	v_cndmask_b32_e64 v8, 0, 1, vcc
	v_cndmask_b32_e32 v3, v10, v3, vcc
	v_lshrrev_b64 v[8:9], v8, v[28:29]
; %bb.6568:                             ;   in Loop: Header=BB2_6217 Depth=3
	s_andn2_saveexec_b64 s[40:41], s[40:41]
; %bb.6569:                             ;   in Loop: Header=BB2_6217 Depth=3
	v_mov_b32_e32 v8, v28
	v_bfe_u32 v3, v28, 23, 1
	v_mov_b32_e32 v9, v29
; %bb.6570:                             ;   in Loop: Header=BB2_6217 Depth=3
	s_or_b64 exec, exec, s[40:41]
	v_lshrrev_b64 v[8:9], 20, v[8:9]
	v_cmp_gt_i32_e32 vcc, 16, v3
	v_cndmask_b32_e32 v9, 0, v9, vcc
	v_cndmask_b32_e32 v8, 7, v8, vcc
	v_cmp_eq_u32_e32 vcc, 0, v3
	v_min_i32_e32 v3, 15, v3
	v_cmp_eq_u64_e64 s[40:41], 0, v[8:9]
	v_lshlrev_b32_e32 v3, 3, v3
	v_and_b32_e32 v3, 0xf8, v3
	v_and_or_b32 v3, v8, 7, v3
	s_and_b64 s[40:41], vcc, s[40:41]
	v_cndmask_b32_e64 v3, v3, 0, s[40:41]
	v_or_b32_e32 v3, v3, v11
.LBB2_6571:                             ;   in Loop: Header=BB2_6217 Depth=3
	s_or_b64 exec, exec, s[38:39]
                                        ; implicit-def: $vgpr11
.LBB2_6572:                             ;   in Loop: Header=BB2_6217 Depth=3
	s_andn2_saveexec_b64 s[40:41], s[36:37]
; %bb.6573:                             ;   in Loop: Header=BB2_6217 Depth=3
	v_or_b32_e32 v3, 0x7e, v11
; %bb.6574:                             ;   in Loop: Header=BB2_6217 Depth=3
	s_or_b64 exec, exec, s[40:41]
                                        ; implicit-def: $vgpr8
.LBB2_6575:                             ;   in Loop: Header=BB2_6217 Depth=3
	s_andn2_saveexec_b64 s[40:41], s[34:35]
; %bb.6576:                             ;   in Loop: Header=BB2_6217 Depth=3
	v_or_b32_sdwa v3, v8, s85 dst_sel:DWORD dst_unused:UNUSED_PAD src0_sel:BYTE_3 src1_sel:DWORD
; %bb.6577:                             ;   in Loop: Header=BB2_6217 Depth=3
	s_or_b64 exec, exec, s[40:41]
	v_lshl_or_b32 v6, v6, 8, v2
	v_lshlrev_b32_e32 v8, 16, v24
	v_lshlrev_b32_e32 v9, 24, v34
	v_or3_b32 v28, v8, v9, v6
	global_load_dwordx4 v[8:11], v[42:43], off glc slc
	v_cmp_ne_u32_e32 vcc, 0, v2
	v_mov_b32_e32 v24, 0
	s_and_saveexec_b64 s[40:41], vcc
	s_cbranch_execz .LBB2_6583
; %bb.6578:                             ;   in Loop: Header=BB2_6217 Depth=3
	v_cmp_ne_u32_e32 vcc, s87, v2
	v_bfrev_b32_e32 v24, 1
	s_and_saveexec_b64 s[34:35], vcc
	s_cbranch_execz .LBB2_6582
; %bb.6579:                             ;   in Loop: Header=BB2_6217 Depth=3
	v_and_b32_e32 v30, 0x7f, v2
	v_cmp_ne_u32_e32 vcc, s85, v30
	v_mov_b32_e32 v24, 0x7f800001
	s_and_saveexec_b64 s[36:37], vcc
	s_cbranch_execz .LBB2_6581
; %bb.6580:                             ;   in Loop: Header=BB2_6217 Depth=3
	v_and_b32_e32 v2, 7, v2
	v_ffbh_u32_e32 v2, v2
	v_min_u32_e32 v2, 32, v2
	v_lshrrev_b32_e32 v24, 3, v30
	v_cmp_gt_u32_e32 vcc, 8, v30
	v_subrev_u32_e32 v30, 28, v2
	v_sub_u32_e32 v2, 29, v2
	v_cndmask_b32_e32 v2, v24, v2, vcc
	v_cndmask_b32_e32 v24, 0, v30, vcc
	v_lshlrev_b64 v[46:47], v24, v[28:29]
	v_lshlrev_b32_e32 v30, 24, v28
	v_lshlrev_b32_e32 v24, 20, v46
	v_and_b32_e32 v24, 0x700000, v24
	v_and_b32_e32 v30, 0x80000000, v30
	v_lshl_add_u32 v2, v2, 23, v17
	v_or3_b32 v24, v30, v2, v24
.LBB2_6581:                             ;   in Loop: Header=BB2_6217 Depth=3
	s_or_b64 exec, exec, s[36:37]
.LBB2_6582:                             ;   in Loop: Header=BB2_6217 Depth=3
	s_or_b64 exec, exec, s[34:35]
.LBB2_6583:                             ;   in Loop: Header=BB2_6217 Depth=3
	s_or_b64 exec, exec, s[40:41]
	s_waitcnt vmcnt(0)
	v_cmp_gt_i16_sdwa vcc, v8, s85 src0_sel:BYTE_0 src1_sel:DWORD
	s_mov_b64 s[40:41], 0
	s_and_saveexec_b64 s[34:35], vcc
	s_xor_b64 vcc, exec, s[34:35]
	s_cbranch_execz .LBB2_7005
; %bb.6584:                             ;   in Loop: Header=BB2_6217 Depth=3
	v_cmp_eq_u16_sdwa s[36:37], v8, s87 src0_sel:BYTE_0 src1_sel:DWORD
	s_mov_b64 s[40:41], -1
	s_and_saveexec_b64 s[34:35], s[36:37]
; %bb.6585:                             ;   in Loop: Header=BB2_6217 Depth=3
	s_xor_b64 s[40:41], exec, -1
; %bb.6586:                             ;   in Loop: Header=BB2_6217 Depth=3
	s_or_b64 exec, exec, s[34:35]
	s_and_b64 s[40:41], s[40:41], exec
	s_or_saveexec_b64 vcc, vcc
	v_bfrev_b32_e32 v2, 1
	s_xor_b64 exec, exec, vcc
	s_cbranch_execnz .LBB2_7006
.LBB2_6587:                             ;   in Loop: Header=BB2_6217 Depth=3
	s_or_b64 exec, exec, vcc
	s_and_saveexec_b64 s[34:35], s[40:41]
	s_cbranch_execz .LBB2_6589
.LBB2_6588:                             ;   in Loop: Header=BB2_6217 Depth=3
	v_and_b32_e32 v2, 7, v8
	v_ffbh_u32_e32 v2, v2
	v_and_b32_e32 v30, 0x7f, v8
	v_min_u32_e32 v2, 32, v2
	v_bfe_u32 v34, v8, 3, 4
	v_subrev_u32_e32 v35, 28, v2
	v_sub_u32_e32 v2, 29, v2
	v_cmp_gt_u32_e32 vcc, 8, v30
	v_cndmask_b32_e32 v2, v34, v2, vcc
	v_cndmask_b32_e32 v34, 0, v35, vcc
	v_lshlrev_b64 v[46:47], v34, v[8:9]
	v_lshlrev_b32_e32 v35, 24, v8
	v_lshlrev_b32_e32 v34, 20, v46
	v_and_b32_e32 v34, 0x700000, v34
	v_and_b32_e32 v35, 0x80000000, v35
	v_lshl_add_u32 v2, v2, 23, v17
	v_or3_b32 v2, v35, v2, v34
	v_cmp_ne_u32_e32 vcc, s85, v30
	v_cndmask_b32_e32 v2, v4, v2, vcc
.LBB2_6589:                             ;   in Loop: Header=BB2_6217 Depth=3
	s_or_b64 exec, exec, s[34:35]
	v_add_f32_e32 v30, v24, v2
	v_and_b32_e32 v46, 0x7f800000, v30
	v_mov_b32_e32 v47, v29
	v_cmp_ne_u64_e32 vcc, s[76:77], v[46:47]
                                        ; implicit-def: $vgpr24
	s_and_saveexec_b64 s[40:41], vcc
	s_xor_b64 s[34:35], exec, s[40:41]
	s_cbranch_execz .LBB2_6603
; %bb.6590:                             ;   in Loop: Header=BB2_6217 Depth=3
	v_and_b32_e32 v46, 0x7fffffff, v30
	v_mov_b32_e32 v47, v29
	v_cmp_gt_u64_e32 vcc, s[78:79], v[46:47]
	v_and_b32_sdwa v2, v30, s87 dst_sel:DWORD dst_unused:UNUSED_PAD src0_sel:BYTE_3 src1_sel:DWORD
                                        ; implicit-def: $vgpr24
	s_and_saveexec_b64 s[40:41], vcc
	s_xor_b64 s[36:37], exec, s[40:41]
	s_cbranch_execz .LBB2_6600
; %bb.6591:                             ;   in Loop: Header=BB2_6217 Depth=3
	v_mov_b32_e32 v24, 0
	v_cmp_ne_u32_e32 vcc, 0, v30
	s_and_saveexec_b64 s[38:39], vcc
	s_cbranch_execz .LBB2_6599
; %bb.6592:                             ;   in Loop: Header=BB2_6217 Depth=3
	v_bfe_u32 v24, v30, 23, 8
	v_and_b32_e32 v34, 0x7fffff, v30
	v_cmp_gt_u32_e64 s[40:41], s96, v24
	v_sub_u32_e32 v30, 0x79, v24
	v_cmp_eq_u32_e32 vcc, 0, v24
	v_cndmask_b32_e64 v30, 0, v30, s[40:41]
	v_or_b32_e32 v35, 0x800000, v34
	v_cndmask_b32_e32 v30, v30, v36, vcc
	v_cndmask_b32_e32 v46, v35, v34, vcc
	v_add_u32_e32 v34, 20, v30
	v_lshlrev_b64 v[55:56], v34, -1
	v_mov_b32_e32 v47, v29
	v_add_u32_e32 v34, 19, v30
	v_bfi_b32 v55, v55, 0, v46
	v_lshlrev_b64 v[34:35], v34, 1
	v_lshrrev_b64 v[46:47], v30, v[46:47]
	v_bfi_b32 v56, v56, 0, 0
	v_cmp_eq_u64_e64 s[40:41], v[55:56], v[34:35]
	v_mov_b32_e32 v56, v47
	v_mov_b32_e32 v55, v46
	s_and_saveexec_b64 s[48:49], s[40:41]
; %bb.6593:                             ;   in Loop: Header=BB2_6217 Depth=3
	v_bfe_u32 v34, v46, 20, 1
	v_add_co_u32_e64 v34, s[40:41], v46, v34
	v_add_co_u32_e64 v55, s[40:41], -1, v34
; %bb.6594:                             ;   in Loop: Header=BB2_6217 Depth=3
	s_or_b64 exec, exec, s[48:49]
	v_add_u32_e32 v24, 0xffffff81, v24
	v_cndmask_b32_e32 v24, v24, v37, vcc
	v_lshrrev_b32_e32 v34, 23, v46
	v_add3_u32 v34, v30, v24, v34
	v_add_u32_e32 v30, 6, v34
	v_and_b32_e32 v24, 0xfffff, v55
	v_add_u32_e32 v46, v24, v46
	v_mov_b32_e32 v47, v29
	v_cmp_ne_u32_e32 vcc, 0, v30
                                        ; implicit-def: $vgpr24
	s_and_saveexec_b64 s[40:41], vcc
	s_xor_b64 s[40:41], exec, s[40:41]
; %bb.6595:                             ;   in Loop: Header=BB2_6217 Depth=3
	v_cmp_lt_u64_e32 vcc, s[88:89], v[46:47]
	v_add_u32_e32 v24, 7, v34
	v_cndmask_b32_e32 v24, v30, v24, vcc
	v_cndmask_b32_e64 v30, 0, 1, vcc
	v_lshrrev_b64 v[46:47], v30, v[46:47]
; %bb.6596:                             ;   in Loop: Header=BB2_6217 Depth=3
	s_andn2_saveexec_b64 s[40:41], s[40:41]
; %bb.6597:                             ;   in Loop: Header=BB2_6217 Depth=3
	v_bfe_u32 v24, v46, 23, 1
; %bb.6598:                             ;   in Loop: Header=BB2_6217 Depth=3
	s_or_b64 exec, exec, s[40:41]
	v_lshrrev_b64 v[34:35], 20, v[46:47]
	v_cmp_gt_i32_e32 vcc, 16, v24
	v_cndmask_b32_e32 v35, 0, v35, vcc
	v_cndmask_b32_e32 v34, 7, v34, vcc
	v_cmp_eq_u32_e32 vcc, 0, v24
	v_min_i32_e32 v24, 15, v24
	v_cmp_eq_u64_e64 s[40:41], 0, v[34:35]
	v_lshlrev_b32_e32 v24, 3, v24
	v_and_b32_e32 v24, 0xf8, v24
	v_and_or_b32 v24, v34, 7, v24
	s_and_b64 s[40:41], vcc, s[40:41]
	v_cndmask_b32_e64 v24, v24, 0, s[40:41]
	v_or_b32_e32 v24, v24, v2
.LBB2_6599:                             ;   in Loop: Header=BB2_6217 Depth=3
	s_or_b64 exec, exec, s[38:39]
                                        ; implicit-def: $vgpr2
.LBB2_6600:                             ;   in Loop: Header=BB2_6217 Depth=3
	s_andn2_saveexec_b64 s[40:41], s[36:37]
; %bb.6601:                             ;   in Loop: Header=BB2_6217 Depth=3
	v_or_b32_e32 v24, 0x7e, v2
; %bb.6602:                             ;   in Loop: Header=BB2_6217 Depth=3
	s_or_b64 exec, exec, s[40:41]
                                        ; implicit-def: $vgpr30
.LBB2_6603:                             ;   in Loop: Header=BB2_6217 Depth=3
	s_andn2_saveexec_b64 s[40:41], s[34:35]
; %bb.6604:                             ;   in Loop: Header=BB2_6217 Depth=3
	v_or_b32_sdwa v24, v30, s85 dst_sel:DWORD dst_unused:UNUSED_PAD src0_sel:BYTE_3 src1_sel:DWORD
; %bb.6605:                             ;   in Loop: Header=BB2_6217 Depth=3
	s_or_b64 exec, exec, s[40:41]
	v_lshrrev_b16_e32 v30, 8, v6
	v_cmp_ne_u16_e32 vcc, 0, v30
	v_mov_b32_e32 v2, 0
	s_and_saveexec_b64 s[40:41], vcc
	s_cbranch_execz .LBB2_6611
; %bb.6606:                             ;   in Loop: Header=BB2_6217 Depth=3
	v_cmp_ne_u16_e32 vcc, s87, v30
	v_bfrev_b32_e32 v2, 1
	s_and_saveexec_b64 s[34:35], vcc
	s_cbranch_execz .LBB2_6610
; %bb.6607:                             ;   in Loop: Header=BB2_6217 Depth=3
	v_and_b32_e32 v34, 0x7f, v30
	v_cmp_ne_u32_e32 vcc, s85, v34
	v_mov_b32_e32 v2, 0x7f800001
	s_and_saveexec_b64 s[36:37], vcc
	s_cbranch_execz .LBB2_6609
; %bb.6608:                             ;   in Loop: Header=BB2_6217 Depth=3
	v_and_b32_e32 v2, 7, v30
	v_lshrrev_b32_e32 v52, 3, v34
	v_cmp_gt_u32_e32 vcc, 8, v34
	v_ffbh_u32_e32 v34, v2
	v_min_u32_e32 v53, 32, v34
	v_subrev_u32_e32 v34, 28, v53
	v_lshlrev_b64 v[34:35], v34, v[30:31]
	v_sub_u32_e32 v30, 29, v53
	v_and_b32_e32 v34, 7, v34
	v_cndmask_b32_e32 v30, v52, v30, vcc
	v_cndmask_b32_e32 v2, v2, v34, vcc
	v_lshlrev_b32_e32 v6, 16, v6
	v_lshlrev_b32_e32 v2, 20, v2
	v_and_b32_e32 v6, 0x80000000, v6
	v_lshl_add_u32 v30, v30, 23, v17
	v_or3_b32 v2, v6, v30, v2
.LBB2_6609:                             ;   in Loop: Header=BB2_6217 Depth=3
	s_or_b64 exec, exec, s[36:37]
.LBB2_6610:                             ;   in Loop: Header=BB2_6217 Depth=3
	s_or_b64 exec, exec, s[34:35]
.LBB2_6611:                             ;   in Loop: Header=BB2_6217 Depth=3
	s_or_b64 exec, exec, s[40:41]
	v_lshrrev_b16_e32 v46, 8, v8
	v_cmp_lt_i16_e32 vcc, s85, v46
	s_mov_b64 s[40:41], 0
	s_and_saveexec_b64 s[34:35], vcc
	s_xor_b64 s[34:35], exec, s[34:35]
	s_cbranch_execz .LBB2_7007
; %bb.6612:                             ;   in Loop: Header=BB2_6217 Depth=3
	v_cmp_eq_u16_e32 vcc, s87, v46
	s_mov_b64 s[40:41], -1
	s_and_saveexec_b64 s[36:37], vcc
; %bb.6613:                             ;   in Loop: Header=BB2_6217 Depth=3
	s_xor_b64 s[40:41], exec, -1
; %bb.6614:                             ;   in Loop: Header=BB2_6217 Depth=3
	s_or_b64 exec, exec, s[36:37]
	s_and_b64 s[40:41], s[40:41], exec
	s_or_saveexec_b64 s[34:35], s[34:35]
	v_bfrev_b32_e32 v6, 1
	s_xor_b64 exec, exec, s[34:35]
	s_cbranch_execnz .LBB2_7008
.LBB2_6615:                             ;   in Loop: Header=BB2_6217 Depth=3
	s_or_b64 exec, exec, s[34:35]
	s_and_saveexec_b64 s[34:35], s[40:41]
	s_cbranch_execz .LBB2_6617
.LBB2_6616:                             ;   in Loop: Header=BB2_6217 Depth=3
	v_and_b32_e32 v6, 7, v46
	v_ffbh_u32_e32 v34, v6
	v_min_u32_e32 v53, 32, v34
	v_mov_b32_e32 v47, v29
	v_subrev_u32_e32 v34, 28, v53
	v_lshlrev_b64 v[34:35], v34, v[46:47]
	v_and_b32_e32 v30, 0x7f, v46
	v_bfe_u32 v52, v46, 3, 4
	v_sub_u32_e32 v35, 29, v53
	v_and_b32_e32 v34, 7, v34
	v_cmp_gt_u32_e32 vcc, 8, v30
	v_cndmask_b32_e32 v35, v52, v35, vcc
	v_cndmask_b32_e32 v6, v6, v34, vcc
	v_lshlrev_b32_e32 v34, 24, v46
	v_lshlrev_b32_e32 v6, 20, v6
	v_and_b32_e32 v34, 0x80000000, v34
	v_lshl_add_u32 v35, v35, 23, v17
	v_or3_b32 v6, v34, v35, v6
	v_cmp_ne_u32_e32 vcc, s85, v30
	v_cndmask_b32_e32 v6, v4, v6, vcc
.LBB2_6617:                             ;   in Loop: Header=BB2_6217 Depth=3
	s_or_b64 exec, exec, s[34:35]
	v_add_f32_e32 v30, v2, v6
	v_and_b32_e32 v34, 0x7f800000, v30
	v_mov_b32_e32 v35, v29
	v_cmp_ne_u64_e32 vcc, s[76:77], v[34:35]
                                        ; implicit-def: $vgpr6
	s_and_saveexec_b64 s[40:41], vcc
	s_xor_b64 s[34:35], exec, s[40:41]
	s_cbranch_execz .LBB2_6631
; %bb.6618:                             ;   in Loop: Header=BB2_6217 Depth=3
	v_and_b32_e32 v34, 0x7fffffff, v30
	v_mov_b32_e32 v35, v29
	v_cmp_gt_u64_e32 vcc, s[78:79], v[34:35]
	v_and_b32_sdwa v2, v30, s87 dst_sel:DWORD dst_unused:UNUSED_PAD src0_sel:BYTE_3 src1_sel:DWORD
                                        ; implicit-def: $vgpr6
	s_and_saveexec_b64 s[40:41], vcc
	s_xor_b64 s[36:37], exec, s[40:41]
	s_cbranch_execz .LBB2_6628
; %bb.6619:                             ;   in Loop: Header=BB2_6217 Depth=3
	v_mov_b32_e32 v6, 0
	v_cmp_ne_u32_e32 vcc, 0, v30
	s_and_saveexec_b64 s[38:39], vcc
	s_cbranch_execz .LBB2_6627
; %bb.6620:                             ;   in Loop: Header=BB2_6217 Depth=3
	v_bfe_u32 v6, v30, 23, 8
	v_and_b32_e32 v34, 0x7fffff, v30
	v_cmp_gt_u32_e64 s[40:41], s96, v6
	v_sub_u32_e32 v30, 0x79, v6
	v_cmp_eq_u32_e32 vcc, 0, v6
	v_cndmask_b32_e64 v30, 0, v30, s[40:41]
	v_cndmask_b32_e32 v30, v30, v36, vcc
	v_add_u32_e32 v52, 20, v30
	v_or_b32_e32 v35, 0x800000, v34
	v_lshlrev_b64 v[46:47], v52, -1
	v_add_u32_e32 v52, 19, v30
	v_cndmask_b32_e32 v34, v35, v34, vcc
	v_lshlrev_b64 v[55:56], v52, 1
	v_mov_b32_e32 v35, v29
	v_bfi_b32 v47, v47, 0, 0
	v_bfi_b32 v46, v46, 0, v34
	v_cmp_eq_u64_e64 s[40:41], v[46:47], v[55:56]
	v_lshrrev_b64 v[46:47], v30, v[34:35]
	v_mov_b32_e32 v56, v47
	v_mov_b32_e32 v55, v46
	s_and_saveexec_b64 s[48:49], s[40:41]
; %bb.6621:                             ;   in Loop: Header=BB2_6217 Depth=3
	v_bfe_u32 v34, v46, 20, 1
	v_add_co_u32_e64 v34, s[40:41], v46, v34
	v_add_co_u32_e64 v55, s[40:41], -1, v34
; %bb.6622:                             ;   in Loop: Header=BB2_6217 Depth=3
	s_or_b64 exec, exec, s[48:49]
	v_add_u32_e32 v6, 0xffffff81, v6
	v_cndmask_b32_e32 v6, v6, v37, vcc
	v_lshrrev_b32_e32 v34, 23, v46
	v_add3_u32 v34, v30, v6, v34
	v_add_u32_e32 v30, 6, v34
	v_and_b32_e32 v6, 0xfffff, v55
	v_add_u32_e32 v46, v6, v46
	v_mov_b32_e32 v47, v29
	v_cmp_ne_u32_e32 vcc, 0, v30
                                        ; implicit-def: $vgpr6
	s_and_saveexec_b64 s[40:41], vcc
	s_xor_b64 s[40:41], exec, s[40:41]
; %bb.6623:                             ;   in Loop: Header=BB2_6217 Depth=3
	v_cmp_lt_u64_e32 vcc, s[88:89], v[46:47]
	v_add_u32_e32 v6, 7, v34
	v_cndmask_b32_e32 v6, v30, v6, vcc
	v_cndmask_b32_e64 v30, 0, 1, vcc
	v_lshrrev_b64 v[46:47], v30, v[46:47]
; %bb.6624:                             ;   in Loop: Header=BB2_6217 Depth=3
	s_andn2_saveexec_b64 s[40:41], s[40:41]
; %bb.6625:                             ;   in Loop: Header=BB2_6217 Depth=3
	v_bfe_u32 v6, v46, 23, 1
; %bb.6626:                             ;   in Loop: Header=BB2_6217 Depth=3
	s_or_b64 exec, exec, s[40:41]
	v_lshrrev_b64 v[34:35], 20, v[46:47]
	v_cmp_gt_i32_e32 vcc, 16, v6
	v_cndmask_b32_e32 v35, 0, v35, vcc
	v_cndmask_b32_e32 v34, 7, v34, vcc
	v_cmp_eq_u32_e32 vcc, 0, v6
	v_min_i32_e32 v6, 15, v6
	v_cmp_eq_u64_e64 s[40:41], 0, v[34:35]
	v_lshlrev_b32_e32 v6, 3, v6
	v_and_b32_e32 v6, 0xf8, v6
	v_and_or_b32 v6, v34, 7, v6
	s_and_b64 s[40:41], vcc, s[40:41]
	v_cndmask_b32_e64 v6, v6, 0, s[40:41]
	v_or_b32_e32 v6, v6, v2
.LBB2_6627:                             ;   in Loop: Header=BB2_6217 Depth=3
	s_or_b64 exec, exec, s[38:39]
                                        ; implicit-def: $vgpr2
.LBB2_6628:                             ;   in Loop: Header=BB2_6217 Depth=3
	s_andn2_saveexec_b64 s[40:41], s[36:37]
; %bb.6629:                             ;   in Loop: Header=BB2_6217 Depth=3
	v_or_b32_e32 v6, 0x7e, v2
; %bb.6630:                             ;   in Loop: Header=BB2_6217 Depth=3
	s_or_b64 exec, exec, s[40:41]
                                        ; implicit-def: $vgpr30
.LBB2_6631:                             ;   in Loop: Header=BB2_6217 Depth=3
	s_andn2_saveexec_b64 s[40:41], s[34:35]
; %bb.6632:                             ;   in Loop: Header=BB2_6217 Depth=3
	v_or_b32_sdwa v6, v30, s85 dst_sel:DWORD dst_unused:UNUSED_PAD src0_sel:BYTE_3 src1_sel:DWORD
; %bb.6633:                             ;   in Loop: Header=BB2_6217 Depth=3
	s_or_b64 exec, exec, s[40:41]
	v_and_b32_sdwa v34, v28, s86 dst_sel:DWORD dst_unused:UNUSED_PAD src0_sel:WORD_1 src1_sel:DWORD
	v_lshrrev_b32_e32 v30, 16, v28
	v_cmp_ne_u16_e32 vcc, 0, v34
	v_mov_b32_e32 v2, 0
	s_and_saveexec_b64 s[40:41], vcc
	s_cbranch_execz .LBB2_6639
; %bb.6634:                             ;   in Loop: Header=BB2_6217 Depth=3
	v_cmp_ne_u16_e32 vcc, s87, v34
	v_bfrev_b32_e32 v2, 1
	s_and_saveexec_b64 s[34:35], vcc
	s_cbranch_execz .LBB2_6638
; %bb.6635:                             ;   in Loop: Header=BB2_6217 Depth=3
	v_bfe_u32 v34, v28, 16, 7
	v_cmp_ne_u32_e32 vcc, s85, v34
	v_mov_b32_e32 v2, 0x7f800001
	s_and_saveexec_b64 s[36:37], vcc
	s_cbranch_execz .LBB2_6637
; %bb.6636:                             ;   in Loop: Header=BB2_6217 Depth=3
	v_and_b32_e32 v2, 7, v30
	v_lshrrev_b32_e32 v52, 3, v34
	v_cmp_gt_u32_e32 vcc, 8, v34
	v_ffbh_u32_e32 v34, v2
	v_min_u32_e32 v53, 32, v34
	v_subrev_u32_e32 v34, 28, v53
	v_lshlrev_b64 v[34:35], v34, v[30:31]
	v_sub_u32_e32 v30, 29, v53
	v_and_b32_e32 v34, 7, v34
	v_cndmask_b32_e32 v2, v2, v34, vcc
	v_mov_b32_e32 v34, 24
	v_cndmask_b32_e32 v30, v52, v30, vcc
	v_lshlrev_b32_sdwa v34, v34, v28 dst_sel:DWORD dst_unused:UNUSED_PAD src0_sel:DWORD src1_sel:WORD_1
	v_lshlrev_b32_e32 v2, 20, v2
	v_and_b32_e32 v34, 0x80000000, v34
	v_lshl_add_u32 v30, v30, 23, v17
	v_or3_b32 v2, v34, v30, v2
.LBB2_6637:                             ;   in Loop: Header=BB2_6217 Depth=3
	s_or_b64 exec, exec, s[36:37]
.LBB2_6638:                             ;   in Loop: Header=BB2_6217 Depth=3
	s_or_b64 exec, exec, s[34:35]
.LBB2_6639:                             ;   in Loop: Header=BB2_6217 Depth=3
	s_or_b64 exec, exec, s[40:41]
	v_lshrrev_b32_e32 v30, 16, v8
	v_cmp_gt_i16_sdwa vcc, v30, s85 src0_sel:BYTE_0 src1_sel:DWORD
	s_mov_b64 s[40:41], 0
	s_and_saveexec_b64 s[34:35], vcc
	s_xor_b64 vcc, exec, s[34:35]
	s_cbranch_execz .LBB2_7009
; %bb.6640:                             ;   in Loop: Header=BB2_6217 Depth=3
	v_cmp_eq_u16_sdwa s[36:37], v30, s87 src0_sel:BYTE_0 src1_sel:DWORD
	s_mov_b64 s[40:41], -1
	s_and_saveexec_b64 s[34:35], s[36:37]
; %bb.6641:                             ;   in Loop: Header=BB2_6217 Depth=3
	s_xor_b64 s[40:41], exec, -1
; %bb.6642:                             ;   in Loop: Header=BB2_6217 Depth=3
	s_or_b64 exec, exec, s[34:35]
	s_and_b64 s[40:41], s[40:41], exec
	s_or_saveexec_b64 vcc, vcc
	v_bfrev_b32_e32 v34, 1
	s_xor_b64 exec, exec, vcc
	s_cbranch_execnz .LBB2_7010
.LBB2_6643:                             ;   in Loop: Header=BB2_6217 Depth=3
	s_or_b64 exec, exec, vcc
	s_and_saveexec_b64 s[34:35], s[40:41]
	s_cbranch_execz .LBB2_6645
.LBB2_6644:                             ;   in Loop: Header=BB2_6217 Depth=3
	v_and_b32_e32 v52, 7, v30
	v_ffbh_u32_e32 v34, v52
	v_min_u32_e32 v55, 32, v34
	v_subrev_u32_e32 v34, 28, v55
	v_lshlrev_b64 v[34:35], v34, v[30:31]
	v_and_b32_e32 v53, 0x7f, v30
	v_bfe_u32 v54, v30, 3, 4
	v_sub_u32_e32 v35, 29, v55
	v_and_b32_e32 v34, 7, v34
	v_cmp_gt_u32_e32 vcc, 8, v53
	v_cndmask_b32_e32 v35, v54, v35, vcc
	v_cndmask_b32_e32 v34, v52, v34, vcc
	v_lshlrev_b32_e32 v30, 24, v30
	v_lshlrev_b32_e32 v34, 20, v34
	v_and_b32_e32 v30, 0x80000000, v30
	v_lshl_add_u32 v35, v35, 23, v17
	v_or3_b32 v30, v30, v35, v34
	v_cmp_ne_u32_e32 vcc, s85, v53
	v_cndmask_b32_e32 v34, v4, v30, vcc
.LBB2_6645:                             ;   in Loop: Header=BB2_6217 Depth=3
	s_or_b64 exec, exec, s[34:35]
	v_add_f32_e32 v34, v2, v34
	v_and_b32_e32 v46, 0x7f800000, v34
	v_mov_b32_e32 v47, v29
	v_cmp_ne_u64_e32 vcc, s[76:77], v[46:47]
                                        ; implicit-def: $vgpr2
	s_and_saveexec_b64 s[40:41], vcc
	s_xor_b64 s[34:35], exec, s[40:41]
	s_cbranch_execz .LBB2_6659
; %bb.6646:                             ;   in Loop: Header=BB2_6217 Depth=3
	v_and_b32_e32 v46, 0x7fffffff, v34
	v_mov_b32_e32 v47, v29
	v_cmp_gt_u64_e32 vcc, s[78:79], v[46:47]
	v_and_b32_sdwa v30, v34, s87 dst_sel:DWORD dst_unused:UNUSED_PAD src0_sel:BYTE_3 src1_sel:DWORD
                                        ; implicit-def: $vgpr2
	s_and_saveexec_b64 s[40:41], vcc
	s_xor_b64 s[36:37], exec, s[40:41]
	s_cbranch_execz .LBB2_6656
; %bb.6647:                             ;   in Loop: Header=BB2_6217 Depth=3
	v_mov_b32_e32 v2, 0
	v_cmp_ne_u32_e32 vcc, 0, v34
	s_and_saveexec_b64 s[38:39], vcc
	s_cbranch_execz .LBB2_6655
; %bb.6648:                             ;   in Loop: Header=BB2_6217 Depth=3
	v_bfe_u32 v2, v34, 23, 8
	v_and_b32_e32 v35, 0x7fffff, v34
	v_cmp_gt_u32_e64 s[40:41], s96, v2
	v_sub_u32_e32 v34, 0x79, v2
	v_cmp_eq_u32_e32 vcc, 0, v2
	v_cndmask_b32_e64 v34, 0, v34, s[40:41]
	v_or_b32_e32 v52, 0x800000, v35
	v_cndmask_b32_e32 v34, v34, v36, vcc
	v_cndmask_b32_e32 v46, v52, v35, vcc
	v_add_u32_e32 v35, 20, v34
	v_lshlrev_b64 v[55:56], v35, -1
	v_mov_b32_e32 v47, v29
	v_add_u32_e32 v35, 19, v34
	v_bfi_b32 v55, v55, 0, v46
	v_lshlrev_b64 v[52:53], v35, 1
	v_lshrrev_b64 v[46:47], v34, v[46:47]
	v_bfi_b32 v56, v56, 0, 0
	v_cmp_eq_u64_e64 s[40:41], v[55:56], v[52:53]
	v_mov_b32_e32 v56, v47
	v_mov_b32_e32 v55, v46
	s_and_saveexec_b64 s[48:49], s[40:41]
; %bb.6649:                             ;   in Loop: Header=BB2_6217 Depth=3
	v_bfe_u32 v35, v46, 20, 1
	v_add_co_u32_e64 v35, s[40:41], v46, v35
	v_add_co_u32_e64 v55, s[40:41], -1, v35
; %bb.6650:                             ;   in Loop: Header=BB2_6217 Depth=3
	s_or_b64 exec, exec, s[48:49]
	v_add_u32_e32 v2, 0xffffff81, v2
	v_cndmask_b32_e32 v2, v2, v37, vcc
	v_lshrrev_b32_e32 v35, 23, v46
	v_add3_u32 v52, v34, v2, v35
	v_add_u32_e32 v34, 6, v52
	v_and_b32_e32 v2, 0xfffff, v55
	v_add_u32_e32 v46, v2, v46
	v_mov_b32_e32 v47, v29
	v_cmp_ne_u32_e32 vcc, 0, v34
                                        ; implicit-def: $vgpr2
	s_and_saveexec_b64 s[40:41], vcc
	s_xor_b64 s[40:41], exec, s[40:41]
; %bb.6651:                             ;   in Loop: Header=BB2_6217 Depth=3
	v_cmp_lt_u64_e32 vcc, s[88:89], v[46:47]
	v_add_u32_e32 v2, 7, v52
	v_cndmask_b32_e32 v2, v34, v2, vcc
	v_cndmask_b32_e64 v34, 0, 1, vcc
	v_lshrrev_b64 v[46:47], v34, v[46:47]
; %bb.6652:                             ;   in Loop: Header=BB2_6217 Depth=3
	s_andn2_saveexec_b64 s[40:41], s[40:41]
; %bb.6653:                             ;   in Loop: Header=BB2_6217 Depth=3
	v_bfe_u32 v2, v46, 23, 1
; %bb.6654:                             ;   in Loop: Header=BB2_6217 Depth=3
	s_or_b64 exec, exec, s[40:41]
	v_lshrrev_b64 v[34:35], 20, v[46:47]
	v_cmp_gt_i32_e32 vcc, 16, v2
	v_cndmask_b32_e32 v35, 0, v35, vcc
	v_cndmask_b32_e32 v34, 7, v34, vcc
	v_cmp_eq_u32_e32 vcc, 0, v2
	v_min_i32_e32 v2, 15, v2
	v_cmp_eq_u64_e64 s[40:41], 0, v[34:35]
	v_lshlrev_b32_e32 v2, 3, v2
	v_and_b32_e32 v2, 0xf8, v2
	v_and_or_b32 v2, v34, 7, v2
	s_and_b64 s[40:41], vcc, s[40:41]
	v_cndmask_b32_e64 v2, v2, 0, s[40:41]
	v_or_b32_e32 v2, v2, v30
.LBB2_6655:                             ;   in Loop: Header=BB2_6217 Depth=3
	s_or_b64 exec, exec, s[38:39]
                                        ; implicit-def: $vgpr30
.LBB2_6656:                             ;   in Loop: Header=BB2_6217 Depth=3
	s_andn2_saveexec_b64 s[40:41], s[36:37]
; %bb.6657:                             ;   in Loop: Header=BB2_6217 Depth=3
	v_or_b32_e32 v2, 0x7e, v30
; %bb.6658:                             ;   in Loop: Header=BB2_6217 Depth=3
	s_or_b64 exec, exec, s[40:41]
                                        ; implicit-def: $vgpr34
.LBB2_6659:                             ;   in Loop: Header=BB2_6217 Depth=3
	s_andn2_saveexec_b64 s[40:41], s[34:35]
; %bb.6660:                             ;   in Loop: Header=BB2_6217 Depth=3
	v_or_b32_sdwa v2, v34, s85 dst_sel:DWORD dst_unused:UNUSED_PAD src0_sel:BYTE_3 src1_sel:DWORD
; %bb.6661:                             ;   in Loop: Header=BB2_6217 Depth=3
	s_or_b64 exec, exec, s[40:41]
	v_cmp_lt_u32_e32 vcc, s57, v28
	v_mov_b32_e32 v34, 0
	s_and_saveexec_b64 s[40:41], vcc
	s_cbranch_execz .LBB2_6667
; %bb.6662:                             ;   in Loop: Header=BB2_6217 Depth=3
	v_lshrrev_b32_e32 v30, 24, v28
	v_cmp_ne_u32_e32 vcc, s87, v30
	v_bfrev_b32_e32 v34, 1
	s_and_saveexec_b64 s[34:35], vcc
	s_cbranch_execz .LBB2_6666
; %bb.6663:                             ;   in Loop: Header=BB2_6217 Depth=3
	v_bfe_u32 v28, v28, 24, 7
	v_cmp_ne_u32_e32 vcc, s85, v28
	v_mov_b32_e32 v34, 0x7f800001
	s_and_saveexec_b64 s[36:37], vcc
	s_cbranch_execz .LBB2_6665
; %bb.6664:                             ;   in Loop: Header=BB2_6217 Depth=3
	v_and_b32_e32 v52, 7, v30
	v_lshrrev_b32_e32 v53, 3, v28
	v_cmp_gt_u32_e32 vcc, 8, v28
	v_ffbh_u32_e32 v28, v52
	v_min_u32_e32 v28, 32, v28
	v_subrev_u32_e32 v34, 28, v28
	v_lshlrev_b64 v[34:35], v34, v[30:31]
	v_sub_u32_e32 v28, 29, v28
	v_and_b32_e32 v34, 7, v34
	v_cndmask_b32_e32 v28, v53, v28, vcc
	v_cndmask_b32_e32 v34, v52, v34, vcc
	v_lshlrev_b32_e32 v30, 24, v30
	v_lshlrev_b32_e32 v34, 20, v34
	v_and_b32_e32 v30, 0x80000000, v30
	v_lshl_add_u32 v28, v28, 23, v17
	v_or3_b32 v34, v30, v28, v34
.LBB2_6665:                             ;   in Loop: Header=BB2_6217 Depth=3
	s_or_b64 exec, exec, s[36:37]
.LBB2_6666:                             ;   in Loop: Header=BB2_6217 Depth=3
	s_or_b64 exec, exec, s[34:35]
.LBB2_6667:                             ;   in Loop: Header=BB2_6217 Depth=3
	s_or_b64 exec, exec, s[40:41]
	v_bfe_u32 v30, v8, 24, 3
	v_ffbh_u32_e32 v52, v30
	v_min_u32_e32 v55, 32, v52
	v_lshrrev_b32_e32 v28, 24, v8
	v_subrev_u32_e32 v52, 28, v55
	v_lshlrev_b64 v[52:53], v52, v[28:29]
	v_bfe_u32 v35, v8, 24, 7
	v_bfe_u32 v54, v28, 3, 4
	v_sub_u32_e32 v53, 29, v55
	v_and_b32_e32 v52, 7, v52
	v_cmp_gt_u32_e32 vcc, 8, v35
	v_cndmask_b32_e32 v53, v54, v53, vcc
	v_cndmask_b32_e32 v30, v30, v52, vcc
	v_lshlrev_b32_e32 v30, 20, v30
	v_and_b32_e32 v52, 0x80000000, v8
	v_lshl_add_u32 v53, v53, 23, v17
	v_or3_b32 v30, v52, v53, v30
	v_cmp_ne_u32_e32 vcc, s85, v35
	v_cndmask_b32_e32 v30, v4, v30, vcc
	v_cmp_ne_u32_e32 vcc, s87, v28
	v_bfrev_b32_e32 v28, 1
	v_cndmask_b32_e32 v28, v28, v30, vcc
	v_cmp_lt_u32_e32 vcc, s57, v8
	v_cndmask_b32_e32 v28, 0, v28, vcc
	v_add_f32_e32 v52, v28, v34
	v_and_b32_e32 v28, 0x7f800000, v52
	v_cmp_ne_u64_e32 vcc, s[76:77], v[28:29]
                                        ; implicit-def: $vgpr34
	s_and_saveexec_b64 s[40:41], vcc
	s_xor_b64 s[34:35], exec, s[40:41]
	s_cbranch_execz .LBB2_6681
; %bb.6668:                             ;   in Loop: Header=BB2_6217 Depth=3
	v_and_b32_e32 v28, 0x7fffffff, v52
	v_cmp_gt_u64_e32 vcc, s[78:79], v[28:29]
	v_and_b32_sdwa v30, v52, s87 dst_sel:DWORD dst_unused:UNUSED_PAD src0_sel:BYTE_3 src1_sel:DWORD
                                        ; implicit-def: $vgpr34
	s_and_saveexec_b64 s[40:41], vcc
	s_xor_b64 s[36:37], exec, s[40:41]
	s_cbranch_execz .LBB2_6678
; %bb.6669:                             ;   in Loop: Header=BB2_6217 Depth=3
	v_mov_b32_e32 v34, 0
	v_cmp_ne_u32_e32 vcc, 0, v52
	s_and_saveexec_b64 s[38:39], vcc
	s_cbranch_execz .LBB2_6677
; %bb.6670:                             ;   in Loop: Header=BB2_6217 Depth=3
	v_bfe_u32 v34, v52, 23, 8
	v_cmp_gt_u32_e64 s[40:41], s96, v34
	v_sub_u32_e32 v35, 0x79, v34
	v_cmp_eq_u32_e32 vcc, 0, v34
	v_cndmask_b32_e64 v35, 0, v35, s[40:41]
	v_and_b32_e32 v28, 0x7fffff, v52
	v_cndmask_b32_e32 v52, v35, v36, vcc
	v_or_b32_e32 v53, 0x800000, v28
	v_add_u32_e32 v35, 20, v52
	v_cndmask_b32_e32 v28, v53, v28, vcc
	v_lshlrev_b64 v[53:54], v35, -1
	v_add_u32_e32 v35, 19, v52
	v_lshlrev_b64 v[46:47], v35, 1
	v_bfi_b32 v54, v54, 0, 0
	v_bfi_b32 v53, v53, 0, v28
	v_cmp_eq_u64_e64 s[40:41], v[53:54], v[46:47]
	v_lshrrev_b64 v[46:47], v52, v[28:29]
	v_mov_b32_e32 v56, v47
	v_mov_b32_e32 v55, v46
	s_and_saveexec_b64 s[48:49], s[40:41]
; %bb.6671:                             ;   in Loop: Header=BB2_6217 Depth=3
	v_bfe_u32 v28, v46, 20, 1
	v_add_co_u32_e64 v28, s[40:41], v46, v28
	v_add_co_u32_e64 v55, s[40:41], -1, v28
; %bb.6672:                             ;   in Loop: Header=BB2_6217 Depth=3
	s_or_b64 exec, exec, s[48:49]
	v_add_u32_e32 v28, 0xffffff81, v34
	v_cndmask_b32_e32 v28, v28, v37, vcc
	v_lshrrev_b32_e32 v34, 23, v46
	v_add3_u32 v56, v52, v28, v34
	v_add_u32_e32 v52, 6, v56
	v_and_b32_e32 v28, 0xfffff, v55
	v_add_u32_e32 v28, v28, v46
	v_cmp_ne_u32_e32 vcc, 0, v52
                                        ; implicit-def: $vgpr46_vgpr47
                                        ; implicit-def: $vgpr34
	s_and_saveexec_b64 s[40:41], vcc
	s_xor_b64 s[40:41], exec, s[40:41]
; %bb.6673:                             ;   in Loop: Header=BB2_6217 Depth=3
	v_cmp_lt_u64_e32 vcc, s[88:89], v[28:29]
	v_add_u32_e32 v34, 7, v56
	v_cndmask_b32_e64 v35, 0, 1, vcc
	v_cndmask_b32_e32 v34, v52, v34, vcc
	v_lshrrev_b64 v[46:47], v35, v[28:29]
; %bb.6674:                             ;   in Loop: Header=BB2_6217 Depth=3
	s_andn2_saveexec_b64 s[40:41], s[40:41]
; %bb.6675:                             ;   in Loop: Header=BB2_6217 Depth=3
	v_mov_b32_e32 v47, v29
	v_bfe_u32 v34, v28, 23, 1
	v_mov_b32_e32 v46, v28
; %bb.6676:                             ;   in Loop: Header=BB2_6217 Depth=3
	s_or_b64 exec, exec, s[40:41]
	v_lshrrev_b64 v[52:53], 20, v[46:47]
	v_cmp_gt_i32_e32 vcc, 16, v34
	v_cndmask_b32_e32 v53, 0, v53, vcc
	v_cndmask_b32_e32 v52, 7, v52, vcc
	v_min_i32_e32 v28, 15, v34
	v_cmp_eq_u64_e64 s[40:41], 0, v[52:53]
	v_lshlrev_b32_e32 v28, 3, v28
	v_cmp_eq_u32_e32 vcc, 0, v34
	v_and_b32_e32 v28, 0xf8, v28
	v_and_or_b32 v28, v52, 7, v28
	s_and_b64 s[40:41], vcc, s[40:41]
	v_cndmask_b32_e64 v28, v28, 0, s[40:41]
	v_or_b32_e32 v34, v28, v30
.LBB2_6677:                             ;   in Loop: Header=BB2_6217 Depth=3
	s_or_b64 exec, exec, s[38:39]
                                        ; implicit-def: $vgpr30
.LBB2_6678:                             ;   in Loop: Header=BB2_6217 Depth=3
	s_andn2_saveexec_b64 s[40:41], s[36:37]
; %bb.6679:                             ;   in Loop: Header=BB2_6217 Depth=3
	v_or_b32_e32 v34, 0x7e, v30
; %bb.6680:                             ;   in Loop: Header=BB2_6217 Depth=3
	s_or_b64 exec, exec, s[40:41]
                                        ; implicit-def: $vgpr52
.LBB2_6681:                             ;   in Loop: Header=BB2_6217 Depth=3
	s_andn2_saveexec_b64 s[40:41], s[34:35]
; %bb.6682:                             ;   in Loop: Header=BB2_6217 Depth=3
	v_or_b32_sdwa v34, v52, s85 dst_sel:DWORD dst_unused:UNUSED_PAD src0_sel:BYTE_3 src1_sel:DWORD
; %bb.6683:                             ;   in Loop: Header=BB2_6217 Depth=3
	s_or_b64 exec, exec, s[40:41]
	v_lshl_or_b32 v51, v51, 8, v31
	v_lshlrev_b32_e32 v23, 16, v23
	v_lshlrev_b32_e32 v28, 24, v33
	v_or3_b32 v28, v23, v28, v51
	v_cmp_ne_u32_e32 vcc, 0, v31
	v_mov_b32_e32 v23, 0
	s_and_saveexec_b64 s[40:41], vcc
	s_cbranch_execz .LBB2_6689
; %bb.6684:                             ;   in Loop: Header=BB2_6217 Depth=3
	v_cmp_ne_u32_e32 vcc, s87, v31
	v_bfrev_b32_e32 v23, 1
	s_and_saveexec_b64 s[34:35], vcc
	s_cbranch_execz .LBB2_6688
; %bb.6685:                             ;   in Loop: Header=BB2_6217 Depth=3
	v_and_b32_e32 v30, 0x7f, v31
	v_cmp_ne_u32_e32 vcc, s85, v30
	v_mov_b32_e32 v23, 0x7f800001
	s_and_saveexec_b64 s[36:37], vcc
	s_cbranch_execz .LBB2_6687
; %bb.6686:                             ;   in Loop: Header=BB2_6217 Depth=3
	v_and_b32_e32 v23, 7, v31
	v_ffbh_u32_e32 v23, v23
	v_min_u32_e32 v23, 32, v23
	v_lshrrev_b32_e32 v31, 3, v30
	v_cmp_gt_u32_e32 vcc, 8, v30
	v_subrev_u32_e32 v30, 28, v23
	v_sub_u32_e32 v23, 29, v23
	v_cndmask_b32_e32 v30, 0, v30, vcc
	v_cndmask_b32_e32 v23, v31, v23, vcc
	v_lshlrev_b64 v[30:31], v30, v[28:29]
	v_lshlrev_b32_e32 v31, 24, v28
	v_lshlrev_b32_e32 v30, 20, v30
	v_and_b32_e32 v30, 0x700000, v30
	v_and_b32_e32 v31, 0x80000000, v31
	v_lshl_add_u32 v23, v23, 23, v17
	v_or3_b32 v23, v31, v23, v30
.LBB2_6687:                             ;   in Loop: Header=BB2_6217 Depth=3
	s_or_b64 exec, exec, s[36:37]
.LBB2_6688:                             ;   in Loop: Header=BB2_6217 Depth=3
	s_or_b64 exec, exec, s[34:35]
.LBB2_6689:                             ;   in Loop: Header=BB2_6217 Depth=3
	s_or_b64 exec, exec, s[40:41]
	v_cmp_gt_i16_sdwa vcc, v9, s85 src0_sel:BYTE_0 src1_sel:DWORD
	s_mov_b64 s[40:41], 0
	s_and_saveexec_b64 s[34:35], vcc
	s_xor_b64 vcc, exec, s[34:35]
	s_cbranch_execz .LBB2_6693
; %bb.6690:                             ;   in Loop: Header=BB2_6217 Depth=3
	v_cmp_eq_u16_sdwa s[36:37], v9, s87 src0_sel:BYTE_0 src1_sel:DWORD
	s_mov_b64 s[40:41], -1
	s_and_saveexec_b64 s[34:35], s[36:37]
; %bb.6691:                             ;   in Loop: Header=BB2_6217 Depth=3
	s_xor_b64 s[40:41], exec, -1
; %bb.6692:                             ;   in Loop: Header=BB2_6217 Depth=3
	s_or_b64 exec, exec, s[34:35]
	s_and_b64 s[40:41], s[40:41], exec
.LBB2_6693:                             ;   in Loop: Header=BB2_6217 Depth=3
	s_or_saveexec_b64 vcc, vcc
	v_bfrev_b32_e32 v30, 1
	s_xor_b64 exec, exec, vcc
; %bb.6694:                             ;   in Loop: Header=BB2_6217 Depth=3
	v_cmp_ne_u16_sdwa s[34:35], v9, v29 src0_sel:BYTE_0 src1_sel:DWORD
	s_andn2_b64 s[40:41], s[40:41], exec
	s_and_b64 s[34:35], s[34:35], exec
	v_mov_b32_e32 v30, 0
	s_or_b64 s[40:41], s[40:41], s[34:35]
; %bb.6695:                             ;   in Loop: Header=BB2_6217 Depth=3
	s_or_b64 exec, exec, vcc
	v_mov_b32_e32 v46, v9
	v_mov_b32_e32 v47, v29
	s_and_saveexec_b64 s[34:35], s[40:41]
	s_cbranch_execz .LBB2_6697
; %bb.6696:                             ;   in Loop: Header=BB2_6217 Depth=3
	v_and_b32_e32 v30, 7, v9
	v_ffbh_u32_e32 v30, v30
	v_and_b32_e32 v33, 0x7f, v9
	v_min_u32_e32 v30, 32, v30
	v_bfe_u32 v31, v9, 3, 4
	v_subrev_u32_e32 v35, 28, v30
	v_sub_u32_e32 v30, 29, v30
	v_cmp_gt_u32_e32 vcc, 8, v33
	v_cndmask_b32_e32 v52, v31, v30, vcc
	v_cndmask_b32_e32 v30, 0, v35, vcc
	v_lshlrev_b64 v[30:31], v30, v[46:47]
	v_lshlrev_b32_e32 v31, 24, v46
	v_lshlrev_b32_e32 v30, 20, v30
	v_and_b32_e32 v30, 0x700000, v30
	v_and_b32_e32 v31, 0x80000000, v31
	v_lshl_add_u32 v35, v52, 23, v17
	v_or3_b32 v30, v31, v35, v30
	v_cmp_ne_u32_e32 vcc, s85, v33
	v_cndmask_b32_e32 v30, v4, v30, vcc
.LBB2_6697:                             ;   in Loop: Header=BB2_6217 Depth=3
	s_or_b64 exec, exec, s[34:35]
	v_add_f32_e32 v31, v23, v30
	v_and_b32_e32 v52, 0x7f800000, v31
	v_mov_b32_e32 v53, v29
	v_cmp_ne_u64_e32 vcc, s[76:77], v[52:53]
                                        ; implicit-def: $vgpr23
	s_and_saveexec_b64 s[40:41], vcc
	s_xor_b64 s[34:35], exec, s[40:41]
	s_cbranch_execz .LBB2_6711
; %bb.6698:                             ;   in Loop: Header=BB2_6217 Depth=3
	v_and_b32_e32 v52, 0x7fffffff, v31
	v_mov_b32_e32 v53, v29
	v_cmp_gt_u64_e32 vcc, s[78:79], v[52:53]
	v_and_b32_sdwa v30, v31, s87 dst_sel:DWORD dst_unused:UNUSED_PAD src0_sel:BYTE_3 src1_sel:DWORD
                                        ; implicit-def: $vgpr23
	s_and_saveexec_b64 s[40:41], vcc
	s_xor_b64 s[36:37], exec, s[40:41]
	s_cbranch_execz .LBB2_6708
; %bb.6699:                             ;   in Loop: Header=BB2_6217 Depth=3
	v_mov_b32_e32 v23, 0
	v_cmp_ne_u32_e32 vcc, 0, v31
	s_and_saveexec_b64 s[38:39], vcc
	s_cbranch_execz .LBB2_6707
; %bb.6700:                             ;   in Loop: Header=BB2_6217 Depth=3
	v_bfe_u32 v23, v31, 23, 8
	v_and_b32_e32 v33, 0x7fffff, v31
	v_cmp_gt_u32_e64 s[40:41], s96, v23
	v_sub_u32_e32 v31, 0x79, v23
	v_cmp_eq_u32_e32 vcc, 0, v23
	v_cndmask_b32_e64 v31, 0, v31, s[40:41]
	v_or_b32_e32 v35, 0x800000, v33
	v_cndmask_b32_e32 v31, v31, v36, vcc
	v_cndmask_b32_e32 v52, v35, v33, vcc
	v_add_u32_e32 v33, 20, v31
	v_lshlrev_b64 v[54:55], v33, -1
	v_add_u32_e32 v33, 19, v31
	v_lshlrev_b64 v[56:57], v33, 1
	v_mov_b32_e32 v53, v29
	v_bfi_b32 v55, v55, 0, 0
	v_bfi_b32 v54, v54, 0, v52
	v_cmp_eq_u64_e64 s[40:41], v[54:55], v[56:57]
	v_lshrrev_b64 v[55:56], v31, v[52:53]
	v_mov_b32_e32 v57, v56
	v_mov_b32_e32 v56, v55
	s_and_saveexec_b64 s[48:49], s[40:41]
; %bb.6701:                             ;   in Loop: Header=BB2_6217 Depth=3
	v_bfe_u32 v33, v55, 20, 1
	v_add_co_u32_e64 v33, s[40:41], v55, v33
	v_add_co_u32_e64 v56, s[40:41], -1, v33
; %bb.6702:                             ;   in Loop: Header=BB2_6217 Depth=3
	s_or_b64 exec, exec, s[48:49]
	v_add_u32_e32 v23, 0xffffff81, v23
	v_cndmask_b32_e32 v23, v23, v37, vcc
	v_lshrrev_b32_e32 v33, 23, v55
	v_add3_u32 v33, v31, v23, v33
	v_add_u32_e32 v31, 6, v33
	v_and_b32_e32 v23, 0xfffff, v56
	v_add_u32_e32 v55, v23, v55
	v_mov_b32_e32 v56, v29
	v_cmp_ne_u32_e32 vcc, 0, v31
                                        ; implicit-def: $vgpr23
	s_and_saveexec_b64 s[40:41], vcc
	s_xor_b64 s[40:41], exec, s[40:41]
; %bb.6703:                             ;   in Loop: Header=BB2_6217 Depth=3
	v_cmp_lt_u64_e32 vcc, s[88:89], v[55:56]
	v_add_u32_e32 v23, 7, v33
	v_cndmask_b32_e32 v23, v31, v23, vcc
	v_cndmask_b32_e64 v31, 0, 1, vcc
	v_lshrrev_b64 v[55:56], v31, v[55:56]
; %bb.6704:                             ;   in Loop: Header=BB2_6217 Depth=3
	s_andn2_saveexec_b64 s[40:41], s[40:41]
; %bb.6705:                             ;   in Loop: Header=BB2_6217 Depth=3
	v_bfe_u32 v23, v55, 23, 1
; %bb.6706:                             ;   in Loop: Header=BB2_6217 Depth=3
	s_or_b64 exec, exec, s[40:41]
	v_lshrrev_b64 v[52:53], 20, v[55:56]
	v_cmp_gt_i32_e32 vcc, 16, v23
	v_cndmask_b32_e32 v53, 0, v53, vcc
	v_cndmask_b32_e32 v52, 7, v52, vcc
	v_cmp_eq_u32_e32 vcc, 0, v23
	v_min_i32_e32 v23, 15, v23
	v_cmp_eq_u64_e64 s[40:41], 0, v[52:53]
	v_lshlrev_b32_e32 v23, 3, v23
	v_and_b32_e32 v23, 0xf8, v23
	v_and_or_b32 v23, v52, 7, v23
	s_and_b64 s[40:41], vcc, s[40:41]
	v_cndmask_b32_e64 v23, v23, 0, s[40:41]
	v_or_b32_e32 v23, v23, v30
.LBB2_6707:                             ;   in Loop: Header=BB2_6217 Depth=3
	s_or_b64 exec, exec, s[38:39]
                                        ; implicit-def: $vgpr30
.LBB2_6708:                             ;   in Loop: Header=BB2_6217 Depth=3
	s_andn2_saveexec_b64 s[40:41], s[36:37]
; %bb.6709:                             ;   in Loop: Header=BB2_6217 Depth=3
	v_or_b32_e32 v23, 0x7e, v30
; %bb.6710:                             ;   in Loop: Header=BB2_6217 Depth=3
	s_or_b64 exec, exec, s[40:41]
                                        ; implicit-def: $vgpr31
.LBB2_6711:                             ;   in Loop: Header=BB2_6217 Depth=3
	s_andn2_saveexec_b64 s[40:41], s[34:35]
; %bb.6712:                             ;   in Loop: Header=BB2_6217 Depth=3
	v_or_b32_sdwa v23, v31, s85 dst_sel:DWORD dst_unused:UNUSED_PAD src0_sel:BYTE_3 src1_sel:DWORD
; %bb.6713:                             ;   in Loop: Header=BB2_6217 Depth=3
	s_or_b64 exec, exec, s[40:41]
	v_lshrrev_b16_e32 v30, 8, v51
	v_cmp_ne_u16_e32 vcc, 0, v30
	v_mov_b32_e32 v31, 0
	s_and_saveexec_b64 s[40:41], vcc
	s_cbranch_execz .LBB2_6719
; %bb.6714:                             ;   in Loop: Header=BB2_6217 Depth=3
	v_cmp_ne_u16_e32 vcc, s87, v30
	v_bfrev_b32_e32 v31, 1
	s_and_saveexec_b64 s[34:35], vcc
	s_cbranch_execz .LBB2_6718
; %bb.6715:                             ;   in Loop: Header=BB2_6217 Depth=3
	v_and_b32_e32 v33, 0x7f, v30
	v_cmp_ne_u32_e32 vcc, s85, v33
	v_mov_b32_e32 v31, 0x7f800001
	s_and_saveexec_b64 s[36:37], vcc
	s_cbranch_execz .LBB2_6717
; %bb.6716:                             ;   in Loop: Header=BB2_6217 Depth=3
	v_and_b32_e32 v35, 7, v30
	v_ffbh_u32_e32 v31, v35
	v_lshrrev_b32_e32 v52, 3, v33
	v_cmp_gt_u32_e32 vcc, 8, v33
	v_min_u32_e32 v33, 32, v31
	v_subrev_u32_e32 v31, 28, v33
	v_lshlrev_b64 v[30:31], v31, v[30:31]
	v_sub_u32_e32 v31, 29, v33
	v_and_b32_e32 v30, 7, v30
	v_cndmask_b32_e32 v31, v52, v31, vcc
	v_cndmask_b32_e32 v30, v35, v30, vcc
	v_lshlrev_b32_e32 v33, 16, v51
	v_lshlrev_b32_e32 v30, 20, v30
	v_and_b32_e32 v33, 0x80000000, v33
	v_lshl_add_u32 v31, v31, 23, v17
	v_or3_b32 v31, v33, v31, v30
.LBB2_6717:                             ;   in Loop: Header=BB2_6217 Depth=3
	s_or_b64 exec, exec, s[36:37]
.LBB2_6718:                             ;   in Loop: Header=BB2_6217 Depth=3
	s_or_b64 exec, exec, s[34:35]
.LBB2_6719:                             ;   in Loop: Header=BB2_6217 Depth=3
	s_or_b64 exec, exec, s[40:41]
	v_lshrrev_b16_e32 v46, 8, v46
	v_cmp_lt_i16_e32 vcc, s85, v46
	s_mov_b64 s[40:41], 0
	s_and_saveexec_b64 s[34:35], vcc
	s_xor_b64 s[34:35], exec, s[34:35]
	s_cbranch_execz .LBB2_7011
; %bb.6720:                             ;   in Loop: Header=BB2_6217 Depth=3
	v_cmp_eq_u16_e32 vcc, s87, v46
	s_mov_b64 s[40:41], -1
	s_and_saveexec_b64 s[36:37], vcc
; %bb.6721:                             ;   in Loop: Header=BB2_6217 Depth=3
	s_xor_b64 s[40:41], exec, -1
; %bb.6722:                             ;   in Loop: Header=BB2_6217 Depth=3
	s_or_b64 exec, exec, s[36:37]
	s_and_b64 s[40:41], s[40:41], exec
	s_or_saveexec_b64 s[34:35], s[34:35]
	v_bfrev_b32_e32 v30, 1
	s_xor_b64 exec, exec, s[34:35]
	s_cbranch_execnz .LBB2_7012
.LBB2_6723:                             ;   in Loop: Header=BB2_6217 Depth=3
	s_or_b64 exec, exec, s[34:35]
	s_and_saveexec_b64 s[34:35], s[40:41]
	s_cbranch_execz .LBB2_6725
.LBB2_6724:                             ;   in Loop: Header=BB2_6217 Depth=3
	v_and_b32_e32 v30, 7, v46
	v_ffbh_u32_e32 v51, v30
	v_min_u32_e32 v53, 32, v51
	v_mov_b32_e32 v47, v29
	v_subrev_u32_e32 v51, 28, v53
	v_lshlrev_b64 v[51:52], v51, v[46:47]
	v_and_b32_e32 v33, 0x7f, v46
	v_bfe_u32 v35, v46, 3, 4
	v_sub_u32_e32 v52, 29, v53
	v_and_b32_e32 v51, 7, v51
	v_cmp_gt_u32_e32 vcc, 8, v33
	v_cndmask_b32_e32 v35, v35, v52, vcc
	v_cndmask_b32_e32 v30, v30, v51, vcc
	v_lshlrev_b32_e32 v51, 24, v46
	v_lshlrev_b32_e32 v30, 20, v30
	v_and_b32_e32 v51, 0x80000000, v51
	v_lshl_add_u32 v35, v35, 23, v17
	v_or3_b32 v30, v51, v35, v30
	v_cmp_ne_u32_e32 vcc, s85, v33
	v_cndmask_b32_e32 v30, v4, v30, vcc
.LBB2_6725:                             ;   in Loop: Header=BB2_6217 Depth=3
	s_or_b64 exec, exec, s[34:35]
	v_add_f32_e32 v33, v31, v30
	v_and_b32_e32 v30, 0x7f800000, v33
	v_mov_b32_e32 v31, v29
	v_cmp_ne_u64_e32 vcc, s[76:77], v[30:31]
                                        ; implicit-def: $vgpr31
	s_and_saveexec_b64 s[40:41], vcc
	s_xor_b64 s[34:35], exec, s[40:41]
	s_cbranch_execz .LBB2_6739
; %bb.6726:                             ;   in Loop: Header=BB2_6217 Depth=3
	v_and_b32_e32 v30, 0x7fffffff, v33
	v_mov_b32_e32 v31, v29
	v_cmp_gt_u64_e32 vcc, s[78:79], v[30:31]
	v_and_b32_sdwa v30, v33, s87 dst_sel:DWORD dst_unused:UNUSED_PAD src0_sel:BYTE_3 src1_sel:DWORD
                                        ; implicit-def: $vgpr31
	s_and_saveexec_b64 s[40:41], vcc
	s_xor_b64 s[36:37], exec, s[40:41]
	s_cbranch_execz .LBB2_6736
; %bb.6727:                             ;   in Loop: Header=BB2_6217 Depth=3
	v_mov_b32_e32 v31, 0
	v_cmp_ne_u32_e32 vcc, 0, v33
	s_and_saveexec_b64 s[38:39], vcc
	s_cbranch_execz .LBB2_6735
; %bb.6728:                             ;   in Loop: Header=BB2_6217 Depth=3
	v_bfe_u32 v31, v33, 23, 8
	v_and_b32_e32 v35, 0x7fffff, v33
	v_cmp_gt_u32_e64 s[40:41], s96, v31
	v_sub_u32_e32 v33, 0x79, v31
	v_cmp_eq_u32_e32 vcc, 0, v31
	v_cndmask_b32_e64 v33, 0, v33, s[40:41]
	v_or_b32_e32 v51, 0x800000, v35
	v_cndmask_b32_e32 v33, v33, v36, vcc
	v_cndmask_b32_e32 v51, v51, v35, vcc
	v_add_u32_e32 v35, 20, v33
	v_lshlrev_b64 v[53:54], v35, -1
	v_add_u32_e32 v35, 19, v33
	v_lshlrev_b64 v[46:47], v35, 1
	v_mov_b32_e32 v52, v29
	v_bfi_b32 v54, v54, 0, 0
	v_bfi_b32 v53, v53, 0, v51
	v_cmp_eq_u64_e64 s[40:41], v[53:54], v[46:47]
	v_lshrrev_b64 v[46:47], v33, v[51:52]
	v_mov_b32_e32 v56, v47
	v_mov_b32_e32 v55, v46
	s_and_saveexec_b64 s[48:49], s[40:41]
; %bb.6729:                             ;   in Loop: Header=BB2_6217 Depth=3
	v_bfe_u32 v35, v46, 20, 1
	v_add_co_u32_e64 v35, s[40:41], v46, v35
	v_add_co_u32_e64 v55, s[40:41], -1, v35
; %bb.6730:                             ;   in Loop: Header=BB2_6217 Depth=3
	s_or_b64 exec, exec, s[48:49]
	v_add_u32_e32 v31, 0xffffff81, v31
	v_cndmask_b32_e32 v31, v31, v37, vcc
	v_lshrrev_b32_e32 v35, 23, v46
	v_add3_u32 v51, v33, v31, v35
	v_add_u32_e32 v33, 6, v51
	v_and_b32_e32 v31, 0xfffff, v55
	v_add_u32_e32 v46, v31, v46
	v_mov_b32_e32 v47, v29
	v_cmp_ne_u32_e32 vcc, 0, v33
                                        ; implicit-def: $vgpr31
	s_and_saveexec_b64 s[40:41], vcc
	s_xor_b64 s[40:41], exec, s[40:41]
; %bb.6731:                             ;   in Loop: Header=BB2_6217 Depth=3
	v_cmp_lt_u64_e32 vcc, s[88:89], v[46:47]
	v_add_u32_e32 v31, 7, v51
	v_cndmask_b32_e32 v31, v33, v31, vcc
	v_cndmask_b32_e64 v33, 0, 1, vcc
	v_lshrrev_b64 v[46:47], v33, v[46:47]
; %bb.6732:                             ;   in Loop: Header=BB2_6217 Depth=3
	s_andn2_saveexec_b64 s[40:41], s[40:41]
; %bb.6733:                             ;   in Loop: Header=BB2_6217 Depth=3
	v_bfe_u32 v31, v46, 23, 1
; %bb.6734:                             ;   in Loop: Header=BB2_6217 Depth=3
	s_or_b64 exec, exec, s[40:41]
	v_lshrrev_b64 v[51:52], 20, v[46:47]
	v_cmp_gt_i32_e32 vcc, 16, v31
	v_cndmask_b32_e32 v52, 0, v52, vcc
	v_cndmask_b32_e32 v51, 7, v51, vcc
	v_cmp_eq_u32_e32 vcc, 0, v31
	v_min_i32_e32 v31, 15, v31
	v_cmp_eq_u64_e64 s[40:41], 0, v[51:52]
	v_lshlrev_b32_e32 v31, 3, v31
	v_and_b32_e32 v31, 0xf8, v31
	v_and_or_b32 v31, v51, 7, v31
	s_and_b64 s[40:41], vcc, s[40:41]
	v_cndmask_b32_e64 v31, v31, 0, s[40:41]
	v_or_b32_e32 v31, v31, v30
.LBB2_6735:                             ;   in Loop: Header=BB2_6217 Depth=3
	s_or_b64 exec, exec, s[38:39]
                                        ; implicit-def: $vgpr30
.LBB2_6736:                             ;   in Loop: Header=BB2_6217 Depth=3
	s_andn2_saveexec_b64 s[40:41], s[36:37]
; %bb.6737:                             ;   in Loop: Header=BB2_6217 Depth=3
	v_or_b32_e32 v31, 0x7e, v30
; %bb.6738:                             ;   in Loop: Header=BB2_6217 Depth=3
	s_or_b64 exec, exec, s[40:41]
                                        ; implicit-def: $vgpr33
.LBB2_6739:                             ;   in Loop: Header=BB2_6217 Depth=3
	s_andn2_saveexec_b64 s[40:41], s[34:35]
; %bb.6740:                             ;   in Loop: Header=BB2_6217 Depth=3
	v_or_b32_sdwa v31, v33, s85 dst_sel:DWORD dst_unused:UNUSED_PAD src0_sel:BYTE_3 src1_sel:DWORD
; %bb.6741:                             ;   in Loop: Header=BB2_6217 Depth=3
	s_or_b64 exec, exec, s[40:41]
	v_lshrrev_b32_e32 v30, 16, v28
	v_cmp_ne_u16_sdwa vcc, v30, v29 src0_sel:BYTE_0 src1_sel:DWORD
	v_mov_b32_e32 v33, 0
	s_and_saveexec_b64 s[40:41], vcc
	s_cbranch_execz .LBB2_6747
; %bb.6742:                             ;   in Loop: Header=BB2_6217 Depth=3
	v_cmp_ne_u16_sdwa vcc, v30, s87 src0_sel:BYTE_0 src1_sel:DWORD
	v_bfrev_b32_e32 v33, 1
	s_and_saveexec_b64 s[34:35], vcc
	s_cbranch_execz .LBB2_6746
; %bb.6743:                             ;   in Loop: Header=BB2_6217 Depth=3
	v_bfe_u32 v51, v28, 16, 7
	v_cmp_ne_u32_e32 vcc, s85, v51
	v_mov_b32_e32 v33, 0x7f800001
	s_and_saveexec_b64 s[36:37], vcc
	s_cbranch_execz .LBB2_6745
; %bb.6744:                             ;   in Loop: Header=BB2_6217 Depth=3
	v_and_b32_e32 v33, 7, v30
	v_lshrrev_b32_e32 v35, 3, v51
	v_cmp_gt_u32_e32 vcc, 8, v51
	v_ffbh_u32_e32 v51, v33
	v_min_u32_e32 v53, 32, v51
	v_subrev_u32_e32 v51, 28, v53
	v_lshlrev_b64 v[51:52], v51, v[30:31]
	v_sub_u32_e32 v52, 29, v53
	v_and_b32_e32 v51, 7, v51
	v_cndmask_b32_e32 v35, v35, v52, vcc
	v_cndmask_b32_e32 v33, v33, v51, vcc
	v_lshlrev_b32_e32 v30, 24, v30
	v_lshlrev_b32_e32 v33, 20, v33
	v_and_b32_e32 v30, 0x80000000, v30
	v_lshl_add_u32 v35, v35, 23, v17
	v_or3_b32 v33, v30, v35, v33
.LBB2_6745:                             ;   in Loop: Header=BB2_6217 Depth=3
	s_or_b64 exec, exec, s[36:37]
.LBB2_6746:                             ;   in Loop: Header=BB2_6217 Depth=3
	s_or_b64 exec, exec, s[34:35]
.LBB2_6747:                             ;   in Loop: Header=BB2_6217 Depth=3
	s_or_b64 exec, exec, s[40:41]
	v_lshrrev_b32_e32 v30, 16, v9
	v_cmp_gt_i16_sdwa vcc, v30, s85 src0_sel:BYTE_0 src1_sel:DWORD
	s_mov_b64 s[40:41], 0
	s_and_saveexec_b64 s[34:35], vcc
	s_xor_b64 vcc, exec, s[34:35]
	s_cbranch_execz .LBB2_7013
; %bb.6748:                             ;   in Loop: Header=BB2_6217 Depth=3
	v_cmp_eq_u16_sdwa s[36:37], v30, s87 src0_sel:BYTE_0 src1_sel:DWORD
	s_mov_b64 s[40:41], -1
	s_and_saveexec_b64 s[34:35], s[36:37]
; %bb.6749:                             ;   in Loop: Header=BB2_6217 Depth=3
	s_xor_b64 s[40:41], exec, -1
; %bb.6750:                             ;   in Loop: Header=BB2_6217 Depth=3
	s_or_b64 exec, exec, s[34:35]
	s_and_b64 s[40:41], s[40:41], exec
	s_or_saveexec_b64 vcc, vcc
	v_bfrev_b32_e32 v51, 1
	s_xor_b64 exec, exec, vcc
	s_cbranch_execnz .LBB2_7014
.LBB2_6751:                             ;   in Loop: Header=BB2_6217 Depth=3
	s_or_b64 exec, exec, vcc
	s_and_saveexec_b64 s[34:35], s[40:41]
	s_cbranch_execz .LBB2_6753
.LBB2_6752:                             ;   in Loop: Header=BB2_6217 Depth=3
	v_and_b32_e32 v35, 7, v30
	v_ffbh_u32_e32 v51, v35
	v_min_u32_e32 v55, 32, v51
	v_subrev_u32_e32 v51, 28, v55
	v_lshlrev_b64 v[51:52], v51, v[30:31]
	v_and_b32_e32 v53, 0x7f, v30
	v_bfe_u32 v54, v30, 3, 4
	v_sub_u32_e32 v52, 29, v55
	v_and_b32_e32 v51, 7, v51
	v_cmp_gt_u32_e32 vcc, 8, v53
	v_cndmask_b32_e32 v52, v54, v52, vcc
	v_cndmask_b32_e32 v35, v35, v51, vcc
	v_lshlrev_b32_e32 v30, 24, v30
	v_lshlrev_b32_e32 v35, 20, v35
	v_and_b32_e32 v30, 0x80000000, v30
	v_lshl_add_u32 v51, v52, 23, v17
	v_or3_b32 v30, v30, v51, v35
	v_cmp_ne_u32_e32 vcc, s85, v53
	v_cndmask_b32_e32 v51, v4, v30, vcc
.LBB2_6753:                             ;   in Loop: Header=BB2_6217 Depth=3
	s_or_b64 exec, exec, s[34:35]
	v_add_f32_e32 v51, v33, v51
	v_and_b32_e32 v52, 0x7f800000, v51
	v_mov_b32_e32 v53, v29
	v_cmp_ne_u64_e32 vcc, s[76:77], v[52:53]
                                        ; implicit-def: $vgpr33
	s_and_saveexec_b64 s[40:41], vcc
	s_xor_b64 s[34:35], exec, s[40:41]
	s_cbranch_execz .LBB2_6767
; %bb.6754:                             ;   in Loop: Header=BB2_6217 Depth=3
	v_and_b32_e32 v52, 0x7fffffff, v51
	v_mov_b32_e32 v53, v29
	v_cmp_gt_u64_e32 vcc, s[78:79], v[52:53]
	v_and_b32_sdwa v30, v51, s87 dst_sel:DWORD dst_unused:UNUSED_PAD src0_sel:BYTE_3 src1_sel:DWORD
                                        ; implicit-def: $vgpr33
	s_and_saveexec_b64 s[40:41], vcc
	s_xor_b64 s[36:37], exec, s[40:41]
	s_cbranch_execz .LBB2_6764
; %bb.6755:                             ;   in Loop: Header=BB2_6217 Depth=3
	v_mov_b32_e32 v33, 0
	v_cmp_ne_u32_e32 vcc, 0, v51
	s_and_saveexec_b64 s[38:39], vcc
	s_cbranch_execz .LBB2_6763
; %bb.6756:                             ;   in Loop: Header=BB2_6217 Depth=3
	v_bfe_u32 v33, v51, 23, 8
	v_and_b32_e32 v35, 0x7fffff, v51
	v_cmp_gt_u32_e64 s[40:41], s96, v33
	v_sub_u32_e32 v51, 0x79, v33
	v_cmp_eq_u32_e32 vcc, 0, v33
	v_cndmask_b32_e64 v51, 0, v51, s[40:41]
	v_or_b32_e32 v52, 0x800000, v35
	v_cndmask_b32_e32 v51, v51, v36, vcc
	v_cndmask_b32_e32 v52, v52, v35, vcc
	v_add_u32_e32 v35, 20, v51
	v_lshlrev_b64 v[54:55], v35, -1
	v_add_u32_e32 v35, 19, v51
	v_lshlrev_b64 v[46:47], v35, 1
	v_mov_b32_e32 v53, v29
	v_bfi_b32 v55, v55, 0, 0
	v_bfi_b32 v54, v54, 0, v52
	v_cmp_eq_u64_e64 s[40:41], v[54:55], v[46:47]
	v_lshrrev_b64 v[46:47], v51, v[52:53]
	v_mov_b32_e32 v56, v47
	v_mov_b32_e32 v55, v46
	s_and_saveexec_b64 s[48:49], s[40:41]
; %bb.6757:                             ;   in Loop: Header=BB2_6217 Depth=3
	v_bfe_u32 v35, v46, 20, 1
	v_add_co_u32_e64 v35, s[40:41], v46, v35
	v_add_co_u32_e64 v55, s[40:41], -1, v35
; %bb.6758:                             ;   in Loop: Header=BB2_6217 Depth=3
	s_or_b64 exec, exec, s[48:49]
	v_add_u32_e32 v33, 0xffffff81, v33
	v_cndmask_b32_e32 v33, v33, v37, vcc
	v_lshrrev_b32_e32 v35, 23, v46
	v_add3_u32 v52, v51, v33, v35
	v_add_u32_e32 v51, 6, v52
	v_and_b32_e32 v33, 0xfffff, v55
	v_add_u32_e32 v46, v33, v46
	v_mov_b32_e32 v47, v29
	v_cmp_ne_u32_e32 vcc, 0, v51
                                        ; implicit-def: $vgpr33
	s_and_saveexec_b64 s[40:41], vcc
	s_xor_b64 s[40:41], exec, s[40:41]
; %bb.6759:                             ;   in Loop: Header=BB2_6217 Depth=3
	v_cmp_lt_u64_e32 vcc, s[88:89], v[46:47]
	v_add_u32_e32 v33, 7, v52
	v_cndmask_b32_e64 v35, 0, 1, vcc
	v_cndmask_b32_e32 v33, v51, v33, vcc
	v_lshrrev_b64 v[46:47], v35, v[46:47]
; %bb.6760:                             ;   in Loop: Header=BB2_6217 Depth=3
	s_andn2_saveexec_b64 s[40:41], s[40:41]
; %bb.6761:                             ;   in Loop: Header=BB2_6217 Depth=3
	v_bfe_u32 v33, v46, 23, 1
; %bb.6762:                             ;   in Loop: Header=BB2_6217 Depth=3
	s_or_b64 exec, exec, s[40:41]
	v_lshrrev_b64 v[51:52], 20, v[46:47]
	v_cmp_gt_i32_e32 vcc, 16, v33
	v_cndmask_b32_e32 v52, 0, v52, vcc
	v_cndmask_b32_e32 v51, 7, v51, vcc
	v_cmp_eq_u32_e32 vcc, 0, v33
	v_min_i32_e32 v33, 15, v33
	v_cmp_eq_u64_e64 s[40:41], 0, v[51:52]
	v_lshlrev_b32_e32 v33, 3, v33
	v_and_b32_e32 v33, 0xf8, v33
	v_and_or_b32 v33, v51, 7, v33
	s_and_b64 s[40:41], vcc, s[40:41]
	v_cndmask_b32_e64 v33, v33, 0, s[40:41]
	v_or_b32_e32 v33, v33, v30
.LBB2_6763:                             ;   in Loop: Header=BB2_6217 Depth=3
	s_or_b64 exec, exec, s[38:39]
                                        ; implicit-def: $vgpr30
.LBB2_6764:                             ;   in Loop: Header=BB2_6217 Depth=3
	s_andn2_saveexec_b64 s[40:41], s[36:37]
; %bb.6765:                             ;   in Loop: Header=BB2_6217 Depth=3
	v_or_b32_e32 v33, 0x7e, v30
; %bb.6766:                             ;   in Loop: Header=BB2_6217 Depth=3
	s_or_b64 exec, exec, s[40:41]
                                        ; implicit-def: $vgpr51
.LBB2_6767:                             ;   in Loop: Header=BB2_6217 Depth=3
	s_andn2_saveexec_b64 s[40:41], s[34:35]
; %bb.6768:                             ;   in Loop: Header=BB2_6217 Depth=3
	v_or_b32_sdwa v33, v51, s85 dst_sel:DWORD dst_unused:UNUSED_PAD src0_sel:BYTE_3 src1_sel:DWORD
; %bb.6769:                             ;   in Loop: Header=BB2_6217 Depth=3
	s_or_b64 exec, exec, s[40:41]
	v_cmp_lt_u32_e32 vcc, s57, v28
	v_mov_b32_e32 v51, 0
	s_and_saveexec_b64 s[40:41], vcc
	s_cbranch_execz .LBB2_6775
; %bb.6770:                             ;   in Loop: Header=BB2_6217 Depth=3
	v_lshrrev_b32_e32 v30, 24, v28
	v_cmp_ne_u32_sdwa vcc, v28, s87 src0_sel:BYTE_3 src1_sel:DWORD
	v_bfrev_b32_e32 v51, 1
	s_and_saveexec_b64 s[34:35], vcc
	s_cbranch_execz .LBB2_6774
; %bb.6771:                             ;   in Loop: Header=BB2_6217 Depth=3
	v_bfe_u32 v52, v28, 24, 7
	v_cmp_ne_u32_e32 vcc, s85, v52
	v_mov_b32_e32 v51, 0x7f800001
	s_and_saveexec_b64 s[36:37], vcc
	s_cbranch_execz .LBB2_6773
; %bb.6772:                             ;   in Loop: Header=BB2_6217 Depth=3
	v_and_b32_e32 v35, 7, v30
	v_ffbh_u32_e32 v51, v35
	v_min_u32_e32 v54, 32, v51
	v_subrev_u32_e32 v51, 28, v54
	v_lshrrev_b32_e32 v53, 3, v52
	v_cmp_gt_u32_e32 vcc, 8, v52
	v_lshlrev_b64 v[51:52], v51, v[30:31]
	v_sub_u32_e32 v30, 29, v54
	v_and_b32_e32 v51, 7, v51
	v_cndmask_b32_e32 v35, v35, v51, vcc
	v_mov_b32_e32 v51, 24
	v_cndmask_b32_e32 v30, v53, v30, vcc
	v_lshlrev_b32_sdwa v28, v51, v28 dst_sel:DWORD dst_unused:UNUSED_PAD src0_sel:DWORD src1_sel:BYTE_3
	v_lshlrev_b32_e32 v35, 20, v35
	v_and_b32_e32 v28, 0x80000000, v28
	v_lshl_add_u32 v30, v30, 23, v17
	v_or3_b32 v51, v28, v30, v35
.LBB2_6773:                             ;   in Loop: Header=BB2_6217 Depth=3
	s_or_b64 exec, exec, s[36:37]
.LBB2_6774:                             ;   in Loop: Header=BB2_6217 Depth=3
	s_or_b64 exec, exec, s[34:35]
.LBB2_6775:                             ;   in Loop: Header=BB2_6217 Depth=3
	s_or_b64 exec, exec, s[40:41]
	v_bfe_u32 v30, v9, 24, 3
	v_ffbh_u32_e32 v52, v30
	v_min_u32_e32 v55, 32, v52
	v_lshrrev_b32_e32 v28, 24, v9
	v_subrev_u32_e32 v52, 28, v55
	v_lshlrev_b64 v[52:53], v52, v[28:29]
	v_bfe_u32 v35, v9, 24, 7
	v_bfe_u32 v54, v28, 3, 4
	v_sub_u32_e32 v53, 29, v55
	v_and_b32_e32 v52, 7, v52
	v_cmp_gt_u32_e32 vcc, 8, v35
	v_cndmask_b32_e32 v53, v54, v53, vcc
	v_cndmask_b32_e32 v30, v30, v52, vcc
	v_lshlrev_b32_e32 v30, 20, v30
	v_and_b32_e32 v52, 0x80000000, v9
	v_lshl_add_u32 v53, v53, 23, v17
	v_or3_b32 v30, v52, v53, v30
	v_cmp_ne_u32_e32 vcc, s85, v35
	v_cndmask_b32_e32 v30, v4, v30, vcc
	v_cmp_ne_u32_e32 vcc, s87, v28
	v_bfrev_b32_e32 v28, 1
	v_cndmask_b32_e32 v28, v28, v30, vcc
	v_cmp_lt_u64_e32 vcc, s[56:57], v[8:9]
                                        ; implicit-def: $vgpr30
	v_cndmask_b32_e32 v8, 0, v28, vcc
	v_add_f32_e32 v8, v8, v51
	v_and_b32_e32 v28, 0x7f800000, v8
	v_cmp_ne_u64_e32 vcc, s[76:77], v[28:29]
	s_and_saveexec_b64 s[40:41], vcc
	s_xor_b64 s[34:35], exec, s[40:41]
	s_cbranch_execz .LBB2_6789
; %bb.6776:                             ;   in Loop: Header=BB2_6217 Depth=3
	v_and_b32_e32 v28, 0x7fffffff, v8
	v_cmp_gt_u64_e32 vcc, s[78:79], v[28:29]
	v_and_b32_sdwa v51, v8, s87 dst_sel:DWORD dst_unused:UNUSED_PAD src0_sel:BYTE_3 src1_sel:DWORD
                                        ; implicit-def: $vgpr30
	s_and_saveexec_b64 s[40:41], vcc
	s_xor_b64 s[36:37], exec, s[40:41]
	s_cbranch_execz .LBB2_6786
; %bb.6777:                             ;   in Loop: Header=BB2_6217 Depth=3
	v_mov_b32_e32 v30, 0
	v_cmp_ne_u32_e32 vcc, 0, v8
	s_and_saveexec_b64 s[38:39], vcc
	s_cbranch_execz .LBB2_6785
; %bb.6778:                             ;   in Loop: Header=BB2_6217 Depth=3
	v_bfe_u32 v30, v8, 23, 8
	v_and_b32_e32 v9, 0x7fffff, v8
	v_cmp_gt_u32_e64 s[40:41], s96, v30
	v_sub_u32_e32 v8, 0x79, v30
	v_cmp_eq_u32_e32 vcc, 0, v30
	v_cndmask_b32_e64 v8, 0, v8, s[40:41]
	v_cndmask_b32_e32 v52, v8, v36, vcc
	v_or_b32_e32 v28, 0x800000, v9
	v_add_u32_e32 v8, 20, v52
	v_cndmask_b32_e32 v28, v28, v9, vcc
	v_lshlrev_b64 v[8:9], v8, -1
	v_add_u32_e32 v35, 19, v52
	v_lshlrev_b64 v[53:54], v35, 1
	v_bfi_b32 v9, v9, 0, 0
	v_bfi_b32 v8, v8, 0, v28
	v_cmp_eq_u64_e64 s[40:41], v[8:9], v[53:54]
	v_lshrrev_b64 v[8:9], v52, v[28:29]
	v_mov_b32_e32 v47, v9
	v_mov_b32_e32 v46, v8
	s_and_saveexec_b64 s[48:49], s[40:41]
; %bb.6779:                             ;   in Loop: Header=BB2_6217 Depth=3
	v_bfe_u32 v9, v8, 20, 1
	v_add_co_u32_e64 v9, s[40:41], v8, v9
	v_add_co_u32_e64 v46, s[40:41], -1, v9
; %bb.6780:                             ;   in Loop: Header=BB2_6217 Depth=3
	s_or_b64 exec, exec, s[48:49]
	v_add_u32_e32 v9, 0xffffff81, v30
	v_cndmask_b32_e32 v9, v9, v37, vcc
	v_lshrrev_b32_e32 v28, 23, v8
	v_add3_u32 v55, v52, v9, v28
	v_add_u32_e32 v52, 6, v55
	v_and_b32_e32 v9, 0xfffff, v46
	v_add_u32_e32 v28, v9, v8
	v_cmp_ne_u32_e32 vcc, 0, v52
                                        ; implicit-def: $vgpr8_vgpr9
                                        ; implicit-def: $vgpr30
	s_and_saveexec_b64 s[40:41], vcc
	s_xor_b64 s[40:41], exec, s[40:41]
; %bb.6781:                             ;   in Loop: Header=BB2_6217 Depth=3
	v_cmp_lt_u64_e32 vcc, s[88:89], v[28:29]
	v_add_u32_e32 v8, 7, v55
	v_cndmask_b32_e32 v30, v52, v8, vcc
	v_cndmask_b32_e64 v8, 0, 1, vcc
	v_lshrrev_b64 v[8:9], v8, v[28:29]
; %bb.6782:                             ;   in Loop: Header=BB2_6217 Depth=3
	s_andn2_saveexec_b64 s[40:41], s[40:41]
; %bb.6783:                             ;   in Loop: Header=BB2_6217 Depth=3
	v_mov_b32_e32 v8, v28
	v_bfe_u32 v30, v28, 23, 1
	v_mov_b32_e32 v9, v29
; %bb.6784:                             ;   in Loop: Header=BB2_6217 Depth=3
	s_or_b64 exec, exec, s[40:41]
	v_lshrrev_b64 v[8:9], 20, v[8:9]
	v_cmp_gt_i32_e32 vcc, 16, v30
	v_cndmask_b32_e32 v9, 0, v9, vcc
	v_cndmask_b32_e32 v8, 7, v8, vcc
	v_cmp_eq_u64_e64 s[40:41], 0, v[8:9]
	v_min_i32_e32 v9, 15, v30
	v_lshlrev_b32_e32 v9, 3, v9
	v_cmp_eq_u32_e32 vcc, 0, v30
	v_and_b32_e32 v9, 0xf8, v9
	v_and_or_b32 v8, v8, 7, v9
	s_and_b64 s[40:41], vcc, s[40:41]
	v_cndmask_b32_e64 v8, v8, 0, s[40:41]
	v_or_b32_e32 v30, v8, v51
.LBB2_6785:                             ;   in Loop: Header=BB2_6217 Depth=3
	s_or_b64 exec, exec, s[38:39]
                                        ; implicit-def: $vgpr51
.LBB2_6786:                             ;   in Loop: Header=BB2_6217 Depth=3
	s_andn2_saveexec_b64 s[40:41], s[36:37]
; %bb.6787:                             ;   in Loop: Header=BB2_6217 Depth=3
	v_or_b32_e32 v30, 0x7e, v51
; %bb.6788:                             ;   in Loop: Header=BB2_6217 Depth=3
	s_or_b64 exec, exec, s[40:41]
                                        ; implicit-def: $vgpr8
.LBB2_6789:                             ;   in Loop: Header=BB2_6217 Depth=3
	s_andn2_saveexec_b64 s[40:41], s[34:35]
; %bb.6790:                             ;   in Loop: Header=BB2_6217 Depth=3
	v_or_b32_sdwa v30, v8, s85 dst_sel:DWORD dst_unused:UNUSED_PAD src0_sel:BYTE_3 src1_sel:DWORD
; %bb.6791:                             ;   in Loop: Header=BB2_6217 Depth=3
	s_or_b64 exec, exec, s[40:41]
	v_lshl_or_b32 v48, v48, 8, v7
	v_lshlrev_b32_e32 v8, 16, v49
	v_lshlrev_b32_e32 v9, 24, v22
	v_or3_b32 v28, v8, v9, v48
	v_cmp_ne_u32_e32 vcc, 0, v7
	v_mov_b32_e32 v8, 0
	s_and_saveexec_b64 s[40:41], vcc
	s_cbranch_execz .LBB2_6797
; %bb.6792:                             ;   in Loop: Header=BB2_6217 Depth=3
	v_cmp_ne_u32_e32 vcc, s87, v7
	v_bfrev_b32_e32 v8, 1
	s_and_saveexec_b64 s[34:35], vcc
	s_cbranch_execz .LBB2_6796
; %bb.6793:                             ;   in Loop: Header=BB2_6217 Depth=3
	v_and_b32_e32 v9, 0x7f, v7
	v_cmp_ne_u32_e32 vcc, s85, v9
	v_mov_b32_e32 v8, 0x7f800001
	s_and_saveexec_b64 s[36:37], vcc
	s_cbranch_execz .LBB2_6795
; %bb.6794:                             ;   in Loop: Header=BB2_6217 Depth=3
	v_and_b32_e32 v7, 7, v7
	v_ffbh_u32_e32 v7, v7
	v_min_u32_e32 v7, 32, v7
	v_lshrrev_b32_e32 v8, 3, v9
	v_cmp_gt_u32_e32 vcc, 8, v9
	v_subrev_u32_e32 v9, 28, v7
	v_sub_u32_e32 v7, 29, v7
	v_cndmask_b32_e32 v22, v8, v7, vcc
	v_cndmask_b32_e32 v7, 0, v9, vcc
	v_lshlrev_b64 v[7:8], v7, v[28:29]
	v_lshlrev_b32_e32 v8, 24, v28
	v_lshlrev_b32_e32 v7, 20, v7
	v_and_b32_e32 v7, 0x700000, v7
	v_and_b32_e32 v8, 0x80000000, v8
	v_lshl_add_u32 v9, v22, 23, v17
	v_or3_b32 v8, v8, v9, v7
.LBB2_6795:                             ;   in Loop: Header=BB2_6217 Depth=3
	s_or_b64 exec, exec, s[36:37]
.LBB2_6796:                             ;   in Loop: Header=BB2_6217 Depth=3
	s_or_b64 exec, exec, s[34:35]
.LBB2_6797:                             ;   in Loop: Header=BB2_6217 Depth=3
	s_or_b64 exec, exec, s[40:41]
	v_cmp_gt_i16_sdwa vcc, v10, s85 src0_sel:BYTE_0 src1_sel:DWORD
	s_mov_b64 s[40:41], 0
	s_and_saveexec_b64 s[34:35], vcc
	s_xor_b64 vcc, exec, s[34:35]
	s_cbranch_execz .LBB2_7015
; %bb.6798:                             ;   in Loop: Header=BB2_6217 Depth=3
	v_cmp_eq_u16_sdwa s[36:37], v10, s87 src0_sel:BYTE_0 src1_sel:DWORD
	s_mov_b64 s[40:41], -1
	s_and_saveexec_b64 s[34:35], s[36:37]
; %bb.6799:                             ;   in Loop: Header=BB2_6217 Depth=3
	s_xor_b64 s[40:41], exec, -1
; %bb.6800:                             ;   in Loop: Header=BB2_6217 Depth=3
	s_or_b64 exec, exec, s[34:35]
	s_and_b64 s[40:41], s[40:41], exec
	s_or_saveexec_b64 vcc, vcc
	v_bfrev_b32_e32 v7, 1
	s_xor_b64 exec, exec, vcc
	s_cbranch_execnz .LBB2_7016
.LBB2_6801:                             ;   in Loop: Header=BB2_6217 Depth=3
	s_or_b64 exec, exec, vcc
	s_and_saveexec_b64 s[34:35], s[40:41]
	s_cbranch_execz .LBB2_6803
.LBB2_6802:                             ;   in Loop: Header=BB2_6217 Depth=3
	v_and_b32_e32 v7, 7, v10
	v_ffbh_u32_e32 v7, v7
	v_and_b32_e32 v9, 0x7f, v10
	v_min_u32_e32 v7, 32, v7
	v_bfe_u32 v22, v10, 3, 4
	v_subrev_u32_e32 v35, 28, v7
	v_sub_u32_e32 v7, 29, v7
	v_cmp_gt_u32_e32 vcc, 8, v9
	v_cndmask_b32_e32 v7, v22, v7, vcc
	v_cndmask_b32_e32 v22, 0, v35, vcc
	v_lshlrev_b64 v[51:52], v22, v[10:11]
	v_lshlrev_b32_e32 v35, 24, v10
	v_lshlrev_b32_e32 v22, 20, v51
	v_and_b32_e32 v22, 0x700000, v22
	v_and_b32_e32 v35, 0x80000000, v35
	v_lshl_add_u32 v7, v7, 23, v17
	v_or3_b32 v7, v35, v7, v22
	v_cmp_ne_u32_e32 vcc, s85, v9
	v_cndmask_b32_e32 v7, v4, v7, vcc
.LBB2_6803:                             ;   in Loop: Header=BB2_6217 Depth=3
	s_or_b64 exec, exec, s[34:35]
	v_add_f32_e32 v8, v8, v7
	v_and_b32_e32 v51, 0x7f800000, v8
	v_mov_b32_e32 v52, v29
	v_cmp_ne_u64_e32 vcc, s[76:77], v[51:52]
                                        ; implicit-def: $vgpr7
	s_and_saveexec_b64 s[40:41], vcc
	s_xor_b64 s[34:35], exec, s[40:41]
	s_cbranch_execz .LBB2_6817
; %bb.6804:                             ;   in Loop: Header=BB2_6217 Depth=3
	v_and_b32_e32 v51, 0x7fffffff, v8
	v_mov_b32_e32 v52, v29
	v_cmp_gt_u64_e32 vcc, s[78:79], v[51:52]
	v_and_b32_sdwa v22, v8, s87 dst_sel:DWORD dst_unused:UNUSED_PAD src0_sel:BYTE_3 src1_sel:DWORD
                                        ; implicit-def: $vgpr7
	s_and_saveexec_b64 s[40:41], vcc
	s_xor_b64 s[36:37], exec, s[40:41]
	s_cbranch_execz .LBB2_6814
; %bb.6805:                             ;   in Loop: Header=BB2_6217 Depth=3
	v_mov_b32_e32 v7, 0
	v_cmp_ne_u32_e32 vcc, 0, v8
	s_and_saveexec_b64 s[38:39], vcc
	s_cbranch_execz .LBB2_6813
; %bb.6806:                             ;   in Loop: Header=BB2_6217 Depth=3
	v_bfe_u32 v7, v8, 23, 8
	v_and_b32_e32 v9, 0x7fffff, v8
	v_cmp_gt_u32_e64 s[40:41], s96, v7
	v_sub_u32_e32 v8, 0x79, v7
	v_cmp_eq_u32_e32 vcc, 0, v7
	v_cndmask_b32_e64 v8, 0, v8, s[40:41]
	v_or_b32_e32 v35, 0x800000, v9
	v_cndmask_b32_e32 v49, v8, v36, vcc
	v_cndmask_b32_e32 v8, v35, v9, vcc
	v_add_u32_e32 v35, 20, v49
	v_lshlrev_b64 v[51:52], v35, -1
	v_mov_b32_e32 v9, v29
	v_add_u32_e32 v35, 19, v49
	v_bfi_b32 v51, v51, 0, v8
	v_lshlrev_b64 v[53:54], v35, 1
	v_lshrrev_b64 v[8:9], v49, v[8:9]
	v_bfi_b32 v52, v52, 0, 0
	v_cmp_eq_u64_e64 s[40:41], v[51:52], v[53:54]
	v_mov_b32_e32 v47, v9
	v_mov_b32_e32 v46, v8
	s_and_saveexec_b64 s[48:49], s[40:41]
; %bb.6807:                             ;   in Loop: Header=BB2_6217 Depth=3
	v_bfe_u32 v9, v8, 20, 1
	v_add_co_u32_e64 v9, s[40:41], v8, v9
	v_add_co_u32_e64 v46, s[40:41], -1, v9
; %bb.6808:                             ;   in Loop: Header=BB2_6217 Depth=3
	s_or_b64 exec, exec, s[48:49]
	v_add_u32_e32 v7, 0xffffff81, v7
	v_cndmask_b32_e32 v7, v7, v37, vcc
	v_lshrrev_b32_e32 v9, 23, v8
	v_add3_u32 v51, v49, v7, v9
	v_add_u32_e32 v49, 6, v51
	v_and_b32_e32 v7, 0xfffff, v46
	v_add_u32_e32 v8, v7, v8
	v_mov_b32_e32 v9, v29
	v_cmp_ne_u32_e32 vcc, 0, v49
                                        ; implicit-def: $vgpr7
	s_and_saveexec_b64 s[40:41], vcc
	s_xor_b64 s[40:41], exec, s[40:41]
; %bb.6809:                             ;   in Loop: Header=BB2_6217 Depth=3
	v_cmp_lt_u64_e32 vcc, s[88:89], v[8:9]
	v_add_u32_e32 v7, 7, v51
	v_cndmask_b32_e64 v35, 0, 1, vcc
	v_cndmask_b32_e32 v7, v49, v7, vcc
	v_lshrrev_b64 v[8:9], v35, v[8:9]
; %bb.6810:                             ;   in Loop: Header=BB2_6217 Depth=3
	s_andn2_saveexec_b64 s[40:41], s[40:41]
; %bb.6811:                             ;   in Loop: Header=BB2_6217 Depth=3
	v_bfe_u32 v7, v8, 23, 1
; %bb.6812:                             ;   in Loop: Header=BB2_6217 Depth=3
	s_or_b64 exec, exec, s[40:41]
	v_lshrrev_b64 v[8:9], 20, v[8:9]
	v_cmp_gt_i32_e32 vcc, 16, v7
	v_cndmask_b32_e32 v9, 0, v9, vcc
	v_cndmask_b32_e32 v8, 7, v8, vcc
	v_cmp_eq_u32_e32 vcc, 0, v7
	v_min_i32_e32 v7, 15, v7
	v_cmp_eq_u64_e64 s[40:41], 0, v[8:9]
	v_lshlrev_b32_e32 v7, 3, v7
	v_and_b32_e32 v7, 0xf8, v7
	v_and_or_b32 v7, v8, 7, v7
	s_and_b64 s[40:41], vcc, s[40:41]
	v_cndmask_b32_e64 v7, v7, 0, s[40:41]
	v_or_b32_e32 v7, v7, v22
.LBB2_6813:                             ;   in Loop: Header=BB2_6217 Depth=3
	s_or_b64 exec, exec, s[38:39]
                                        ; implicit-def: $vgpr22
.LBB2_6814:                             ;   in Loop: Header=BB2_6217 Depth=3
	s_andn2_saveexec_b64 s[40:41], s[36:37]
; %bb.6815:                             ;   in Loop: Header=BB2_6217 Depth=3
	v_or_b32_e32 v7, 0x7e, v22
; %bb.6816:                             ;   in Loop: Header=BB2_6217 Depth=3
	s_or_b64 exec, exec, s[40:41]
                                        ; implicit-def: $vgpr8
.LBB2_6817:                             ;   in Loop: Header=BB2_6217 Depth=3
	s_andn2_saveexec_b64 s[40:41], s[34:35]
; %bb.6818:                             ;   in Loop: Header=BB2_6217 Depth=3
	v_or_b32_sdwa v7, v8, s85 dst_sel:DWORD dst_unused:UNUSED_PAD src0_sel:BYTE_3 src1_sel:DWORD
; %bb.6819:                             ;   in Loop: Header=BB2_6217 Depth=3
	s_or_b64 exec, exec, s[40:41]
	v_lshrrev_b16_e32 v8, 8, v48
	v_cmp_ne_u16_e32 vcc, 0, v8
	v_mov_b32_e32 v22, 0
	s_and_saveexec_b64 s[40:41], vcc
	s_cbranch_execz .LBB2_6825
; %bb.6820:                             ;   in Loop: Header=BB2_6217 Depth=3
	v_cmp_ne_u16_e32 vcc, s87, v8
	v_bfrev_b32_e32 v22, 1
	s_and_saveexec_b64 s[34:35], vcc
	s_cbranch_execz .LBB2_6824
; %bb.6821:                             ;   in Loop: Header=BB2_6217 Depth=3
	v_and_b32_e32 v9, 0x7f, v8
	v_cmp_ne_u32_e32 vcc, s85, v9
	v_mov_b32_e32 v22, 0x7f800001
	s_and_saveexec_b64 s[36:37], vcc
	s_cbranch_execz .LBB2_6823
; %bb.6822:                             ;   in Loop: Header=BB2_6217 Depth=3
	v_and_b32_e32 v22, 7, v8
	v_lshrrev_b32_e32 v35, 3, v9
	v_cmp_gt_u32_e32 vcc, 8, v9
	v_ffbh_u32_e32 v9, v22
	v_min_u32_e32 v49, 32, v9
	v_subrev_u32_e32 v9, 28, v49
	v_lshlrev_b64 v[8:9], v9, v[8:9]
	v_sub_u32_e32 v9, 29, v49
	v_and_b32_e32 v8, 7, v8
	v_cndmask_b32_e32 v9, v35, v9, vcc
	v_cndmask_b32_e32 v8, v22, v8, vcc
	v_lshlrev_b32_e32 v22, 16, v48
	v_lshlrev_b32_e32 v8, 20, v8
	v_and_b32_e32 v22, 0x80000000, v22
	v_lshl_add_u32 v9, v9, 23, v17
	v_or3_b32 v22, v22, v9, v8
.LBB2_6823:                             ;   in Loop: Header=BB2_6217 Depth=3
	s_or_b64 exec, exec, s[36:37]
.LBB2_6824:                             ;   in Loop: Header=BB2_6217 Depth=3
	s_or_b64 exec, exec, s[34:35]
.LBB2_6825:                             ;   in Loop: Header=BB2_6217 Depth=3
	s_or_b64 exec, exec, s[40:41]
	v_lshrrev_b16_e32 v8, 8, v10
	v_cmp_lt_i16_e32 vcc, s85, v8
	s_mov_b64 s[40:41], 0
	s_and_saveexec_b64 s[34:35], vcc
	s_xor_b64 s[34:35], exec, s[34:35]
	s_cbranch_execz .LBB2_7017
; %bb.6826:                             ;   in Loop: Header=BB2_6217 Depth=3
	v_cmp_eq_u16_e32 vcc, s87, v8
	s_mov_b64 s[40:41], -1
	s_and_saveexec_b64 s[36:37], vcc
; %bb.6827:                             ;   in Loop: Header=BB2_6217 Depth=3
	s_xor_b64 s[40:41], exec, -1
; %bb.6828:                             ;   in Loop: Header=BB2_6217 Depth=3
	s_or_b64 exec, exec, s[36:37]
	s_and_b64 s[40:41], s[40:41], exec
	s_or_saveexec_b64 s[34:35], s[34:35]
	v_bfrev_b32_e32 v9, 1
	s_xor_b64 exec, exec, s[34:35]
	s_cbranch_execnz .LBB2_7018
.LBB2_6829:                             ;   in Loop: Header=BB2_6217 Depth=3
	s_or_b64 exec, exec, s[34:35]
	s_and_saveexec_b64 s[34:35], s[40:41]
	s_cbranch_execz .LBB2_6831
.LBB2_6830:                             ;   in Loop: Header=BB2_6217 Depth=3
	v_and_b32_e32 v35, 7, v8
	v_ffbh_u32_e32 v48, v35
	v_min_u32_e32 v53, 32, v48
	v_mov_b32_e32 v9, v29
	v_subrev_u32_e32 v48, 28, v53
	v_lshlrev_b64 v[48:49], v48, v[8:9]
	v_and_b32_e32 v51, 0x7f, v8
	v_bfe_u32 v52, v8, 3, 4
	v_sub_u32_e32 v9, 29, v53
	v_and_b32_e32 v48, 7, v48
	v_cmp_gt_u32_e32 vcc, 8, v51
	v_cndmask_b32_e32 v9, v52, v9, vcc
	v_cndmask_b32_e32 v35, v35, v48, vcc
	v_lshlrev_b32_e32 v8, 24, v8
	v_lshlrev_b32_e32 v35, 20, v35
	v_and_b32_e32 v8, 0x80000000, v8
	v_lshl_add_u32 v9, v9, 23, v17
	v_or3_b32 v8, v8, v9, v35
	v_cmp_ne_u32_e32 vcc, s85, v51
	v_cndmask_b32_e32 v9, v4, v8, vcc
.LBB2_6831:                             ;   in Loop: Header=BB2_6217 Depth=3
	s_or_b64 exec, exec, s[34:35]
	v_add_f32_e32 v8, v22, v9
	v_and_b32_e32 v48, 0x7f800000, v8
	v_mov_b32_e32 v49, v29
	v_cmp_ne_u64_e32 vcc, s[76:77], v[48:49]
                                        ; implicit-def: $vgpr22
	s_and_saveexec_b64 s[40:41], vcc
	s_xor_b64 s[34:35], exec, s[40:41]
	s_cbranch_execz .LBB2_6845
; %bb.6832:                             ;   in Loop: Header=BB2_6217 Depth=3
	v_and_b32_e32 v48, 0x7fffffff, v8
	v_mov_b32_e32 v49, v29
	v_cmp_gt_u64_e32 vcc, s[78:79], v[48:49]
	v_and_b32_sdwa v48, v8, s87 dst_sel:DWORD dst_unused:UNUSED_PAD src0_sel:BYTE_3 src1_sel:DWORD
                                        ; implicit-def: $vgpr22
	s_and_saveexec_b64 s[40:41], vcc
	s_xor_b64 s[36:37], exec, s[40:41]
	s_cbranch_execz .LBB2_6842
; %bb.6833:                             ;   in Loop: Header=BB2_6217 Depth=3
	v_mov_b32_e32 v22, 0
	v_cmp_ne_u32_e32 vcc, 0, v8
	s_and_saveexec_b64 s[38:39], vcc
	s_cbranch_execz .LBB2_6841
; %bb.6834:                             ;   in Loop: Header=BB2_6217 Depth=3
	v_bfe_u32 v22, v8, 23, 8
	v_and_b32_e32 v9, 0x7fffff, v8
	v_cmp_gt_u32_e64 s[40:41], s96, v22
	v_sub_u32_e32 v8, 0x79, v22
	v_cmp_eq_u32_e32 vcc, 0, v22
	v_cndmask_b32_e64 v8, 0, v8, s[40:41]
	v_or_b32_e32 v35, 0x800000, v9
	v_cndmask_b32_e32 v49, v8, v36, vcc
	v_cndmask_b32_e32 v8, v35, v9, vcc
	v_add_u32_e32 v35, 20, v49
	v_lshlrev_b64 v[51:52], v35, -1
	v_mov_b32_e32 v9, v29
	v_add_u32_e32 v35, 19, v49
	v_bfi_b32 v51, v51, 0, v8
	v_lshlrev_b64 v[53:54], v35, 1
	v_lshrrev_b64 v[8:9], v49, v[8:9]
	v_bfi_b32 v52, v52, 0, 0
	v_cmp_eq_u64_e64 s[40:41], v[51:52], v[53:54]
	v_mov_b32_e32 v47, v9
	v_mov_b32_e32 v46, v8
	s_and_saveexec_b64 s[48:49], s[40:41]
; %bb.6835:                             ;   in Loop: Header=BB2_6217 Depth=3
	v_bfe_u32 v9, v8, 20, 1
	v_add_co_u32_e64 v9, s[40:41], v8, v9
	v_add_co_u32_e64 v46, s[40:41], -1, v9
; %bb.6836:                             ;   in Loop: Header=BB2_6217 Depth=3
	s_or_b64 exec, exec, s[48:49]
	v_add_u32_e32 v9, 0xffffff81, v22
	v_cndmask_b32_e32 v9, v9, v37, vcc
	v_lshrrev_b32_e32 v22, 23, v8
	v_add3_u32 v51, v49, v9, v22
	v_add_u32_e32 v49, 6, v51
	v_and_b32_e32 v9, 0xfffff, v46
	v_add_u32_e32 v8, v9, v8
	v_mov_b32_e32 v9, v29
	v_cmp_ne_u32_e32 vcc, 0, v49
                                        ; implicit-def: $vgpr22
	s_and_saveexec_b64 s[40:41], vcc
	s_xor_b64 s[40:41], exec, s[40:41]
; %bb.6837:                             ;   in Loop: Header=BB2_6217 Depth=3
	v_cmp_lt_u64_e32 vcc, s[88:89], v[8:9]
	v_add_u32_e32 v22, 7, v51
	v_cndmask_b32_e64 v35, 0, 1, vcc
	v_cndmask_b32_e32 v22, v49, v22, vcc
	v_lshrrev_b64 v[8:9], v35, v[8:9]
; %bb.6838:                             ;   in Loop: Header=BB2_6217 Depth=3
	s_andn2_saveexec_b64 s[40:41], s[40:41]
; %bb.6839:                             ;   in Loop: Header=BB2_6217 Depth=3
	v_bfe_u32 v22, v8, 23, 1
; %bb.6840:                             ;   in Loop: Header=BB2_6217 Depth=3
	s_or_b64 exec, exec, s[40:41]
	v_lshrrev_b64 v[8:9], 20, v[8:9]
	v_cmp_gt_i32_e32 vcc, 16, v22
	v_cndmask_b32_e32 v9, 0, v9, vcc
	v_cndmask_b32_e32 v8, 7, v8, vcc
	v_cmp_eq_u64_e64 s[40:41], 0, v[8:9]
	v_min_i32_e32 v9, 15, v22
	v_lshlrev_b32_e32 v9, 3, v9
	v_cmp_eq_u32_e32 vcc, 0, v22
	v_and_b32_e32 v9, 0xf8, v9
	v_and_or_b32 v8, v8, 7, v9
	s_and_b64 s[40:41], vcc, s[40:41]
	v_cndmask_b32_e64 v8, v8, 0, s[40:41]
	v_or_b32_e32 v22, v8, v48
.LBB2_6841:                             ;   in Loop: Header=BB2_6217 Depth=3
	s_or_b64 exec, exec, s[38:39]
                                        ; implicit-def: $vgpr48
.LBB2_6842:                             ;   in Loop: Header=BB2_6217 Depth=3
	s_andn2_saveexec_b64 s[40:41], s[36:37]
; %bb.6843:                             ;   in Loop: Header=BB2_6217 Depth=3
	v_or_b32_e32 v22, 0x7e, v48
; %bb.6844:                             ;   in Loop: Header=BB2_6217 Depth=3
	s_or_b64 exec, exec, s[40:41]
                                        ; implicit-def: $vgpr8
.LBB2_6845:                             ;   in Loop: Header=BB2_6217 Depth=3
	s_andn2_saveexec_b64 s[40:41], s[34:35]
; %bb.6846:                             ;   in Loop: Header=BB2_6217 Depth=3
	v_or_b32_sdwa v22, v8, s85 dst_sel:DWORD dst_unused:UNUSED_PAD src0_sel:BYTE_3 src1_sel:DWORD
; %bb.6847:                             ;   in Loop: Header=BB2_6217 Depth=3
	s_or_b64 exec, exec, s[40:41]
	v_lshrrev_b32_e32 v8, 16, v28
	v_cmp_ne_u16_sdwa vcc, v8, v29 src0_sel:BYTE_0 src1_sel:DWORD
	v_mov_b32_e32 v9, 0
	s_and_saveexec_b64 s[40:41], vcc
	s_cbranch_execz .LBB2_6853
; %bb.6848:                             ;   in Loop: Header=BB2_6217 Depth=3
	v_cmp_ne_u16_sdwa vcc, v8, s87 src0_sel:BYTE_0 src1_sel:DWORD
	v_bfrev_b32_e32 v9, 1
	s_and_saveexec_b64 s[34:35], vcc
	s_cbranch_execz .LBB2_6852
; %bb.6849:                             ;   in Loop: Header=BB2_6217 Depth=3
	v_bfe_u32 v48, v28, 16, 7
	v_cmp_ne_u32_e32 vcc, s85, v48
	v_mov_b32_e32 v9, 0x7f800001
	s_and_saveexec_b64 s[36:37], vcc
	s_cbranch_execz .LBB2_6851
; %bb.6850:                             ;   in Loop: Header=BB2_6217 Depth=3
	v_and_b32_e32 v9, 7, v8
	v_lshrrev_b32_e32 v35, 3, v48
	v_cmp_gt_u32_e32 vcc, 8, v48
	v_ffbh_u32_e32 v48, v9
	v_min_u32_e32 v51, 32, v48
	v_subrev_u32_e32 v48, 28, v51
	v_lshlrev_b64 v[48:49], v48, v[8:9]
	v_sub_u32_e32 v49, 29, v51
	v_and_b32_e32 v48, 7, v48
	v_cndmask_b32_e32 v35, v35, v49, vcc
	v_cndmask_b32_e32 v9, v9, v48, vcc
	v_lshlrev_b32_e32 v8, 24, v8
	v_lshlrev_b32_e32 v9, 20, v9
	v_and_b32_e32 v8, 0x80000000, v8
	v_lshl_add_u32 v35, v35, 23, v17
	v_or3_b32 v9, v8, v35, v9
.LBB2_6851:                             ;   in Loop: Header=BB2_6217 Depth=3
	s_or_b64 exec, exec, s[36:37]
.LBB2_6852:                             ;   in Loop: Header=BB2_6217 Depth=3
	s_or_b64 exec, exec, s[34:35]
.LBB2_6853:                             ;   in Loop: Header=BB2_6217 Depth=3
	s_or_b64 exec, exec, s[40:41]
	v_lshrrev_b32_e32 v8, 16, v10
	v_cmp_gt_i16_sdwa vcc, v8, s85 src0_sel:BYTE_0 src1_sel:DWORD
	s_mov_b64 s[40:41], 0
	s_and_saveexec_b64 s[34:35], vcc
	s_xor_b64 vcc, exec, s[34:35]
	s_cbranch_execz .LBB2_7019
; %bb.6854:                             ;   in Loop: Header=BB2_6217 Depth=3
	v_cmp_eq_u16_sdwa s[36:37], v8, s87 src0_sel:BYTE_0 src1_sel:DWORD
	s_mov_b64 s[40:41], -1
	s_and_saveexec_b64 s[34:35], s[36:37]
; %bb.6855:                             ;   in Loop: Header=BB2_6217 Depth=3
	s_xor_b64 s[40:41], exec, -1
; %bb.6856:                             ;   in Loop: Header=BB2_6217 Depth=3
	s_or_b64 exec, exec, s[34:35]
	s_and_b64 s[40:41], s[40:41], exec
	s_or_saveexec_b64 vcc, vcc
	v_bfrev_b32_e32 v48, 1
	s_xor_b64 exec, exec, vcc
	s_cbranch_execnz .LBB2_7020
.LBB2_6857:                             ;   in Loop: Header=BB2_6217 Depth=3
	s_or_b64 exec, exec, vcc
	s_and_saveexec_b64 s[34:35], s[40:41]
	s_cbranch_execz .LBB2_6859
.LBB2_6858:                             ;   in Loop: Header=BB2_6217 Depth=3
	v_and_b32_e32 v35, 7, v8
	v_ffbh_u32_e32 v48, v35
	v_min_u32_e32 v53, 32, v48
	v_subrev_u32_e32 v48, 28, v53
	v_lshlrev_b64 v[48:49], v48, v[8:9]
	v_and_b32_e32 v51, 0x7f, v8
	v_bfe_u32 v52, v8, 3, 4
	v_sub_u32_e32 v49, 29, v53
	v_and_b32_e32 v48, 7, v48
	v_cmp_gt_u32_e32 vcc, 8, v51
	v_cndmask_b32_e32 v49, v52, v49, vcc
	v_cndmask_b32_e32 v35, v35, v48, vcc
	v_lshlrev_b32_e32 v8, 24, v8
	v_lshlrev_b32_e32 v35, 20, v35
	v_and_b32_e32 v8, 0x80000000, v8
	v_lshl_add_u32 v48, v49, 23, v17
	v_or3_b32 v8, v8, v48, v35
	v_cmp_ne_u32_e32 vcc, s85, v51
	v_cndmask_b32_e32 v48, v4, v8, vcc
.LBB2_6859:                             ;   in Loop: Header=BB2_6217 Depth=3
	s_or_b64 exec, exec, s[34:35]
	v_add_f32_e32 v8, v9, v48
	v_and_b32_e32 v48, 0x7f800000, v8
	v_mov_b32_e32 v49, v29
	v_cmp_ne_u64_e32 vcc, s[76:77], v[48:49]
                                        ; implicit-def: $vgpr48
	s_and_saveexec_b64 s[40:41], vcc
	s_xor_b64 s[34:35], exec, s[40:41]
	s_cbranch_execz .LBB2_6873
; %bb.6860:                             ;   in Loop: Header=BB2_6217 Depth=3
	v_and_b32_e32 v48, 0x7fffffff, v8
	v_mov_b32_e32 v49, v29
	v_cmp_gt_u64_e32 vcc, s[78:79], v[48:49]
	v_and_b32_sdwa v49, v8, s87 dst_sel:DWORD dst_unused:UNUSED_PAD src0_sel:BYTE_3 src1_sel:DWORD
                                        ; implicit-def: $vgpr48
	s_and_saveexec_b64 s[40:41], vcc
	s_xor_b64 s[36:37], exec, s[40:41]
	s_cbranch_execz .LBB2_6870
; %bb.6861:                             ;   in Loop: Header=BB2_6217 Depth=3
	v_mov_b32_e32 v48, 0
	v_cmp_ne_u32_e32 vcc, 0, v8
	s_and_saveexec_b64 s[38:39], vcc
	s_cbranch_execz .LBB2_6869
; %bb.6862:                             ;   in Loop: Header=BB2_6217 Depth=3
	v_bfe_u32 v48, v8, 23, 8
	v_and_b32_e32 v9, 0x7fffff, v8
	v_cmp_gt_u32_e64 s[40:41], s96, v48
	v_sub_u32_e32 v8, 0x79, v48
	v_cmp_eq_u32_e32 vcc, 0, v48
	v_cndmask_b32_e64 v8, 0, v8, s[40:41]
	v_or_b32_e32 v35, 0x800000, v9
	v_cndmask_b32_e32 v51, v8, v36, vcc
	v_cndmask_b32_e32 v8, v35, v9, vcc
	v_add_u32_e32 v35, 20, v51
	v_lshlrev_b64 v[52:53], v35, -1
	v_mov_b32_e32 v9, v29
	v_add_u32_e32 v35, 19, v51
	v_bfi_b32 v52, v52, 0, v8
	v_lshlrev_b64 v[54:55], v35, 1
	v_lshrrev_b64 v[8:9], v51, v[8:9]
	v_bfi_b32 v53, v53, 0, 0
	v_cmp_eq_u64_e64 s[40:41], v[52:53], v[54:55]
	v_mov_b32_e32 v47, v9
	v_mov_b32_e32 v46, v8
	s_and_saveexec_b64 s[48:49], s[40:41]
; %bb.6863:                             ;   in Loop: Header=BB2_6217 Depth=3
	v_bfe_u32 v9, v8, 20, 1
	v_add_co_u32_e64 v9, s[40:41], v8, v9
	v_add_co_u32_e64 v46, s[40:41], -1, v9
; %bb.6864:                             ;   in Loop: Header=BB2_6217 Depth=3
	s_or_b64 exec, exec, s[48:49]
	v_add_u32_e32 v9, 0xffffff81, v48
	v_cndmask_b32_e32 v9, v9, v37, vcc
	v_lshrrev_b32_e32 v35, 23, v8
	v_add3_u32 v52, v51, v9, v35
	v_add_u32_e32 v51, 6, v52
	v_and_b32_e32 v9, 0xfffff, v46
	v_add_u32_e32 v8, v9, v8
	v_mov_b32_e32 v9, v29
	v_cmp_ne_u32_e32 vcc, 0, v51
                                        ; implicit-def: $vgpr48
	s_and_saveexec_b64 s[40:41], vcc
	s_xor_b64 s[40:41], exec, s[40:41]
; %bb.6865:                             ;   in Loop: Header=BB2_6217 Depth=3
	v_cmp_lt_u64_e32 vcc, s[88:89], v[8:9]
	v_add_u32_e32 v35, 7, v52
	v_cndmask_b32_e32 v48, v51, v35, vcc
	v_cndmask_b32_e64 v35, 0, 1, vcc
	v_lshrrev_b64 v[8:9], v35, v[8:9]
; %bb.6866:                             ;   in Loop: Header=BB2_6217 Depth=3
	s_andn2_saveexec_b64 s[40:41], s[40:41]
; %bb.6867:                             ;   in Loop: Header=BB2_6217 Depth=3
	v_bfe_u32 v48, v8, 23, 1
; %bb.6868:                             ;   in Loop: Header=BB2_6217 Depth=3
	s_or_b64 exec, exec, s[40:41]
	v_lshrrev_b64 v[8:9], 20, v[8:9]
	v_cmp_gt_i32_e32 vcc, 16, v48
	v_cndmask_b32_e32 v9, 0, v9, vcc
	v_cndmask_b32_e32 v8, 7, v8, vcc
	v_cmp_eq_u64_e64 s[40:41], 0, v[8:9]
	v_min_i32_e32 v9, 15, v48
	v_lshlrev_b32_e32 v9, 3, v9
	v_cmp_eq_u32_e32 vcc, 0, v48
	v_and_b32_e32 v9, 0xf8, v9
	v_and_or_b32 v8, v8, 7, v9
	s_and_b64 s[40:41], vcc, s[40:41]
	v_cndmask_b32_e64 v8, v8, 0, s[40:41]
	v_or_b32_e32 v48, v8, v49
.LBB2_6869:                             ;   in Loop: Header=BB2_6217 Depth=3
	s_or_b64 exec, exec, s[38:39]
                                        ; implicit-def: $vgpr49
.LBB2_6870:                             ;   in Loop: Header=BB2_6217 Depth=3
	s_andn2_saveexec_b64 s[40:41], s[36:37]
; %bb.6871:                             ;   in Loop: Header=BB2_6217 Depth=3
	v_or_b32_e32 v48, 0x7e, v49
; %bb.6872:                             ;   in Loop: Header=BB2_6217 Depth=3
	s_or_b64 exec, exec, s[40:41]
                                        ; implicit-def: $vgpr8
.LBB2_6873:                             ;   in Loop: Header=BB2_6217 Depth=3
	s_andn2_saveexec_b64 s[40:41], s[34:35]
; %bb.6874:                             ;   in Loop: Header=BB2_6217 Depth=3
	v_or_b32_sdwa v48, v8, s85 dst_sel:DWORD dst_unused:UNUSED_PAD src0_sel:BYTE_3 src1_sel:DWORD
; %bb.6875:                             ;   in Loop: Header=BB2_6217 Depth=3
	s_or_b64 exec, exec, s[40:41]
	v_cmp_lt_u32_e32 vcc, s57, v28
	v_mov_b32_e32 v9, 0
	s_and_saveexec_b64 s[40:41], vcc
	s_cbranch_execz .LBB2_6881
; %bb.6876:                             ;   in Loop: Header=BB2_6217 Depth=3
	v_lshrrev_b32_e32 v8, 24, v28
	v_cmp_ne_u32_sdwa vcc, v28, s87 src0_sel:BYTE_3 src1_sel:DWORD
	v_bfrev_b32_e32 v9, 1
	s_and_saveexec_b64 s[34:35], vcc
	s_cbranch_execz .LBB2_6880
; %bb.6877:                             ;   in Loop: Header=BB2_6217 Depth=3
	v_bfe_u32 v49, v28, 24, 7
	v_cmp_ne_u32_e32 vcc, s85, v49
	v_mov_b32_e32 v9, 0x7f800001
	s_and_saveexec_b64 s[36:37], vcc
	s_cbranch_execz .LBB2_6879
; %bb.6878:                             ;   in Loop: Header=BB2_6217 Depth=3
	v_and_b32_e32 v35, 7, v8
	v_ffbh_u32_e32 v9, v35
	v_lshrrev_b32_e32 v51, 3, v49
	v_cmp_gt_u32_e32 vcc, 8, v49
	v_min_u32_e32 v49, 32, v9
	v_subrev_u32_e32 v9, 28, v49
	v_lshlrev_b64 v[8:9], v9, v[8:9]
	v_sub_u32_e32 v9, 29, v49
	v_and_b32_e32 v8, 7, v8
	v_cndmask_b32_e32 v8, v35, v8, vcc
	v_mov_b32_e32 v35, 24
	v_cndmask_b32_e32 v9, v51, v9, vcc
	v_lshlrev_b32_sdwa v28, v35, v28 dst_sel:DWORD dst_unused:UNUSED_PAD src0_sel:DWORD src1_sel:BYTE_3
	v_lshlrev_b32_e32 v8, 20, v8
	v_and_b32_e32 v28, 0x80000000, v28
	v_lshl_add_u32 v9, v9, 23, v17
	v_or3_b32 v9, v28, v9, v8
.LBB2_6879:                             ;   in Loop: Header=BB2_6217 Depth=3
	s_or_b64 exec, exec, s[36:37]
.LBB2_6880:                             ;   in Loop: Header=BB2_6217 Depth=3
	s_or_b64 exec, exec, s[34:35]
.LBB2_6881:                             ;   in Loop: Header=BB2_6217 Depth=3
	s_or_b64 exec, exec, s[40:41]
	v_bfe_u32 v28, v10, 24, 3
	v_ffbh_u32_e32 v51, v28
	v_min_u32_e32 v53, 32, v51
	v_lshrrev_b32_e32 v8, 24, v10
	v_subrev_u32_e32 v51, 28, v53
	v_lshlrev_b64 v[51:52], v51, v[8:9]
	v_bfe_u32 v35, v10, 24, 7
	v_bfe_u32 v49, v8, 3, 4
	v_sub_u32_e32 v52, 29, v53
	v_and_b32_e32 v51, 7, v51
	v_cmp_gt_u32_e32 vcc, 8, v35
	v_cndmask_b32_e32 v49, v49, v52, vcc
	v_cndmask_b32_e32 v28, v28, v51, vcc
	v_lshlrev_b32_e32 v28, 20, v28
	v_and_b32_e32 v51, 0x80000000, v10
	v_lshl_add_u32 v49, v49, 23, v17
	v_or3_b32 v28, v51, v49, v28
	v_cmp_ne_u32_e32 vcc, s85, v35
	v_cndmask_b32_e32 v28, v4, v28, vcc
	v_cmp_ne_u32_e32 vcc, s87, v8
	v_bfrev_b32_e32 v8, 1
	v_cndmask_b32_e32 v8, v8, v28, vcc
	v_cmp_lt_u32_e32 vcc, s57, v10
	v_cndmask_b32_e32 v8, 0, v8, vcc
	v_add_f32_e32 v8, v8, v9
	v_and_b32_e32 v28, 0x7f800000, v8
	v_cmp_ne_u64_e32 vcc, s[76:77], v[28:29]
                                        ; implicit-def: $vgpr49
	s_and_saveexec_b64 s[40:41], vcc
	s_xor_b64 s[34:35], exec, s[40:41]
	s_cbranch_execz .LBB2_6895
; %bb.6882:                             ;   in Loop: Header=BB2_6217 Depth=3
	v_and_b32_e32 v28, 0x7fffffff, v8
	v_cmp_gt_u64_e32 vcc, s[78:79], v[28:29]
	v_and_b32_sdwa v51, v8, s87 dst_sel:DWORD dst_unused:UNUSED_PAD src0_sel:BYTE_3 src1_sel:DWORD
                                        ; implicit-def: $vgpr49
	s_and_saveexec_b64 s[40:41], vcc
	s_xor_b64 s[36:37], exec, s[40:41]
	s_cbranch_execz .LBB2_6892
; %bb.6883:                             ;   in Loop: Header=BB2_6217 Depth=3
	v_mov_b32_e32 v49, 0
	v_cmp_ne_u32_e32 vcc, 0, v8
	s_and_saveexec_b64 s[38:39], vcc
	s_cbranch_execz .LBB2_6891
; %bb.6884:                             ;   in Loop: Header=BB2_6217 Depth=3
	v_bfe_u32 v49, v8, 23, 8
	v_and_b32_e32 v9, 0x7fffff, v8
	v_cmp_gt_u32_e64 s[40:41], s96, v49
	v_sub_u32_e32 v8, 0x79, v49
	v_cmp_eq_u32_e32 vcc, 0, v49
	v_cndmask_b32_e64 v8, 0, v8, s[40:41]
	v_cndmask_b32_e32 v52, v8, v36, vcc
	v_or_b32_e32 v28, 0x800000, v9
	v_add_u32_e32 v8, 20, v52
	v_cndmask_b32_e32 v28, v28, v9, vcc
	v_lshlrev_b64 v[8:9], v8, -1
	v_add_u32_e32 v35, 19, v52
	v_lshlrev_b64 v[53:54], v35, 1
	v_bfi_b32 v9, v9, 0, 0
	v_bfi_b32 v8, v8, 0, v28
	v_cmp_eq_u64_e64 s[40:41], v[8:9], v[53:54]
	v_lshrrev_b64 v[8:9], v52, v[28:29]
	v_mov_b32_e32 v47, v9
	v_mov_b32_e32 v46, v8
	s_and_saveexec_b64 s[48:49], s[40:41]
; %bb.6885:                             ;   in Loop: Header=BB2_6217 Depth=3
	v_bfe_u32 v9, v8, 20, 1
	v_add_co_u32_e64 v9, s[40:41], v8, v9
	v_add_co_u32_e64 v46, s[40:41], -1, v9
; %bb.6886:                             ;   in Loop: Header=BB2_6217 Depth=3
	s_or_b64 exec, exec, s[48:49]
	v_add_u32_e32 v9, 0xffffff81, v49
	v_cndmask_b32_e32 v9, v9, v37, vcc
	v_lshrrev_b32_e32 v28, 23, v8
	v_add3_u32 v55, v52, v9, v28
	v_add_u32_e32 v52, 6, v55
	v_and_b32_e32 v9, 0xfffff, v46
	v_add_u32_e32 v28, v9, v8
	v_cmp_ne_u32_e32 vcc, 0, v52
                                        ; implicit-def: $vgpr8_vgpr9
                                        ; implicit-def: $vgpr49
	s_and_saveexec_b64 s[40:41], vcc
	s_xor_b64 s[40:41], exec, s[40:41]
; %bb.6887:                             ;   in Loop: Header=BB2_6217 Depth=3
	v_cmp_lt_u64_e32 vcc, s[88:89], v[28:29]
	v_add_u32_e32 v8, 7, v55
	v_cndmask_b32_e32 v49, v52, v8, vcc
	v_cndmask_b32_e64 v8, 0, 1, vcc
	v_lshrrev_b64 v[8:9], v8, v[28:29]
; %bb.6888:                             ;   in Loop: Header=BB2_6217 Depth=3
	s_andn2_saveexec_b64 s[40:41], s[40:41]
; %bb.6889:                             ;   in Loop: Header=BB2_6217 Depth=3
	v_mov_b32_e32 v8, v28
	v_bfe_u32 v49, v28, 23, 1
	v_mov_b32_e32 v9, v29
; %bb.6890:                             ;   in Loop: Header=BB2_6217 Depth=3
	s_or_b64 exec, exec, s[40:41]
	v_lshrrev_b64 v[8:9], 20, v[8:9]
	v_cmp_gt_i32_e32 vcc, 16, v49
	v_cndmask_b32_e32 v9, 0, v9, vcc
	v_cndmask_b32_e32 v8, 7, v8, vcc
	v_cmp_eq_u64_e64 s[40:41], 0, v[8:9]
	v_min_i32_e32 v9, 15, v49
	v_lshlrev_b32_e32 v9, 3, v9
	v_cmp_eq_u32_e32 vcc, 0, v49
	v_and_b32_e32 v9, 0xf8, v9
	v_and_or_b32 v8, v8, 7, v9
	s_and_b64 s[40:41], vcc, s[40:41]
	v_cndmask_b32_e64 v8, v8, 0, s[40:41]
	v_or_b32_e32 v49, v8, v51
.LBB2_6891:                             ;   in Loop: Header=BB2_6217 Depth=3
	s_or_b64 exec, exec, s[38:39]
                                        ; implicit-def: $vgpr51
.LBB2_6892:                             ;   in Loop: Header=BB2_6217 Depth=3
	s_andn2_saveexec_b64 s[40:41], s[36:37]
; %bb.6893:                             ;   in Loop: Header=BB2_6217 Depth=3
	v_or_b32_e32 v49, 0x7e, v51
; %bb.6894:                             ;   in Loop: Header=BB2_6217 Depth=3
	s_or_b64 exec, exec, s[40:41]
                                        ; implicit-def: $vgpr8
.LBB2_6895:                             ;   in Loop: Header=BB2_6217 Depth=3
	s_andn2_saveexec_b64 s[40:41], s[34:35]
; %bb.6896:                             ;   in Loop: Header=BB2_6217 Depth=3
	v_or_b32_sdwa v49, v8, s85 dst_sel:DWORD dst_unused:UNUSED_PAD src0_sel:BYTE_3 src1_sel:DWORD
; %bb.6897:                             ;   in Loop: Header=BB2_6217 Depth=3
	s_or_b64 exec, exec, s[40:41]
	v_lshlrev_b32_e32 v3, 24, v3
	v_lshlrev_b32_e32 v8, 16, v5
	v_lshl_or_b32 v5, v16, 8, v25
	v_or3_b32 v28, v8, v3, v5
	v_cmp_ne_u32_e32 vcc, 0, v25
	v_mov_b32_e32 v3, 0
	s_and_saveexec_b64 s[40:41], vcc
	s_cbranch_execz .LBB2_6903
; %bb.6898:                             ;   in Loop: Header=BB2_6217 Depth=3
	v_cmp_ne_u32_e32 vcc, s87, v25
	v_bfrev_b32_e32 v3, 1
	s_and_saveexec_b64 s[34:35], vcc
	s_cbranch_execz .LBB2_6902
; %bb.6899:                             ;   in Loop: Header=BB2_6217 Depth=3
	v_and_b32_e32 v8, 0x7f, v25
	v_cmp_ne_u32_e32 vcc, s85, v8
	v_mov_b32_e32 v3, 0x7f800001
	s_and_saveexec_b64 s[36:37], vcc
	s_cbranch_execz .LBB2_6901
; %bb.6900:                             ;   in Loop: Header=BB2_6217 Depth=3
	v_and_b32_e32 v3, 7, v25
	v_ffbh_u32_e32 v3, v3
	v_min_u32_e32 v3, 32, v3
	v_lshrrev_b32_e32 v9, 3, v8
	v_cmp_gt_u32_e32 vcc, 8, v8
	v_subrev_u32_e32 v8, 28, v3
	v_sub_u32_e32 v3, 29, v3
	v_cndmask_b32_e32 v8, 0, v8, vcc
	v_cndmask_b32_e32 v3, v9, v3, vcc
	v_lshlrev_b64 v[8:9], v8, v[28:29]
	v_lshlrev_b32_e32 v9, 24, v28
	v_lshlrev_b32_e32 v8, 20, v8
	v_and_b32_e32 v8, 0x700000, v8
	v_and_b32_e32 v9, 0x80000000, v9
	v_lshl_add_u32 v3, v3, 23, v17
	v_or3_b32 v3, v9, v3, v8
.LBB2_6901:                             ;   in Loop: Header=BB2_6217 Depth=3
	s_or_b64 exec, exec, s[36:37]
.LBB2_6902:                             ;   in Loop: Header=BB2_6217 Depth=3
	s_or_b64 exec, exec, s[34:35]
.LBB2_6903:                             ;   in Loop: Header=BB2_6217 Depth=3
	s_or_b64 exec, exec, s[40:41]
	v_cmp_gt_i16_sdwa vcc, v11, s85 src0_sel:BYTE_0 src1_sel:DWORD
	s_mov_b64 s[40:41], 0
	s_and_saveexec_b64 s[34:35], vcc
	s_xor_b64 vcc, exec, s[34:35]
	s_cbranch_execz .LBB2_6907
; %bb.6904:                             ;   in Loop: Header=BB2_6217 Depth=3
	v_cmp_eq_u16_sdwa s[36:37], v11, s87 src0_sel:BYTE_0 src1_sel:DWORD
	s_mov_b64 s[40:41], -1
	s_and_saveexec_b64 s[34:35], s[36:37]
; %bb.6905:                             ;   in Loop: Header=BB2_6217 Depth=3
	s_xor_b64 s[40:41], exec, -1
; %bb.6906:                             ;   in Loop: Header=BB2_6217 Depth=3
	s_or_b64 exec, exec, s[34:35]
	s_and_b64 s[40:41], s[40:41], exec
.LBB2_6907:                             ;   in Loop: Header=BB2_6217 Depth=3
	s_or_saveexec_b64 vcc, vcc
	v_bfrev_b32_e32 v16, 1
	s_xor_b64 exec, exec, vcc
; %bb.6908:                             ;   in Loop: Header=BB2_6217 Depth=3
	v_cmp_ne_u16_sdwa s[34:35], v11, v29 src0_sel:BYTE_0 src1_sel:DWORD
	s_andn2_b64 s[40:41], s[40:41], exec
	s_and_b64 s[34:35], s[34:35], exec
	v_mov_b32_e32 v16, 0
	s_or_b64 s[40:41], s[40:41], s[34:35]
; %bb.6909:                             ;   in Loop: Header=BB2_6217 Depth=3
	s_or_b64 exec, exec, vcc
	v_mov_b32_e32 v8, v11
	v_mov_b32_e32 v9, v29
	s_and_saveexec_b64 s[34:35], s[40:41]
	s_cbranch_execz .LBB2_6911
; %bb.6910:                             ;   in Loop: Header=BB2_6217 Depth=3
	v_and_b32_e32 v16, 7, v11
	v_ffbh_u32_e32 v16, v16
	v_and_b32_e32 v25, 0x7f, v11
	v_min_u32_e32 v16, 32, v16
	v_bfe_u32 v35, v11, 3, 4
	v_subrev_u32_e32 v51, 28, v16
	v_sub_u32_e32 v16, 29, v16
	v_cmp_gt_u32_e32 vcc, 8, v25
	v_cndmask_b32_e32 v16, v35, v16, vcc
	v_cndmask_b32_e32 v35, 0, v51, vcc
	v_lshlrev_b64 v[51:52], v35, v[8:9]
	v_lshlrev_b32_e32 v35, 24, v8
	v_lshlrev_b32_e32 v9, 20, v51
	v_and_b32_e32 v9, 0x700000, v9
	v_and_b32_e32 v35, 0x80000000, v35
	v_lshl_add_u32 v16, v16, 23, v17
	v_or3_b32 v9, v35, v16, v9
	v_cmp_ne_u32_e32 vcc, s85, v25
	v_cndmask_b32_e32 v16, v4, v9, vcc
.LBB2_6911:                             ;   in Loop: Header=BB2_6217 Depth=3
	s_or_b64 exec, exec, s[34:35]
	v_add_f32_e32 v16, v3, v16
	v_and_b32_e32 v51, 0x7f800000, v16
	v_mov_b32_e32 v52, v29
	v_cmp_ne_u64_e32 vcc, s[76:77], v[51:52]
                                        ; implicit-def: $vgpr3
	s_and_saveexec_b64 s[40:41], vcc
	s_xor_b64 s[34:35], exec, s[40:41]
	s_cbranch_execz .LBB2_6925
; %bb.6912:                             ;   in Loop: Header=BB2_6217 Depth=3
	v_and_b32_e32 v51, 0x7fffffff, v16
	v_mov_b32_e32 v52, v29
	v_cmp_gt_u64_e32 vcc, s[78:79], v[51:52]
	v_and_b32_sdwa v9, v16, s87 dst_sel:DWORD dst_unused:UNUSED_PAD src0_sel:BYTE_3 src1_sel:DWORD
                                        ; implicit-def: $vgpr3
	s_and_saveexec_b64 s[40:41], vcc
	s_xor_b64 s[36:37], exec, s[40:41]
	s_cbranch_execz .LBB2_6922
; %bb.6913:                             ;   in Loop: Header=BB2_6217 Depth=3
	v_mov_b32_e32 v3, 0
	v_cmp_ne_u32_e32 vcc, 0, v16
	s_and_saveexec_b64 s[38:39], vcc
	s_cbranch_execz .LBB2_6921
; %bb.6914:                             ;   in Loop: Header=BB2_6217 Depth=3
	v_bfe_u32 v3, v16, 23, 8
	v_and_b32_e32 v25, 0x7fffff, v16
	v_cmp_gt_u32_e64 s[40:41], s96, v3
	v_sub_u32_e32 v16, 0x79, v3
	v_cmp_eq_u32_e32 vcc, 0, v3
	v_cndmask_b32_e64 v16, 0, v16, s[40:41]
	v_or_b32_e32 v35, 0x800000, v25
	v_cndmask_b32_e32 v16, v16, v36, vcc
	v_cndmask_b32_e32 v51, v35, v25, vcc
	v_add_u32_e32 v25, 20, v16
	v_lshlrev_b64 v[53:54], v25, -1
	v_add_u32_e32 v25, 19, v16
	v_lshlrev_b64 v[46:47], v25, 1
	v_mov_b32_e32 v52, v29
	v_bfi_b32 v54, v54, 0, 0
	v_bfi_b32 v53, v53, 0, v51
	v_cmp_eq_u64_e64 s[40:41], v[53:54], v[46:47]
	v_lshrrev_b64 v[46:47], v16, v[51:52]
	v_mov_b32_e32 v56, v47
	v_mov_b32_e32 v55, v46
	s_and_saveexec_b64 s[48:49], s[40:41]
; %bb.6915:                             ;   in Loop: Header=BB2_6217 Depth=3
	v_bfe_u32 v25, v46, 20, 1
	v_add_co_u32_e64 v25, s[40:41], v46, v25
	v_add_co_u32_e64 v55, s[40:41], -1, v25
; %bb.6916:                             ;   in Loop: Header=BB2_6217 Depth=3
	s_or_b64 exec, exec, s[48:49]
	v_add_u32_e32 v3, 0xffffff81, v3
	v_cndmask_b32_e32 v3, v3, v37, vcc
	v_lshrrev_b32_e32 v25, 23, v46
	v_add3_u32 v25, v16, v3, v25
	v_add_u32_e32 v16, 6, v25
	v_and_b32_e32 v3, 0xfffff, v55
	v_add_u32_e32 v46, v3, v46
	v_mov_b32_e32 v47, v29
	v_cmp_ne_u32_e32 vcc, 0, v16
                                        ; implicit-def: $vgpr3
	s_and_saveexec_b64 s[40:41], vcc
	s_xor_b64 s[40:41], exec, s[40:41]
; %bb.6917:                             ;   in Loop: Header=BB2_6217 Depth=3
	v_cmp_lt_u64_e32 vcc, s[88:89], v[46:47]
	v_add_u32_e32 v3, 7, v25
	v_cndmask_b32_e32 v3, v16, v3, vcc
	v_cndmask_b32_e64 v16, 0, 1, vcc
	v_lshrrev_b64 v[46:47], v16, v[46:47]
; %bb.6918:                             ;   in Loop: Header=BB2_6217 Depth=3
	s_andn2_saveexec_b64 s[40:41], s[40:41]
; %bb.6919:                             ;   in Loop: Header=BB2_6217 Depth=3
	v_bfe_u32 v3, v46, 23, 1
; %bb.6920:                             ;   in Loop: Header=BB2_6217 Depth=3
	s_or_b64 exec, exec, s[40:41]
	v_lshrrev_b64 v[51:52], 20, v[46:47]
	v_cmp_gt_i32_e32 vcc, 16, v3
	v_cndmask_b32_e32 v52, 0, v52, vcc
	v_cndmask_b32_e32 v51, 7, v51, vcc
	v_cmp_eq_u32_e32 vcc, 0, v3
	v_min_i32_e32 v3, 15, v3
	v_cmp_eq_u64_e64 s[40:41], 0, v[51:52]
	v_lshlrev_b32_e32 v3, 3, v3
	v_and_b32_e32 v3, 0xf8, v3
	v_and_or_b32 v3, v51, 7, v3
	s_and_b64 s[40:41], vcc, s[40:41]
	v_cndmask_b32_e64 v3, v3, 0, s[40:41]
	v_or_b32_e32 v3, v3, v9
.LBB2_6921:                             ;   in Loop: Header=BB2_6217 Depth=3
	s_or_b64 exec, exec, s[38:39]
                                        ; implicit-def: $vgpr9
.LBB2_6922:                             ;   in Loop: Header=BB2_6217 Depth=3
	s_andn2_saveexec_b64 s[40:41], s[36:37]
; %bb.6923:                             ;   in Loop: Header=BB2_6217 Depth=3
	v_or_b32_e32 v3, 0x7e, v9
; %bb.6924:                             ;   in Loop: Header=BB2_6217 Depth=3
	s_or_b64 exec, exec, s[40:41]
                                        ; implicit-def: $vgpr16
.LBB2_6925:                             ;   in Loop: Header=BB2_6217 Depth=3
	s_andn2_saveexec_b64 s[40:41], s[34:35]
; %bb.6926:                             ;   in Loop: Header=BB2_6217 Depth=3
	v_or_b32_sdwa v3, v16, s85 dst_sel:DWORD dst_unused:UNUSED_PAD src0_sel:BYTE_3 src1_sel:DWORD
; %bb.6927:                             ;   in Loop: Header=BB2_6217 Depth=3
	s_or_b64 exec, exec, s[40:41]
	v_lshrrev_b16_e32 v9, 8, v5
	v_cmp_ne_u16_e32 vcc, 0, v9
	v_mov_b32_e32 v16, 0
	s_and_saveexec_b64 s[40:41], vcc
	s_cbranch_execz .LBB2_6933
; %bb.6928:                             ;   in Loop: Header=BB2_6217 Depth=3
	v_cmp_ne_u16_e32 vcc, s87, v9
	v_bfrev_b32_e32 v16, 1
	s_and_saveexec_b64 s[34:35], vcc
	s_cbranch_execz .LBB2_6932
; %bb.6929:                             ;   in Loop: Header=BB2_6217 Depth=3
	v_and_b32_e32 v25, 0x7f, v9
	v_cmp_ne_u32_e32 vcc, s85, v25
	v_mov_b32_e32 v16, 0x7f800001
	s_and_saveexec_b64 s[36:37], vcc
	s_cbranch_execz .LBB2_6931
; %bb.6930:                             ;   in Loop: Header=BB2_6217 Depth=3
	v_and_b32_e32 v16, 7, v9
	v_lshrrev_b32_e32 v35, 3, v25
	v_cmp_gt_u32_e32 vcc, 8, v25
	v_ffbh_u32_e32 v25, v16
	v_min_u32_e32 v25, 32, v25
	v_subrev_u32_e32 v51, 28, v25
	v_lshlrev_b64 v[51:52], v51, v[9:10]
	v_sub_u32_e32 v9, 29, v25
	v_and_b32_e32 v25, 7, v51
	v_cndmask_b32_e32 v9, v35, v9, vcc
	v_cndmask_b32_e32 v16, v16, v25, vcc
	v_lshlrev_b32_e32 v5, 16, v5
	v_lshlrev_b32_e32 v16, 20, v16
	v_and_b32_e32 v5, 0x80000000, v5
	v_lshl_add_u32 v9, v9, 23, v17
	v_or3_b32 v16, v5, v9, v16
.LBB2_6931:                             ;   in Loop: Header=BB2_6217 Depth=3
	s_or_b64 exec, exec, s[36:37]
.LBB2_6932:                             ;   in Loop: Header=BB2_6217 Depth=3
	s_or_b64 exec, exec, s[34:35]
.LBB2_6933:                             ;   in Loop: Header=BB2_6217 Depth=3
	s_or_b64 exec, exec, s[40:41]
	v_lshrrev_b16_e32 v8, 8, v8
	v_cmp_lt_i16_e32 vcc, s85, v8
	s_mov_b64 s[40:41], 0
	s_and_saveexec_b64 s[34:35], vcc
	s_xor_b64 s[34:35], exec, s[34:35]
	s_cbranch_execz .LBB2_7021
; %bb.6934:                             ;   in Loop: Header=BB2_6217 Depth=3
	v_cmp_eq_u16_e32 vcc, s87, v8
	s_mov_b64 s[40:41], -1
	s_and_saveexec_b64 s[36:37], vcc
; %bb.6935:                             ;   in Loop: Header=BB2_6217 Depth=3
	s_xor_b64 s[40:41], exec, -1
; %bb.6936:                             ;   in Loop: Header=BB2_6217 Depth=3
	s_or_b64 exec, exec, s[36:37]
	s_and_b64 s[40:41], s[40:41], exec
	s_or_saveexec_b64 s[34:35], s[34:35]
	v_bfrev_b32_e32 v5, 1
	s_xor_b64 exec, exec, s[34:35]
	s_cbranch_execnz .LBB2_7022
.LBB2_6937:                             ;   in Loop: Header=BB2_6217 Depth=3
	s_or_b64 exec, exec, s[34:35]
	s_and_saveexec_b64 s[34:35], s[40:41]
	s_cbranch_execz .LBB2_6939
.LBB2_6938:                             ;   in Loop: Header=BB2_6217 Depth=3
	v_and_b32_e32 v5, 7, v8
	v_ffbh_u32_e32 v51, v5
	v_min_u32_e32 v53, 32, v51
	v_mov_b32_e32 v9, v29
	v_subrev_u32_e32 v51, 28, v53
	v_lshlrev_b64 v[51:52], v51, v[8:9]
	v_and_b32_e32 v25, 0x7f, v8
	v_bfe_u32 v35, v8, 3, 4
	v_sub_u32_e32 v9, 29, v53
	v_and_b32_e32 v51, 7, v51
	v_cmp_gt_u32_e32 vcc, 8, v25
	v_cndmask_b32_e32 v9, v35, v9, vcc
	v_cndmask_b32_e32 v5, v5, v51, vcc
	v_lshlrev_b32_e32 v8, 24, v8
	v_lshlrev_b32_e32 v5, 20, v5
	v_and_b32_e32 v8, 0x80000000, v8
	v_lshl_add_u32 v9, v9, 23, v17
	v_or3_b32 v5, v8, v9, v5
	v_cmp_ne_u32_e32 vcc, s85, v25
	v_cndmask_b32_e32 v5, v4, v5, vcc
.LBB2_6939:                             ;   in Loop: Header=BB2_6217 Depth=3
	s_or_b64 exec, exec, s[34:35]
	v_add_f32_e32 v8, v16, v5
	v_and_b32_e32 v51, 0x7f800000, v8
	v_mov_b32_e32 v52, v29
	v_cmp_ne_u64_e32 vcc, s[76:77], v[51:52]
                                        ; implicit-def: $vgpr5
	s_and_saveexec_b64 s[40:41], vcc
	s_xor_b64 s[34:35], exec, s[40:41]
	s_cbranch_execz .LBB2_6953
; %bb.6940:                             ;   in Loop: Header=BB2_6217 Depth=3
	v_and_b32_e32 v51, 0x7fffffff, v8
	v_mov_b32_e32 v52, v29
	v_cmp_gt_u64_e32 vcc, s[78:79], v[51:52]
	v_and_b32_sdwa v16, v8, s87 dst_sel:DWORD dst_unused:UNUSED_PAD src0_sel:BYTE_3 src1_sel:DWORD
                                        ; implicit-def: $vgpr5
	s_and_saveexec_b64 s[40:41], vcc
	s_xor_b64 s[36:37], exec, s[40:41]
	s_cbranch_execz .LBB2_6950
; %bb.6941:                             ;   in Loop: Header=BB2_6217 Depth=3
	v_mov_b32_e32 v5, 0
	v_cmp_ne_u32_e32 vcc, 0, v8
	s_and_saveexec_b64 s[38:39], vcc
	s_cbranch_execz .LBB2_6949
; %bb.6942:                             ;   in Loop: Header=BB2_6217 Depth=3
	v_bfe_u32 v5, v8, 23, 8
	v_and_b32_e32 v9, 0x7fffff, v8
	v_cmp_gt_u32_e64 s[40:41], s96, v5
	v_sub_u32_e32 v8, 0x79, v5
	v_cmp_eq_u32_e32 vcc, 0, v5
	v_cndmask_b32_e64 v8, 0, v8, s[40:41]
	v_or_b32_e32 v35, 0x800000, v9
	v_cndmask_b32_e32 v25, v8, v36, vcc
	v_cndmask_b32_e32 v8, v35, v9, vcc
	v_add_u32_e32 v35, 20, v25
	v_lshlrev_b64 v[51:52], v35, -1
	v_mov_b32_e32 v9, v29
	v_add_u32_e32 v35, 19, v25
	v_bfi_b32 v51, v51, 0, v8
	v_lshlrev_b64 v[53:54], v35, 1
	v_lshrrev_b64 v[8:9], v25, v[8:9]
	v_bfi_b32 v52, v52, 0, 0
	v_cmp_eq_u64_e64 s[40:41], v[51:52], v[53:54]
	v_mov_b32_e32 v47, v9
	v_mov_b32_e32 v46, v8
	s_and_saveexec_b64 s[48:49], s[40:41]
; %bb.6943:                             ;   in Loop: Header=BB2_6217 Depth=3
	v_bfe_u32 v9, v8, 20, 1
	v_add_co_u32_e64 v9, s[40:41], v8, v9
	v_add_co_u32_e64 v46, s[40:41], -1, v9
; %bb.6944:                             ;   in Loop: Header=BB2_6217 Depth=3
	s_or_b64 exec, exec, s[48:49]
	v_add_u32_e32 v5, 0xffffff81, v5
	v_cndmask_b32_e32 v5, v5, v37, vcc
	v_lshrrev_b32_e32 v9, 23, v8
	v_add3_u32 v51, v25, v5, v9
	v_add_u32_e32 v25, 6, v51
	v_and_b32_e32 v5, 0xfffff, v46
	v_add_u32_e32 v8, v5, v8
	v_mov_b32_e32 v9, v29
	v_cmp_ne_u32_e32 vcc, 0, v25
                                        ; implicit-def: $vgpr5
	s_and_saveexec_b64 s[40:41], vcc
	s_xor_b64 s[40:41], exec, s[40:41]
; %bb.6945:                             ;   in Loop: Header=BB2_6217 Depth=3
	v_cmp_lt_u64_e32 vcc, s[88:89], v[8:9]
	v_add_u32_e32 v5, 7, v51
	v_cndmask_b32_e32 v5, v25, v5, vcc
	v_cndmask_b32_e64 v25, 0, 1, vcc
	v_lshrrev_b64 v[8:9], v25, v[8:9]
; %bb.6946:                             ;   in Loop: Header=BB2_6217 Depth=3
	s_andn2_saveexec_b64 s[40:41], s[40:41]
; %bb.6947:                             ;   in Loop: Header=BB2_6217 Depth=3
	v_bfe_u32 v5, v8, 23, 1
; %bb.6948:                             ;   in Loop: Header=BB2_6217 Depth=3
	s_or_b64 exec, exec, s[40:41]
	v_lshrrev_b64 v[8:9], 20, v[8:9]
	v_cmp_gt_i32_e32 vcc, 16, v5
	v_cndmask_b32_e32 v9, 0, v9, vcc
	v_cndmask_b32_e32 v8, 7, v8, vcc
	v_cmp_eq_u32_e32 vcc, 0, v5
	v_min_i32_e32 v5, 15, v5
	v_cmp_eq_u64_e64 s[40:41], 0, v[8:9]
	v_lshlrev_b32_e32 v5, 3, v5
	v_and_b32_e32 v5, 0xf8, v5
	v_and_or_b32 v5, v8, 7, v5
	s_and_b64 s[40:41], vcc, s[40:41]
	v_cndmask_b32_e64 v5, v5, 0, s[40:41]
	v_or_b32_e32 v5, v5, v16
.LBB2_6949:                             ;   in Loop: Header=BB2_6217 Depth=3
	s_or_b64 exec, exec, s[38:39]
                                        ; implicit-def: $vgpr16
.LBB2_6950:                             ;   in Loop: Header=BB2_6217 Depth=3
	s_andn2_saveexec_b64 s[40:41], s[36:37]
; %bb.6951:                             ;   in Loop: Header=BB2_6217 Depth=3
	v_or_b32_e32 v5, 0x7e, v16
; %bb.6952:                             ;   in Loop: Header=BB2_6217 Depth=3
	s_or_b64 exec, exec, s[40:41]
                                        ; implicit-def: $vgpr8
.LBB2_6953:                             ;   in Loop: Header=BB2_6217 Depth=3
	s_andn2_saveexec_b64 s[40:41], s[34:35]
; %bb.6954:                             ;   in Loop: Header=BB2_6217 Depth=3
	v_or_b32_sdwa v5, v8, s85 dst_sel:DWORD dst_unused:UNUSED_PAD src0_sel:BYTE_3 src1_sel:DWORD
; %bb.6955:                             ;   in Loop: Header=BB2_6217 Depth=3
	s_or_b64 exec, exec, s[40:41]
	v_lshrrev_b32_e32 v8, 16, v28
	v_cmp_ne_u16_sdwa vcc, v8, v29 src0_sel:BYTE_0 src1_sel:DWORD
	v_mov_b32_e32 v9, 0
	s_and_saveexec_b64 s[40:41], vcc
	s_cbranch_execz .LBB2_6961
; %bb.6956:                             ;   in Loop: Header=BB2_6217 Depth=3
	v_cmp_ne_u16_sdwa vcc, v8, s87 src0_sel:BYTE_0 src1_sel:DWORD
	v_bfrev_b32_e32 v9, 1
	s_and_saveexec_b64 s[34:35], vcc
	s_cbranch_execz .LBB2_6960
; %bb.6957:                             ;   in Loop: Header=BB2_6217 Depth=3
	v_bfe_u32 v16, v28, 16, 7
	v_cmp_ne_u32_e32 vcc, s85, v16
	v_mov_b32_e32 v9, 0x7f800001
	s_and_saveexec_b64 s[36:37], vcc
	s_cbranch_execz .LBB2_6959
; %bb.6958:                             ;   in Loop: Header=BB2_6217 Depth=3
	v_and_b32_e32 v9, 7, v8
	v_lshrrev_b32_e32 v25, 3, v16
	v_cmp_gt_u32_e32 vcc, 8, v16
	v_ffbh_u32_e32 v16, v9
	v_min_u32_e32 v16, 32, v16
	v_subrev_u32_e32 v35, 28, v16
	v_lshlrev_b64 v[51:52], v35, v[8:9]
	v_sub_u32_e32 v16, 29, v16
	v_and_b32_e32 v35, 7, v51
	v_cndmask_b32_e32 v16, v25, v16, vcc
	v_cndmask_b32_e32 v9, v9, v35, vcc
	v_lshlrev_b32_e32 v8, 24, v8
	v_lshlrev_b32_e32 v9, 20, v9
	v_and_b32_e32 v8, 0x80000000, v8
	v_lshl_add_u32 v16, v16, 23, v17
	v_or3_b32 v9, v8, v16, v9
.LBB2_6959:                             ;   in Loop: Header=BB2_6217 Depth=3
	s_or_b64 exec, exec, s[36:37]
.LBB2_6960:                             ;   in Loop: Header=BB2_6217 Depth=3
	s_or_b64 exec, exec, s[34:35]
.LBB2_6961:                             ;   in Loop: Header=BB2_6217 Depth=3
	s_or_b64 exec, exec, s[40:41]
	v_lshrrev_b32_e32 v8, 16, v11
	v_cmp_gt_i16_sdwa vcc, v8, s85 src0_sel:BYTE_0 src1_sel:DWORD
	s_mov_b64 s[40:41], 0
	s_and_saveexec_b64 s[34:35], vcc
	s_xor_b64 vcc, exec, s[34:35]
	s_cbranch_execz .LBB2_7023
; %bb.6962:                             ;   in Loop: Header=BB2_6217 Depth=3
	v_cmp_eq_u16_sdwa s[36:37], v8, s87 src0_sel:BYTE_0 src1_sel:DWORD
	s_mov_b64 s[40:41], -1
	s_and_saveexec_b64 s[34:35], s[36:37]
; %bb.6963:                             ;   in Loop: Header=BB2_6217 Depth=3
	s_xor_b64 s[40:41], exec, -1
; %bb.6964:                             ;   in Loop: Header=BB2_6217 Depth=3
	s_or_b64 exec, exec, s[34:35]
	s_and_b64 s[40:41], s[40:41], exec
	s_or_saveexec_b64 vcc, vcc
	v_bfrev_b32_e32 v16, 1
	s_xor_b64 exec, exec, vcc
	s_cbranch_execnz .LBB2_7024
.LBB2_6965:                             ;   in Loop: Header=BB2_6217 Depth=3
	s_or_b64 exec, exec, vcc
	s_and_saveexec_b64 s[34:35], s[40:41]
	s_cbranch_execz .LBB2_6967
.LBB2_6966:                             ;   in Loop: Header=BB2_6217 Depth=3
	v_and_b32_e32 v16, 7, v8
	v_ffbh_u32_e32 v51, v16
	v_min_u32_e32 v53, 32, v51
	v_subrev_u32_e32 v51, 28, v53
	v_lshlrev_b64 v[51:52], v51, v[8:9]
	v_and_b32_e32 v25, 0x7f, v8
	v_bfe_u32 v35, v8, 3, 4
	v_sub_u32_e32 v52, 29, v53
	v_and_b32_e32 v51, 7, v51
	v_cmp_gt_u32_e32 vcc, 8, v25
	v_cndmask_b32_e32 v35, v35, v52, vcc
	v_cndmask_b32_e32 v16, v16, v51, vcc
	v_lshlrev_b32_e32 v8, 24, v8
	v_lshlrev_b32_e32 v16, 20, v16
	v_and_b32_e32 v8, 0x80000000, v8
	v_lshl_add_u32 v35, v35, 23, v17
	v_or3_b32 v8, v8, v35, v16
	v_cmp_ne_u32_e32 vcc, s85, v25
	v_cndmask_b32_e32 v16, v4, v8, vcc
.LBB2_6967:                             ;   in Loop: Header=BB2_6217 Depth=3
	s_or_b64 exec, exec, s[34:35]
	v_add_f32_e32 v8, v9, v16
	v_and_b32_e32 v51, 0x7f800000, v8
	v_mov_b32_e32 v52, v29
	v_cmp_ne_u64_e32 vcc, s[76:77], v[51:52]
                                        ; implicit-def: $vgpr16
	s_and_saveexec_b64 s[40:41], vcc
	s_xor_b64 s[34:35], exec, s[40:41]
	s_cbranch_execz .LBB2_6981
; %bb.6968:                             ;   in Loop: Header=BB2_6217 Depth=3
	v_and_b32_e32 v51, 0x7fffffff, v8
	v_mov_b32_e32 v52, v29
	v_cmp_gt_u64_e32 vcc, s[78:79], v[51:52]
	v_and_b32_sdwa v25, v8, s87 dst_sel:DWORD dst_unused:UNUSED_PAD src0_sel:BYTE_3 src1_sel:DWORD
                                        ; implicit-def: $vgpr16
	s_and_saveexec_b64 s[40:41], vcc
	s_xor_b64 s[36:37], exec, s[40:41]
	s_cbranch_execz .LBB2_6978
; %bb.6969:                             ;   in Loop: Header=BB2_6217 Depth=3
	v_mov_b32_e32 v16, 0
	v_cmp_ne_u32_e32 vcc, 0, v8
	s_and_saveexec_b64 s[38:39], vcc
	s_cbranch_execz .LBB2_6977
; %bb.6970:                             ;   in Loop: Header=BB2_6217 Depth=3
	v_bfe_u32 v16, v8, 23, 8
	v_and_b32_e32 v9, 0x7fffff, v8
	v_cmp_gt_u32_e64 s[40:41], s96, v16
	v_sub_u32_e32 v8, 0x79, v16
	v_cmp_eq_u32_e32 vcc, 0, v16
	v_cndmask_b32_e64 v8, 0, v8, s[40:41]
	v_or_b32_e32 v35, 0x800000, v9
	v_cndmask_b32_e32 v51, v8, v36, vcc
	v_cndmask_b32_e32 v8, v35, v9, vcc
	v_add_u32_e32 v35, 20, v51
	v_lshlrev_b64 v[52:53], v35, -1
	v_mov_b32_e32 v9, v29
	v_add_u32_e32 v35, 19, v51
	v_bfi_b32 v52, v52, 0, v8
	v_lshlrev_b64 v[54:55], v35, 1
	v_lshrrev_b64 v[8:9], v51, v[8:9]
	v_bfi_b32 v53, v53, 0, 0
	v_cmp_eq_u64_e64 s[40:41], v[52:53], v[54:55]
	v_mov_b32_e32 v47, v9
	v_mov_b32_e32 v46, v8
	s_and_saveexec_b64 s[48:49], s[40:41]
; %bb.6971:                             ;   in Loop: Header=BB2_6217 Depth=3
	v_bfe_u32 v9, v8, 20, 1
	v_add_co_u32_e64 v9, s[40:41], v8, v9
	v_add_co_u32_e64 v46, s[40:41], -1, v9
; %bb.6972:                             ;   in Loop: Header=BB2_6217 Depth=3
	s_or_b64 exec, exec, s[48:49]
	v_add_u32_e32 v9, 0xffffff81, v16
	v_cndmask_b32_e32 v9, v9, v37, vcc
	v_lshrrev_b32_e32 v16, 23, v8
	v_add3_u32 v52, v51, v9, v16
	v_add_u32_e32 v51, 6, v52
	v_and_b32_e32 v9, 0xfffff, v46
	v_add_u32_e32 v8, v9, v8
	v_mov_b32_e32 v9, v29
	v_cmp_ne_u32_e32 vcc, 0, v51
                                        ; implicit-def: $vgpr16
	s_and_saveexec_b64 s[40:41], vcc
	s_xor_b64 s[40:41], exec, s[40:41]
; %bb.6973:                             ;   in Loop: Header=BB2_6217 Depth=3
	v_cmp_lt_u64_e32 vcc, s[88:89], v[8:9]
	v_add_u32_e32 v16, 7, v52
	v_cndmask_b32_e64 v35, 0, 1, vcc
	v_cndmask_b32_e32 v16, v51, v16, vcc
	v_lshrrev_b64 v[8:9], v35, v[8:9]
; %bb.6974:                             ;   in Loop: Header=BB2_6217 Depth=3
	s_andn2_saveexec_b64 s[40:41], s[40:41]
; %bb.6975:                             ;   in Loop: Header=BB2_6217 Depth=3
	v_bfe_u32 v16, v8, 23, 1
; %bb.6976:                             ;   in Loop: Header=BB2_6217 Depth=3
	s_or_b64 exec, exec, s[40:41]
	v_lshrrev_b64 v[8:9], 20, v[8:9]
	v_cmp_gt_i32_e32 vcc, 16, v16
	v_cndmask_b32_e32 v9, 0, v9, vcc
	v_cndmask_b32_e32 v8, 7, v8, vcc
	v_cmp_eq_u64_e64 s[40:41], 0, v[8:9]
	v_min_i32_e32 v9, 15, v16
	v_lshlrev_b32_e32 v9, 3, v9
	v_cmp_eq_u32_e32 vcc, 0, v16
	v_and_b32_e32 v9, 0xf8, v9
	v_and_or_b32 v8, v8, 7, v9
	s_and_b64 s[40:41], vcc, s[40:41]
	v_cndmask_b32_e64 v8, v8, 0, s[40:41]
	v_or_b32_e32 v16, v8, v25
.LBB2_6977:                             ;   in Loop: Header=BB2_6217 Depth=3
	s_or_b64 exec, exec, s[38:39]
                                        ; implicit-def: $vgpr25
.LBB2_6978:                             ;   in Loop: Header=BB2_6217 Depth=3
	s_andn2_saveexec_b64 s[40:41], s[36:37]
; %bb.6979:                             ;   in Loop: Header=BB2_6217 Depth=3
	v_or_b32_e32 v16, 0x7e, v25
; %bb.6980:                             ;   in Loop: Header=BB2_6217 Depth=3
	s_or_b64 exec, exec, s[40:41]
                                        ; implicit-def: $vgpr8
.LBB2_6981:                             ;   in Loop: Header=BB2_6217 Depth=3
	s_andn2_saveexec_b64 s[40:41], s[34:35]
; %bb.6982:                             ;   in Loop: Header=BB2_6217 Depth=3
	v_or_b32_sdwa v16, v8, s85 dst_sel:DWORD dst_unused:UNUSED_PAD src0_sel:BYTE_3 src1_sel:DWORD
; %bb.6983:                             ;   in Loop: Header=BB2_6217 Depth=3
	s_or_b64 exec, exec, s[40:41]
	v_cmp_lt_u32_e32 vcc, s57, v28
	v_mov_b32_e32 v9, 0
	s_and_saveexec_b64 s[40:41], vcc
	s_cbranch_execz .LBB2_6989
; %bb.6984:                             ;   in Loop: Header=BB2_6217 Depth=3
	v_lshrrev_b32_e32 v8, 24, v28
	v_cmp_ne_u32_sdwa vcc, v28, s87 src0_sel:BYTE_3 src1_sel:DWORD
	v_bfrev_b32_e32 v9, 1
	s_and_saveexec_b64 s[34:35], vcc
	s_cbranch_execz .LBB2_6988
; %bb.6985:                             ;   in Loop: Header=BB2_6217 Depth=3
	v_bfe_u32 v25, v28, 24, 7
	v_cmp_ne_u32_e32 vcc, s85, v25
	v_mov_b32_e32 v9, 0x7f800001
	s_and_saveexec_b64 s[36:37], vcc
	s_cbranch_execz .LBB2_6987
; %bb.6986:                             ;   in Loop: Header=BB2_6217 Depth=3
	v_and_b32_e32 v35, 7, v8
	v_ffbh_u32_e32 v9, v35
	v_lshrrev_b32_e32 v51, 3, v25
	v_cmp_gt_u32_e32 vcc, 8, v25
	v_min_u32_e32 v25, 32, v9
	v_subrev_u32_e32 v9, 28, v25
	v_lshlrev_b64 v[8:9], v9, v[8:9]
	v_sub_u32_e32 v9, 29, v25
	v_and_b32_e32 v8, 7, v8
	v_mov_b32_e32 v25, 24
	v_cndmask_b32_e32 v9, v51, v9, vcc
	v_cndmask_b32_e32 v8, v35, v8, vcc
	v_lshlrev_b32_sdwa v25, v25, v28 dst_sel:DWORD dst_unused:UNUSED_PAD src0_sel:DWORD src1_sel:BYTE_3
	v_lshlrev_b32_e32 v8, 20, v8
	v_and_b32_e32 v25, 0x80000000, v25
	v_lshl_add_u32 v9, v9, 23, v17
	v_or3_b32 v9, v25, v9, v8
.LBB2_6987:                             ;   in Loop: Header=BB2_6217 Depth=3
	s_or_b64 exec, exec, s[36:37]
.LBB2_6988:                             ;   in Loop: Header=BB2_6217 Depth=3
	s_or_b64 exec, exec, s[34:35]
.LBB2_6989:                             ;   in Loop: Header=BB2_6217 Depth=3
	s_or_b64 exec, exec, s[40:41]
	v_bfe_u32 v25, v11, 24, 3
	v_ffbh_u32_e32 v51, v25
	v_min_u32_e32 v53, 32, v51
	v_lshrrev_b32_e32 v8, 24, v11
	v_subrev_u32_e32 v51, 28, v53
	v_lshlrev_b64 v[51:52], v51, v[8:9]
	v_bfe_u32 v28, v11, 24, 7
	v_bfe_u32 v35, v8, 3, 4
	v_sub_u32_e32 v52, 29, v53
	v_and_b32_e32 v51, 7, v51
	v_cmp_gt_u32_e32 vcc, 8, v28
	v_cndmask_b32_e32 v35, v35, v52, vcc
	v_cndmask_b32_e32 v25, v25, v51, vcc
	v_lshlrev_b32_e32 v25, 20, v25
	v_and_b32_e32 v51, 0x80000000, v11
	v_lshl_add_u32 v35, v35, 23, v17
	v_or3_b32 v25, v51, v35, v25
	v_cmp_ne_u32_e32 vcc, s85, v28
	v_cndmask_b32_e32 v25, v4, v25, vcc
	v_cmp_ne_u32_e32 vcc, s87, v8
	v_bfrev_b32_e32 v8, 1
	v_cndmask_b32_e32 v8, v8, v25, vcc
	v_cmp_lt_u64_e32 vcc, s[56:57], v[10:11]
	v_cndmask_b32_e32 v8, 0, v8, vcc
	v_add_f32_e32 v9, v8, v9
	v_and_b32_e32 v28, 0x7f800000, v9
	v_cmp_ne_u64_e32 vcc, s[76:77], v[28:29]
                                        ; implicit-def: $vgpr8
	s_and_saveexec_b64 s[40:41], vcc
	s_xor_b64 s[34:35], exec, s[40:41]
	s_cbranch_execz .LBB2_7003
; %bb.6990:                             ;   in Loop: Header=BB2_6217 Depth=3
	v_and_b32_e32 v28, 0x7fffffff, v9
	v_cmp_gt_u64_e32 vcc, s[78:79], v[28:29]
	v_and_b32_sdwa v11, v9, s87 dst_sel:DWORD dst_unused:UNUSED_PAD src0_sel:BYTE_3 src1_sel:DWORD
                                        ; implicit-def: $vgpr8
	s_and_saveexec_b64 s[40:41], vcc
	s_xor_b64 s[36:37], exec, s[40:41]
	s_cbranch_execz .LBB2_7000
; %bb.6991:                             ;   in Loop: Header=BB2_6217 Depth=3
	v_mov_b32_e32 v8, 0
	v_cmp_ne_u32_e32 vcc, 0, v9
	s_and_saveexec_b64 s[38:39], vcc
	s_cbranch_execz .LBB2_6999
; %bb.6992:                             ;   in Loop: Header=BB2_6217 Depth=3
	v_bfe_u32 v25, v9, 23, 8
	v_and_b32_e32 v8, 0x7fffff, v9
	v_cmp_gt_u32_e64 s[40:41], s96, v25
	v_sub_u32_e32 v9, 0x79, v25
	v_cmp_eq_u32_e32 vcc, 0, v25
	v_cndmask_b32_e64 v9, 0, v9, s[40:41]
	v_or_b32_e32 v10, 0x800000, v8
	v_cndmask_b32_e32 v51, v9, v36, vcc
	v_cndmask_b32_e32 v28, v10, v8, vcc
	v_add_u32_e32 v8, 20, v51
	v_lshlrev_b64 v[8:9], v8, -1
	v_add_u32_e32 v10, 19, v51
	v_lshlrev_b64 v[52:53], v10, 1
	v_bfi_b32 v9, v9, 0, 0
	v_bfi_b32 v8, v8, 0, v28
	v_cmp_eq_u64_e64 s[40:41], v[8:9], v[52:53]
	v_lshrrev_b64 v[8:9], v51, v[28:29]
	v_mov_b32_e32 v10, v9
	v_mov_b32_e32 v9, v8
	s_and_saveexec_b64 s[48:49], s[40:41]
; %bb.6993:                             ;   in Loop: Header=BB2_6217 Depth=3
	v_bfe_u32 v9, v8, 20, 1
	v_add_co_u32_e64 v9, s[40:41], v8, v9
	v_add_co_u32_e64 v9, s[40:41], -1, v9
; %bb.6994:                             ;   in Loop: Header=BB2_6217 Depth=3
	s_or_b64 exec, exec, s[48:49]
	v_add_u32_e32 v10, 0xffffff81, v25
	v_cndmask_b32_e32 v10, v10, v37, vcc
	v_lshrrev_b32_e32 v25, 23, v8
	v_add3_u32 v51, v51, v10, v25
	v_add_u32_e32 v25, 6, v51
	v_and_b32_e32 v9, 0xfffff, v9
	v_add_u32_e32 v28, v9, v8
	v_cmp_ne_u32_e32 vcc, 0, v25
                                        ; implicit-def: $vgpr8_vgpr9
                                        ; implicit-def: $vgpr10
	s_and_saveexec_b64 s[40:41], vcc
	s_xor_b64 s[40:41], exec, s[40:41]
; %bb.6995:                             ;   in Loop: Header=BB2_6217 Depth=3
	v_cmp_lt_u64_e32 vcc, s[88:89], v[28:29]
	v_add_u32_e32 v8, 7, v51
	v_cndmask_b32_e32 v10, v25, v8, vcc
	v_cndmask_b32_e64 v8, 0, 1, vcc
	v_lshrrev_b64 v[8:9], v8, v[28:29]
; %bb.6996:                             ;   in Loop: Header=BB2_6217 Depth=3
	s_andn2_saveexec_b64 s[40:41], s[40:41]
; %bb.6997:                             ;   in Loop: Header=BB2_6217 Depth=3
	v_mov_b32_e32 v8, v28
	v_bfe_u32 v10, v28, 23, 1
	v_mov_b32_e32 v9, v29
; %bb.6998:                             ;   in Loop: Header=BB2_6217 Depth=3
	s_or_b64 exec, exec, s[40:41]
	v_lshrrev_b64 v[8:9], 20, v[8:9]
	v_cmp_gt_i32_e32 vcc, 16, v10
	v_cndmask_b32_e32 v9, 0, v9, vcc
	v_cndmask_b32_e32 v8, 7, v8, vcc
	v_cmp_eq_u64_e64 s[40:41], 0, v[8:9]
	v_min_i32_e32 v9, 15, v10
	v_lshlrev_b32_e32 v9, 3, v9
	v_cmp_eq_u32_e32 vcc, 0, v10
	v_and_b32_e32 v9, 0xf8, v9
	v_and_or_b32 v8, v8, 7, v9
	s_and_b64 s[40:41], vcc, s[40:41]
	v_cndmask_b32_e64 v8, v8, 0, s[40:41]
	v_or_b32_e32 v8, v8, v11
.LBB2_6999:                             ;   in Loop: Header=BB2_6217 Depth=3
	s_or_b64 exec, exec, s[38:39]
                                        ; implicit-def: $vgpr11
.LBB2_7000:                             ;   in Loop: Header=BB2_6217 Depth=3
	s_andn2_saveexec_b64 s[40:41], s[36:37]
; %bb.7001:                             ;   in Loop: Header=BB2_6217 Depth=3
	v_or_b32_e32 v8, 0x7e, v11
; %bb.7002:                             ;   in Loop: Header=BB2_6217 Depth=3
	s_or_b64 exec, exec, s[40:41]
                                        ; implicit-def: $vgpr9
.LBB2_7003:                             ;   in Loop: Header=BB2_6217 Depth=3
	s_andn2_saveexec_b64 s[40:41], s[34:35]
	s_cbranch_execz .LBB2_6216
; %bb.7004:                             ;   in Loop: Header=BB2_6217 Depth=3
	v_or_b32_sdwa v8, v9, s85 dst_sel:DWORD dst_unused:UNUSED_PAD src0_sel:BYTE_3 src1_sel:DWORD
	s_branch .LBB2_6216
.LBB2_7005:                             ;   in Loop: Header=BB2_6217 Depth=3
	s_or_saveexec_b64 vcc, vcc
	v_bfrev_b32_e32 v2, 1
	s_xor_b64 exec, exec, vcc
	s_cbranch_execz .LBB2_6587
.LBB2_7006:                             ;   in Loop: Header=BB2_6217 Depth=3
	v_cmp_ne_u16_sdwa s[34:35], v8, v29 src0_sel:BYTE_0 src1_sel:DWORD
	s_andn2_b64 s[40:41], s[40:41], exec
	s_and_b64 s[34:35], s[34:35], exec
	v_mov_b32_e32 v2, 0
	s_or_b64 s[40:41], s[40:41], s[34:35]
	s_or_b64 exec, exec, vcc
	s_and_saveexec_b64 s[34:35], s[40:41]
	s_cbranch_execnz .LBB2_6588
	s_branch .LBB2_6589
.LBB2_7007:                             ;   in Loop: Header=BB2_6217 Depth=3
	s_or_saveexec_b64 s[34:35], s[34:35]
	v_bfrev_b32_e32 v6, 1
	s_xor_b64 exec, exec, s[34:35]
	s_cbranch_execz .LBB2_6615
.LBB2_7008:                             ;   in Loop: Header=BB2_6217 Depth=3
	v_cmp_ne_u16_e32 vcc, 0, v46
	s_andn2_b64 s[40:41], s[40:41], exec
	s_and_b64 vcc, vcc, exec
	v_mov_b32_e32 v6, 0
	s_or_b64 s[40:41], s[40:41], vcc
	s_or_b64 exec, exec, s[34:35]
	s_and_saveexec_b64 s[34:35], s[40:41]
	s_cbranch_execnz .LBB2_6616
	s_branch .LBB2_6617
.LBB2_7009:                             ;   in Loop: Header=BB2_6217 Depth=3
	s_or_saveexec_b64 vcc, vcc
	v_bfrev_b32_e32 v34, 1
	s_xor_b64 exec, exec, vcc
	s_cbranch_execz .LBB2_6643
.LBB2_7010:                             ;   in Loop: Header=BB2_6217 Depth=3
	v_cmp_ne_u16_sdwa s[34:35], v30, v29 src0_sel:BYTE_0 src1_sel:DWORD
	s_andn2_b64 s[40:41], s[40:41], exec
	s_and_b64 s[34:35], s[34:35], exec
	v_mov_b32_e32 v34, 0
	s_or_b64 s[40:41], s[40:41], s[34:35]
	s_or_b64 exec, exec, vcc
	s_and_saveexec_b64 s[34:35], s[40:41]
	s_cbranch_execnz .LBB2_6644
	s_branch .LBB2_6645
.LBB2_7011:                             ;   in Loop: Header=BB2_6217 Depth=3
	s_or_saveexec_b64 s[34:35], s[34:35]
	v_bfrev_b32_e32 v30, 1
	s_xor_b64 exec, exec, s[34:35]
	s_cbranch_execz .LBB2_6723
.LBB2_7012:                             ;   in Loop: Header=BB2_6217 Depth=3
	v_cmp_ne_u16_e32 vcc, 0, v46
	s_andn2_b64 s[40:41], s[40:41], exec
	s_and_b64 vcc, vcc, exec
	v_mov_b32_e32 v30, 0
	s_or_b64 s[40:41], s[40:41], vcc
	s_or_b64 exec, exec, s[34:35]
	s_and_saveexec_b64 s[34:35], s[40:41]
	s_cbranch_execnz .LBB2_6724
	s_branch .LBB2_6725
.LBB2_7013:                             ;   in Loop: Header=BB2_6217 Depth=3
	s_or_saveexec_b64 vcc, vcc
	v_bfrev_b32_e32 v51, 1
	s_xor_b64 exec, exec, vcc
	s_cbranch_execz .LBB2_6751
.LBB2_7014:                             ;   in Loop: Header=BB2_6217 Depth=3
	v_cmp_ne_u16_sdwa s[34:35], v30, v29 src0_sel:BYTE_0 src1_sel:DWORD
	s_andn2_b64 s[40:41], s[40:41], exec
	s_and_b64 s[34:35], s[34:35], exec
	v_mov_b32_e32 v51, 0
	s_or_b64 s[40:41], s[40:41], s[34:35]
	s_or_b64 exec, exec, vcc
	s_and_saveexec_b64 s[34:35], s[40:41]
	s_cbranch_execnz .LBB2_6752
	s_branch .LBB2_6753
.LBB2_7015:                             ;   in Loop: Header=BB2_6217 Depth=3
	s_or_saveexec_b64 vcc, vcc
	v_bfrev_b32_e32 v7, 1
	s_xor_b64 exec, exec, vcc
	s_cbranch_execz .LBB2_6801
.LBB2_7016:                             ;   in Loop: Header=BB2_6217 Depth=3
	v_cmp_ne_u16_sdwa s[34:35], v10, v29 src0_sel:BYTE_0 src1_sel:DWORD
	s_andn2_b64 s[40:41], s[40:41], exec
	s_and_b64 s[34:35], s[34:35], exec
	v_mov_b32_e32 v7, 0
	s_or_b64 s[40:41], s[40:41], s[34:35]
	s_or_b64 exec, exec, vcc
	s_and_saveexec_b64 s[34:35], s[40:41]
	s_cbranch_execnz .LBB2_6802
	s_branch .LBB2_6803
.LBB2_7017:                             ;   in Loop: Header=BB2_6217 Depth=3
	s_or_saveexec_b64 s[34:35], s[34:35]
	v_bfrev_b32_e32 v9, 1
	s_xor_b64 exec, exec, s[34:35]
	s_cbranch_execz .LBB2_6829
.LBB2_7018:                             ;   in Loop: Header=BB2_6217 Depth=3
	v_cmp_ne_u16_e32 vcc, 0, v8
	s_andn2_b64 s[40:41], s[40:41], exec
	s_and_b64 vcc, vcc, exec
	v_mov_b32_e32 v9, 0
	s_or_b64 s[40:41], s[40:41], vcc
	s_or_b64 exec, exec, s[34:35]
	s_and_saveexec_b64 s[34:35], s[40:41]
	s_cbranch_execnz .LBB2_6830
	s_branch .LBB2_6831
.LBB2_7019:                             ;   in Loop: Header=BB2_6217 Depth=3
	s_or_saveexec_b64 vcc, vcc
	v_bfrev_b32_e32 v48, 1
	s_xor_b64 exec, exec, vcc
	s_cbranch_execz .LBB2_6857
.LBB2_7020:                             ;   in Loop: Header=BB2_6217 Depth=3
	v_cmp_ne_u16_sdwa s[34:35], v8, v29 src0_sel:BYTE_0 src1_sel:DWORD
	s_andn2_b64 s[40:41], s[40:41], exec
	s_and_b64 s[34:35], s[34:35], exec
	v_mov_b32_e32 v48, 0
	s_or_b64 s[40:41], s[40:41], s[34:35]
	s_or_b64 exec, exec, vcc
	s_and_saveexec_b64 s[34:35], s[40:41]
	s_cbranch_execnz .LBB2_6858
	s_branch .LBB2_6859
.LBB2_7021:                             ;   in Loop: Header=BB2_6217 Depth=3
	s_or_saveexec_b64 s[34:35], s[34:35]
	v_bfrev_b32_e32 v5, 1
	s_xor_b64 exec, exec, s[34:35]
	s_cbranch_execz .LBB2_6937
.LBB2_7022:                             ;   in Loop: Header=BB2_6217 Depth=3
	v_cmp_ne_u16_e32 vcc, 0, v8
	s_andn2_b64 s[40:41], s[40:41], exec
	s_and_b64 vcc, vcc, exec
	v_mov_b32_e32 v5, 0
	s_or_b64 s[40:41], s[40:41], vcc
	s_or_b64 exec, exec, s[34:35]
	s_and_saveexec_b64 s[34:35], s[40:41]
	s_cbranch_execnz .LBB2_6938
	s_branch .LBB2_6939
.LBB2_7023:                             ;   in Loop: Header=BB2_6217 Depth=3
	s_or_saveexec_b64 vcc, vcc
	v_bfrev_b32_e32 v16, 1
	s_xor_b64 exec, exec, vcc
	s_cbranch_execz .LBB2_6965
.LBB2_7024:                             ;   in Loop: Header=BB2_6217 Depth=3
	v_cmp_ne_u16_sdwa s[34:35], v8, v29 src0_sel:BYTE_0 src1_sel:DWORD
	s_andn2_b64 s[40:41], s[40:41], exec
	s_and_b64 s[34:35], s[34:35], exec
	v_mov_b32_e32 v16, 0
	s_or_b64 s[40:41], s[40:41], s[34:35]
	s_or_b64 exec, exec, vcc
	s_and_saveexec_b64 s[34:35], s[40:41]
	s_cbranch_execnz .LBB2_6966
	s_branch .LBB2_6967
.LBB2_7025:                             ;   in Loop: Header=BB2_3957 Depth=2
	s_or_b64 exec, exec, s[30:31]
	v_sub_u32_e32 v5, v58, v0
.LBB2_7026:                             ;   in Loop: Header=BB2_3957 Depth=2
	s_or_b64 exec, exec, s[42:43]
	v_and_b32_e32 v2, 15, v58
	v_cndmask_b32_e64 v31, v5, v2, s[28:29]
	v_mov_b32_e32 v19, 0
	v_cmp_ne_u32_e32 vcc, 0, v31
	s_mov_b64 s[30:31], 0
                                        ; implicit-def: $vgpr24
                                        ; implicit-def: $vgpr1
	s_and_saveexec_b64 s[42:43], vcc
	s_cbranch_execz .LBB2_7840
; %bb.7027:                             ;   in Loop: Header=BB2_3957 Depth=2
	v_sub_u32_e32 v1, v5, v2
	v_cndmask_b32_e64 v1, 0, v1, s[28:29]
	v_add_u32_e32 v5, v1, v0
	buffer_load_dword v1, off, s[0:3], s33 offset:176 ; 4-byte Folded Reload
	v_cmp_lt_i32_e32 vcc, 0, v18
	v_cndmask_b32_e32 v0, 0, v14, vcc
	v_sub_u32_e32 v0, v0, v18
	s_waitcnt vmcnt(0)
	v_lshl_or_b32 v0, v0, 6, v1
	v_ashrrev_i32_e32 v1, 31, v0
	v_lshrrev_b32_e32 v1, 26, v1
	v_add_u32_e32 v1, v0, v1
	v_ashrrev_i32_e32 v2, 6, v1
	v_and_b32_e32 v1, 0xffffffc0, v1
	v_sub_u32_e32 v6, v0, v1
	v_ashrrev_i32_e32 v1, 31, v31
	v_lshrrev_b32_e32 v1, 22, v1
	v_add_u32_e32 v1, v31, v1
	v_and_b32_e32 v7, 0xfffffc00, v1
	v_lshlrev_b32_e32 v0, 4, v6
	v_sub_u32_e32 v35, v31, v7
	v_lshl_add_u32 v0, v2, 10, v0
	v_ashrrev_i32_e32 v3, 10, v1
	v_cmp_lt_i32_e64 s[28:29], 15, v35
	v_sub_u32_e32 v19, v31, v0
	v_addc_co_u32_e64 v1, vcc, 0, v3, s[28:29]
	v_sub_u32_e32 v1, v1, v2
	v_cmp_lt_i32_e32 vcc, 15, v19
	s_and_saveexec_b64 s[30:31], vcc
	s_cbranch_execz .LBB2_7839
; %bb.7028:                             ;   in Loop: Header=BB2_3957 Depth=2
	v_add_u32_e32 v0, v0, v5
	buffer_store_dword v7, off, s[0:3], s33 offset:204 ; 4-byte Folded Spill
	buffer_store_dword v6, off, s[0:3], s33 offset:196 ; 4-byte Folded Spill
	;; [unrolled: 1-line block ×3, first 2 shown]
	s_trap 2
	ds_read_b64 v[2:3], v0
	buffer_load_dword v6, off, s[0:3], s33 offset:156 ; 4-byte Folded Reload
	buffer_load_dword v7, off, s[0:3], s33 offset:160 ; 4-byte Folded Reload
	v_ashrrev_i32_e32 v5, 31, v0
	s_mov_b64 s[34:35], 0
	s_waitcnt lgkmcnt(0)
	v_readfirstlane_b32 s40, v2
	s_and_b32 s41, s40, 7
	s_flbit_i32_b32 s41, s41
	s_min_u32 s41, s41, 32
	s_and_b32 s44, s40, 0x7f
	s_bfe_u32 s45, s40, 0x40003
	s_waitcnt vmcnt(1)
	v_add_co_u32_e32 v40, vcc, v0, v6
	s_waitcnt vmcnt(0)
	v_addc_co_u32_e32 v41, vcc, v5, v7, vcc
	buffer_load_dword v6, off, s[0:3], s33 offset:140 ; 4-byte Folded Reload
	buffer_load_dword v7, off, s[0:3], s33 offset:144 ; 4-byte Folded Reload
	v_add_co_u32_e32 v42, vcc, v2, v0
	v_addc_co_u32_e32 v43, vcc, v3, v5, vcc
	s_waitcnt vmcnt(1)
	v_add_co_u32_e32 v44, vcc, v0, v6
	s_waitcnt vmcnt(0)
	v_addc_co_u32_e32 v45, vcc, v5, v7, vcc
	s_sub_i32 vcc_lo, s41, 28
	s_sub_i32 s41, 29, s41
	s_cmp_lt_u32 s44, 8
	s_cselect_b32 vcc_lo, vcc_lo, 0
	s_cselect_b32 s41, s41, s45
	v_lshlrev_b64 v[2:3], vcc_lo, v[2:3]
	s_lshl_b32 s45, s40, 24
	s_lshl_b32 s41, s41, 23
	s_and_b32 s45, s45, 0x80000000
	s_add_i32 s41, s41, 0x3c000000
	v_lshlrev_b32_e32 v0, 20, v2
	s_or_b32 s41, s45, s41
	v_and_b32_e32 v0, 0x700000, v0
	s_cmpk_lg_i32 s44, 0x7f
	v_or_b32_e32 v0, s41, v0
	s_cselect_b64 vcc, -1, 0
	v_cndmask_b32_e32 v24, v4, v0, vcc
	s_and_b32 s44, s40, 0xff
	s_branch .LBB2_7030
.LBB2_7029:                             ;   in Loop: Header=BB2_7030 Depth=3
	s_or_b64 exec, exec, s[40:41]
	v_lshl_or_b32 v9, v33, 8, v23
	v_lshlrev_b32_e32 v10, 16, v51
	v_lshlrev_b32_e32 v11, 24, v30
	v_or3_b32 v47, v9, v10, v11
	v_lshl_or_b32 v6, v6, 8, v25
	v_lshlrev_b32_e32 v2, 16, v2
	v_lshlrev_b32_e32 v9, 24, v34
	v_add_co_u32_e32 v40, vcc, v40, v15
	v_or3_b32 v46, v6, v2, v9
	v_lshl_or_b32 v0, v7, 8, v0
	v_lshlrev_b32_e32 v2, 16, v22
	v_lshlrev_b32_e32 v6, 24, v52
	v_addc_co_u32_e32 v41, vcc, 0, v41, vcc
	v_or3_b32 v48, v0, v2, v6
	v_lshlrev_b32_e32 v0, 24, v8
	v_lshlrev_b32_e32 v2, 16, v16
	v_lshl_or_b32 v3, v5, 8, v3
	v_add_co_u32_e32 v42, vcc, v42, v15
	v_or3_b32 v49, v3, v2, v0
	v_addc_co_u32_e32 v43, vcc, 0, v43, vcc
	global_store_dwordx4 v[44:45], v[46:49], off glc slc
	v_add_co_u32_e32 v44, vcc, v44, v15
	v_addc_co_u32_e32 v45, vcc, 0, v45, vcc
	v_sub_u32_e32 v19, v19, v15
	v_cmp_gt_i32_e32 vcc, 16, v19
	s_or_b64 s[34:35], vcc, s[34:35]
	v_sub_u32_e32 v1, v1, v14
	s_andn2_b64 exec, exec, s[34:35]
	s_cbranch_execz .LBB2_7838
.LBB2_7030:                             ;   Parent Loop BB2_47 Depth=1
                                        ;     Parent Loop BB2_3957 Depth=2
                                        ; =>    This Inner Loop Header: Depth=3
	s_cmpk_lt_i32 s44, 0x80
	s_cbranch_scc1 .LBB2_7034
; %bb.7031:                             ;   in Loop: Header=BB2_7030 Depth=3
	s_and_b32 s45, 0xffff, s44
	s_mov_b64 s[40:41], -1
	s_cmpk_eq_i32 s45, 0x80
	s_cbranch_scc0 .LBB2_7033
; %bb.7032:                             ;   in Loop: Header=BB2_7030 Depth=3
	s_mov_b64 s[40:41], 0
.LBB2_7033:                             ;   in Loop: Header=BB2_7030 Depth=3
	s_brev_b32 s45, 1
	s_branch .LBB2_7036
.LBB2_7034:                             ;   in Loop: Header=BB2_7030 Depth=3
	s_mov_b64 s[40:41], 0
	s_brev_b32 s45, 1
	s_cbranch_execz .LBB2_7036
; %bb.7035:                             ;   in Loop: Header=BB2_7030 Depth=3
	s_and_b32 s40, 0xffff, s44
	s_cmp_lg_u32 s40, 0
	s_mov_b32 s45, 0
	s_cselect_b64 s[40:41], -1, 0
.LBB2_7036:                             ;   in Loop: Header=BB2_7030 Depth=3
	s_andn2_b64 vcc, exec, s[40:41]
	v_mov_b32_e32 v3, s45
	s_cbranch_vccnz .LBB2_7038
; %bb.7037:                             ;   in Loop: Header=BB2_7030 Depth=3
	v_mov_b32_e32 v3, v24
.LBB2_7038:                             ;   in Loop: Header=BB2_7030 Depth=3
	global_load_dwordx4 v[8:11], v[40:41], off glc slc
	v_mov_b32_e32 v0, 0
	s_waitcnt vmcnt(0)
	v_cmp_ne_u16_sdwa vcc, v8, v29 src0_sel:BYTE_0 src1_sel:DWORD
	s_and_saveexec_b64 s[40:41], vcc
	s_cbranch_execz .LBB2_7044
; %bb.7039:                             ;   in Loop: Header=BB2_7030 Depth=3
	v_cmp_ne_u16_sdwa vcc, v8, s87 src0_sel:BYTE_0 src1_sel:DWORD
	v_bfrev_b32_e32 v0, 1
	s_and_saveexec_b64 s[36:37], vcc
	s_cbranch_execz .LBB2_7043
; %bb.7040:                             ;   in Loop: Header=BB2_7030 Depth=3
	v_and_b32_e32 v2, 0x7f, v8
	v_cmp_ne_u32_e32 vcc, s85, v2
	v_mov_b32_e32 v0, 0x7f800001
	s_and_saveexec_b64 s[38:39], vcc
	s_cbranch_execz .LBB2_7042
; %bb.7041:                             ;   in Loop: Header=BB2_7030 Depth=3
	v_and_b32_e32 v0, 7, v8
	v_ffbh_u32_e32 v0, v0
	v_min_u32_e32 v0, 32, v0
	v_lshrrev_b32_e32 v5, 3, v2
	v_cmp_gt_u32_e32 vcc, 8, v2
	v_subrev_u32_e32 v2, 28, v0
	v_sub_u32_e32 v0, 29, v0
	v_cndmask_b32_e32 v2, 0, v2, vcc
	v_cndmask_b32_e32 v0, v5, v0, vcc
	v_lshlrev_b64 v[5:6], v2, v[8:9]
	v_lshl_add_u32 v0, v0, 23, v17
	v_lshlrev_b32_e32 v2, 20, v5
	v_lshlrev_b32_e32 v5, 24, v8
	v_and_b32_e32 v2, 0x700000, v2
	v_and_b32_e32 v5, 0x80000000, v5
	v_or3_b32 v0, v5, v0, v2
.LBB2_7042:                             ;   in Loop: Header=BB2_7030 Depth=3
	s_or_b64 exec, exec, s[38:39]
.LBB2_7043:                             ;   in Loop: Header=BB2_7030 Depth=3
	s_or_b64 exec, exec, s[36:37]
.LBB2_7044:                             ;   in Loop: Header=BB2_7030 Depth=3
	s_or_b64 exec, exec, s[40:41]
	v_mul_f32_e32 v5, v3, v0
	v_and_b32_e32 v28, 0x7f800000, v5
	v_cmp_ne_u64_e32 vcc, s[76:77], v[28:29]
                                        ; implicit-def: $vgpr2
	s_and_saveexec_b64 s[40:41], vcc
	s_xor_b64 s[36:37], exec, s[40:41]
	s_cbranch_execz .LBB2_7058
; %bb.7045:                             ;   in Loop: Header=BB2_7030 Depth=3
	v_and_b32_e32 v28, 0x7fffffff, v5
	v_cmp_gt_u64_e32 vcc, s[78:79], v[28:29]
	v_and_b32_sdwa v0, v5, s87 dst_sel:DWORD dst_unused:UNUSED_PAD src0_sel:BYTE_3 src1_sel:DWORD
                                        ; implicit-def: $vgpr2
	s_and_saveexec_b64 s[40:41], vcc
	s_xor_b64 s[38:39], exec, s[40:41]
	s_cbranch_execz .LBB2_7055
; %bb.7046:                             ;   in Loop: Header=BB2_7030 Depth=3
	v_mov_b32_e32 v2, 0
	v_cmp_ne_u32_e32 vcc, 0, v5
	s_and_saveexec_b64 s[48:49], vcc
	s_cbranch_execz .LBB2_7054
; %bb.7047:                             ;   in Loop: Header=BB2_7030 Depth=3
	v_bfe_u32 v2, v5, 23, 8
	v_and_b32_e32 v6, 0x7fffff, v5
	v_cmp_gt_u32_e64 s[40:41], s96, v2
	v_sub_u32_e32 v5, 0x79, v2
	v_cmp_eq_u32_e32 vcc, 0, v2
	v_cndmask_b32_e64 v5, 0, v5, s[40:41]
	v_or_b32_e32 v7, 0x800000, v6
	v_cndmask_b32_e32 v5, v5, v36, vcc
	v_cndmask_b32_e32 v28, v7, v6, vcc
	v_add_u32_e32 v6, 20, v5
	v_lshlrev_b64 v[6:7], v6, -1
	v_add_u32_e32 v16, 19, v5
	v_lshlrev_b64 v[22:23], v16, 1
	v_lshrrev_b64 v[46:47], v5, v[28:29]
	v_bfi_b32 v7, v7, 0, 0
	v_bfi_b32 v6, v6, 0, v28
	v_cmp_eq_u64_e64 s[40:41], v[6:7], v[22:23]
	v_mov_b32_e32 v56, v47
	v_mov_b32_e32 v55, v46
	s_and_saveexec_b64 s[50:51], s[40:41]
; %bb.7048:                             ;   in Loop: Header=BB2_7030 Depth=3
	v_bfe_u32 v6, v46, 20, 1
	v_add_co_u32_e64 v6, s[40:41], v46, v6
	v_add_co_u32_e64 v55, s[40:41], -1, v6
; %bb.7049:                             ;   in Loop: Header=BB2_7030 Depth=3
	s_or_b64 exec, exec, s[50:51]
	v_add_u32_e32 v2, 0xffffff81, v2
	v_cndmask_b32_e32 v2, v2, v37, vcc
	v_lshrrev_b32_e32 v6, 23, v46
	v_add3_u32 v6, v5, v2, v6
	v_add_u32_e32 v5, 6, v6
	v_and_b32_e32 v2, 0xfffff, v55
	v_add_u32_e32 v28, v2, v46
	v_cmp_ne_u32_e32 vcc, 0, v5
                                        ; implicit-def: $vgpr46_vgpr47
                                        ; implicit-def: $vgpr2
	s_and_saveexec_b64 s[40:41], vcc
	s_xor_b64 s[40:41], exec, s[40:41]
; %bb.7050:                             ;   in Loop: Header=BB2_7030 Depth=3
	v_cmp_lt_u64_e32 vcc, s[88:89], v[28:29]
	v_add_u32_e32 v2, 7, v6
	v_cndmask_b32_e32 v2, v5, v2, vcc
	v_cndmask_b32_e64 v5, 0, 1, vcc
	v_lshrrev_b64 v[46:47], v5, v[28:29]
; %bb.7051:                             ;   in Loop: Header=BB2_7030 Depth=3
	s_andn2_saveexec_b64 s[40:41], s[40:41]
; %bb.7052:                             ;   in Loop: Header=BB2_7030 Depth=3
	v_mov_b32_e32 v47, v29
	v_bfe_u32 v2, v28, 23, 1
	v_mov_b32_e32 v46, v28
; %bb.7053:                             ;   in Loop: Header=BB2_7030 Depth=3
	s_or_b64 exec, exec, s[40:41]
	v_lshrrev_b64 v[5:6], 20, v[46:47]
	v_cmp_gt_i32_e32 vcc, 16, v2
	v_cndmask_b32_e32 v6, 0, v6, vcc
	v_cndmask_b32_e32 v5, 7, v5, vcc
	v_cmp_eq_u32_e32 vcc, 0, v2
	v_min_i32_e32 v2, 15, v2
	v_cmp_eq_u64_e64 s[40:41], 0, v[5:6]
	v_lshlrev_b32_e32 v2, 3, v2
	v_and_b32_e32 v2, 0xf8, v2
	v_and_or_b32 v2, v5, 7, v2
	s_and_b64 s[40:41], vcc, s[40:41]
	v_cndmask_b32_e64 v2, v2, 0, s[40:41]
	v_or_b32_e32 v2, v2, v0
.LBB2_7054:                             ;   in Loop: Header=BB2_7030 Depth=3
	s_or_b64 exec, exec, s[48:49]
                                        ; implicit-def: $vgpr0
.LBB2_7055:                             ;   in Loop: Header=BB2_7030 Depth=3
	s_andn2_saveexec_b64 s[40:41], s[38:39]
; %bb.7056:                             ;   in Loop: Header=BB2_7030 Depth=3
	v_or_b32_e32 v2, 0x7e, v0
; %bb.7057:                             ;   in Loop: Header=BB2_7030 Depth=3
	s_or_b64 exec, exec, s[40:41]
                                        ; implicit-def: $vgpr5
.LBB2_7058:                             ;   in Loop: Header=BB2_7030 Depth=3
	s_andn2_saveexec_b64 s[40:41], s[36:37]
; %bb.7059:                             ;   in Loop: Header=BB2_7030 Depth=3
	v_or_b32_sdwa v2, v5, s85 dst_sel:DWORD dst_unused:UNUSED_PAD src0_sel:BYTE_3 src1_sel:DWORD
; %bb.7060:                             ;   in Loop: Header=BB2_7030 Depth=3
	s_or_b64 exec, exec, s[40:41]
	v_lshrrev_b16_e32 v28, 8, v8
	v_cmp_ne_u16_e32 vcc, 0, v28
	v_mov_b32_e32 v0, 0
	s_and_saveexec_b64 s[40:41], vcc
	s_cbranch_execz .LBB2_7066
; %bb.7061:                             ;   in Loop: Header=BB2_7030 Depth=3
	v_cmp_ne_u16_e32 vcc, s87, v28
	v_bfrev_b32_e32 v0, 1
	s_and_saveexec_b64 s[36:37], vcc
	s_cbranch_execz .LBB2_7065
; %bb.7062:                             ;   in Loop: Header=BB2_7030 Depth=3
	v_and_b32_e32 v5, 0x7f, v28
	v_cmp_ne_u32_e32 vcc, s85, v5
	v_mov_b32_e32 v0, 0x7f800001
	s_and_saveexec_b64 s[38:39], vcc
	s_cbranch_execz .LBB2_7064
; %bb.7063:                             ;   in Loop: Header=BB2_7030 Depth=3
	v_and_b32_e32 v0, 7, v28
	v_lshrrev_b32_e32 v7, 3, v5
	v_cmp_gt_u32_e32 vcc, 8, v5
	v_ffbh_u32_e32 v5, v0
	v_min_u32_e32 v16, 32, v5
	v_subrev_u32_e32 v5, 28, v16
	v_lshlrev_b64 v[5:6], v5, v[28:29]
	v_sub_u32_e32 v6, 29, v16
	v_and_b32_e32 v5, 7, v5
	v_cndmask_b32_e32 v6, v7, v6, vcc
	v_cndmask_b32_e32 v0, v0, v5, vcc
	v_lshlrev_b32_e32 v5, 16, v8
	v_lshlrev_b32_e32 v0, 20, v0
	v_and_b32_e32 v5, 0x80000000, v5
	v_lshl_add_u32 v6, v6, 23, v17
	v_or3_b32 v0, v5, v6, v0
.LBB2_7064:                             ;   in Loop: Header=BB2_7030 Depth=3
	s_or_b64 exec, exec, s[38:39]
.LBB2_7065:                             ;   in Loop: Header=BB2_7030 Depth=3
	s_or_b64 exec, exec, s[36:37]
.LBB2_7066:                             ;   in Loop: Header=BB2_7030 Depth=3
	s_or_b64 exec, exec, s[40:41]
	v_mul_f32_e32 v5, v3, v0
	v_and_b32_e32 v28, 0x7f800000, v5
	v_cmp_ne_u64_e32 vcc, s[76:77], v[28:29]
                                        ; implicit-def: $vgpr6
	s_and_saveexec_b64 s[40:41], vcc
	s_xor_b64 s[36:37], exec, s[40:41]
	s_cbranch_execz .LBB2_7080
; %bb.7067:                             ;   in Loop: Header=BB2_7030 Depth=3
	v_and_b32_e32 v28, 0x7fffffff, v5
	v_cmp_gt_u64_e32 vcc, s[78:79], v[28:29]
	v_and_b32_sdwa v0, v5, s87 dst_sel:DWORD dst_unused:UNUSED_PAD src0_sel:BYTE_3 src1_sel:DWORD
                                        ; implicit-def: $vgpr6
	s_and_saveexec_b64 s[40:41], vcc
	s_xor_b64 s[38:39], exec, s[40:41]
	s_cbranch_execz .LBB2_7077
; %bb.7068:                             ;   in Loop: Header=BB2_7030 Depth=3
	v_mov_b32_e32 v6, 0
	v_cmp_ne_u32_e32 vcc, 0, v5
	s_and_saveexec_b64 s[48:49], vcc
	s_cbranch_execz .LBB2_7076
; %bb.7069:                             ;   in Loop: Header=BB2_7030 Depth=3
	v_and_b32_e32 v7, 0x7fffff, v5
	v_bfe_u32 v5, v5, 23, 8
	v_cmp_gt_u32_e64 s[40:41], s96, v5
	v_sub_u32_e32 v6, 0x79, v5
	v_cmp_eq_u32_e32 vcc, 0, v5
	v_cndmask_b32_e64 v6, 0, v6, s[40:41]
	v_or_b32_e32 v16, 0x800000, v7
	v_cndmask_b32_e32 v6, v6, v36, vcc
	v_cndmask_b32_e32 v28, v16, v7, vcc
	v_add_u32_e32 v7, 20, v6
	v_lshlrev_b64 v[22:23], v7, -1
	v_add_u32_e32 v7, 19, v6
	v_lshlrev_b64 v[33:34], v7, 1
	v_lshrrev_b64 v[46:47], v6, v[28:29]
	v_bfi_b32 v23, v23, 0, 0
	v_bfi_b32 v22, v22, 0, v28
	v_cmp_eq_u64_e64 s[40:41], v[22:23], v[33:34]
	v_mov_b32_e32 v56, v47
	v_mov_b32_e32 v55, v46
	s_and_saveexec_b64 s[50:51], s[40:41]
; %bb.7070:                             ;   in Loop: Header=BB2_7030 Depth=3
	v_bfe_u32 v7, v46, 20, 1
	v_add_co_u32_e64 v7, s[40:41], v46, v7
	v_add_co_u32_e64 v55, s[40:41], -1, v7
; %bb.7071:                             ;   in Loop: Header=BB2_7030 Depth=3
	s_or_b64 exec, exec, s[50:51]
	v_add_u32_e32 v5, 0xffffff81, v5
	v_cndmask_b32_e32 v5, v5, v37, vcc
	v_lshrrev_b32_e32 v7, 23, v46
	v_add3_u32 v7, v6, v5, v7
	v_add_u32_e32 v6, 6, v7
	v_and_b32_e32 v5, 0xfffff, v55
	v_add_u32_e32 v28, v5, v46
	v_cmp_ne_u32_e32 vcc, 0, v6
                                        ; implicit-def: $vgpr46_vgpr47
                                        ; implicit-def: $vgpr5
	s_and_saveexec_b64 s[40:41], vcc
	s_xor_b64 s[40:41], exec, s[40:41]
; %bb.7072:                             ;   in Loop: Header=BB2_7030 Depth=3
	v_cmp_lt_u64_e32 vcc, s[88:89], v[28:29]
	v_add_u32_e32 v5, 7, v7
	v_cndmask_b32_e32 v5, v6, v5, vcc
	v_cndmask_b32_e64 v6, 0, 1, vcc
	v_lshrrev_b64 v[46:47], v6, v[28:29]
; %bb.7073:                             ;   in Loop: Header=BB2_7030 Depth=3
	s_andn2_saveexec_b64 s[40:41], s[40:41]
; %bb.7074:                             ;   in Loop: Header=BB2_7030 Depth=3
	v_mov_b32_e32 v47, v29
	v_bfe_u32 v5, v28, 23, 1
	v_mov_b32_e32 v46, v28
; %bb.7075:                             ;   in Loop: Header=BB2_7030 Depth=3
	s_or_b64 exec, exec, s[40:41]
	v_lshrrev_b64 v[6:7], 20, v[46:47]
	v_cmp_gt_i32_e32 vcc, 16, v5
	v_cndmask_b32_e32 v7, 0, v7, vcc
	v_cndmask_b32_e32 v6, 7, v6, vcc
	v_cmp_eq_u32_e32 vcc, 0, v5
	v_min_i32_e32 v5, 15, v5
	v_cmp_eq_u64_e64 s[40:41], 0, v[6:7]
	v_lshlrev_b32_e32 v5, 3, v5
	v_and_b32_e32 v5, 0xf8, v5
	v_and_or_b32 v5, v6, 7, v5
	s_and_b64 s[40:41], vcc, s[40:41]
	v_cndmask_b32_e64 v5, v5, 0, s[40:41]
	v_or_b32_e32 v6, v5, v0
.LBB2_7076:                             ;   in Loop: Header=BB2_7030 Depth=3
	s_or_b64 exec, exec, s[48:49]
                                        ; implicit-def: $vgpr0
.LBB2_7077:                             ;   in Loop: Header=BB2_7030 Depth=3
	s_andn2_saveexec_b64 s[40:41], s[38:39]
; %bb.7078:                             ;   in Loop: Header=BB2_7030 Depth=3
	v_or_b32_e32 v6, 0x7e, v0
; %bb.7079:                             ;   in Loop: Header=BB2_7030 Depth=3
	s_or_b64 exec, exec, s[40:41]
                                        ; implicit-def: $vgpr5
.LBB2_7080:                             ;   in Loop: Header=BB2_7030 Depth=3
	s_andn2_saveexec_b64 s[40:41], s[36:37]
; %bb.7081:                             ;   in Loop: Header=BB2_7030 Depth=3
	v_or_b32_sdwa v6, v5, s85 dst_sel:DWORD dst_unused:UNUSED_PAD src0_sel:BYTE_3 src1_sel:DWORD
; %bb.7082:                             ;   in Loop: Header=BB2_7030 Depth=3
	s_or_b64 exec, exec, s[40:41]
	v_lshrrev_b32_e32 v28, 16, v8
	v_cmp_ne_u16_sdwa vcc, v28, v29 src0_sel:BYTE_0 src1_sel:DWORD
	v_mov_b32_e32 v0, 0
	s_and_saveexec_b64 s[40:41], vcc
	s_cbranch_execz .LBB2_7088
; %bb.7083:                             ;   in Loop: Header=BB2_7030 Depth=3
	v_cmp_ne_u16_sdwa vcc, v28, s87 src0_sel:BYTE_0 src1_sel:DWORD
	v_bfrev_b32_e32 v0, 1
	s_and_saveexec_b64 s[36:37], vcc
	s_cbranch_execz .LBB2_7087
; %bb.7084:                             ;   in Loop: Header=BB2_7030 Depth=3
	v_bfe_u32 v5, v8, 16, 7
	v_cmp_ne_u32_e32 vcc, s85, v5
	v_mov_b32_e32 v0, 0x7f800001
	s_and_saveexec_b64 s[38:39], vcc
	s_cbranch_execz .LBB2_7086
; %bb.7085:                             ;   in Loop: Header=BB2_7030 Depth=3
	v_and_b32_e32 v0, 7, v28
	v_lshrrev_b32_e32 v7, 3, v5
	v_cmp_gt_u32_e32 vcc, 8, v5
	v_ffbh_u32_e32 v5, v0
	v_min_u32_e32 v5, 32, v5
	v_subrev_u32_e32 v16, 28, v5
	v_lshlrev_b64 v[22:23], v16, v[28:29]
	v_sub_u32_e32 v5, 29, v5
	v_and_b32_e32 v16, 7, v22
	v_cndmask_b32_e32 v5, v7, v5, vcc
	v_cndmask_b32_e32 v0, v0, v16, vcc
	v_lshlrev_b32_e32 v7, 24, v28
	v_lshlrev_b32_e32 v0, 20, v0
	v_and_b32_e32 v7, 0x80000000, v7
	v_lshl_add_u32 v5, v5, 23, v17
	v_or3_b32 v0, v7, v5, v0
.LBB2_7086:                             ;   in Loop: Header=BB2_7030 Depth=3
	s_or_b64 exec, exec, s[38:39]
.LBB2_7087:                             ;   in Loop: Header=BB2_7030 Depth=3
	s_or_b64 exec, exec, s[36:37]
.LBB2_7088:                             ;   in Loop: Header=BB2_7030 Depth=3
	s_or_b64 exec, exec, s[40:41]
	v_mul_f32_e32 v5, v3, v0
	v_and_b32_e32 v28, 0x7f800000, v5
	v_cmp_ne_u64_e32 vcc, s[76:77], v[28:29]
                                        ; implicit-def: $vgpr25
	s_and_saveexec_b64 s[40:41], vcc
	s_xor_b64 s[36:37], exec, s[40:41]
	s_cbranch_execz .LBB2_7102
; %bb.7089:                             ;   in Loop: Header=BB2_7030 Depth=3
	v_and_b32_e32 v28, 0x7fffffff, v5
	v_cmp_gt_u64_e32 vcc, s[78:79], v[28:29]
	v_and_b32_sdwa v0, v5, s87 dst_sel:DWORD dst_unused:UNUSED_PAD src0_sel:BYTE_3 src1_sel:DWORD
                                        ; implicit-def: $vgpr25
	s_and_saveexec_b64 s[40:41], vcc
	s_xor_b64 s[38:39], exec, s[40:41]
	s_cbranch_execz .LBB2_7099
; %bb.7090:                             ;   in Loop: Header=BB2_7030 Depth=3
	v_mov_b32_e32 v25, 0
	v_cmp_ne_u32_e32 vcc, 0, v5
	s_and_saveexec_b64 s[48:49], vcc
	s_cbranch_execz .LBB2_7098
; %bb.7091:                             ;   in Loop: Header=BB2_7030 Depth=3
	v_and_b32_e32 v16, 0x7fffff, v5
	v_bfe_u32 v5, v5, 23, 8
	v_cmp_gt_u32_e64 s[40:41], s96, v5
	v_sub_u32_e32 v7, 0x79, v5
	v_cmp_eq_u32_e32 vcc, 0, v5
	v_cndmask_b32_e64 v7, 0, v7, s[40:41]
	v_or_b32_e32 v18, 0x800000, v16
	v_cndmask_b32_e32 v7, v7, v36, vcc
	v_cndmask_b32_e32 v28, v18, v16, vcc
	v_add_u32_e32 v16, 20, v7
	v_lshlrev_b64 v[22:23], v16, -1
	v_add_u32_e32 v16, 19, v7
	v_lshlrev_b64 v[33:34], v16, 1
	v_lshrrev_b64 v[46:47], v7, v[28:29]
	v_bfi_b32 v23, v23, 0, 0
	v_bfi_b32 v22, v22, 0, v28
	v_cmp_eq_u64_e64 s[40:41], v[22:23], v[33:34]
	v_mov_b32_e32 v56, v47
	v_mov_b32_e32 v55, v46
	s_and_saveexec_b64 s[50:51], s[40:41]
; %bb.7092:                             ;   in Loop: Header=BB2_7030 Depth=3
	v_bfe_u32 v16, v46, 20, 1
	v_add_co_u32_e64 v16, s[40:41], v46, v16
	v_add_co_u32_e64 v55, s[40:41], -1, v16
; %bb.7093:                             ;   in Loop: Header=BB2_7030 Depth=3
	s_or_b64 exec, exec, s[50:51]
	v_add_u32_e32 v5, 0xffffff81, v5
	v_cndmask_b32_e32 v5, v5, v37, vcc
	v_lshrrev_b32_e32 v16, 23, v46
	v_add3_u32 v16, v7, v5, v16
	v_add_u32_e32 v7, 6, v16
	v_and_b32_e32 v5, 0xfffff, v55
	v_add_u32_e32 v28, v5, v46
	v_cmp_ne_u32_e32 vcc, 0, v7
                                        ; implicit-def: $vgpr46_vgpr47
                                        ; implicit-def: $vgpr5
	s_and_saveexec_b64 s[40:41], vcc
	s_xor_b64 s[40:41], exec, s[40:41]
; %bb.7094:                             ;   in Loop: Header=BB2_7030 Depth=3
	v_cmp_lt_u64_e32 vcc, s[88:89], v[28:29]
	v_add_u32_e32 v5, 7, v16
	v_cndmask_b32_e32 v5, v7, v5, vcc
	v_cndmask_b32_e64 v7, 0, 1, vcc
	v_lshrrev_b64 v[46:47], v7, v[28:29]
; %bb.7095:                             ;   in Loop: Header=BB2_7030 Depth=3
	s_andn2_saveexec_b64 s[40:41], s[40:41]
; %bb.7096:                             ;   in Loop: Header=BB2_7030 Depth=3
	v_mov_b32_e32 v47, v29
	v_bfe_u32 v5, v28, 23, 1
	v_mov_b32_e32 v46, v28
; %bb.7097:                             ;   in Loop: Header=BB2_7030 Depth=3
	s_or_b64 exec, exec, s[40:41]
	v_lshrrev_b64 v[22:23], 20, v[46:47]
	v_cmp_gt_i32_e32 vcc, 16, v5
	v_cndmask_b32_e32 v23, 0, v23, vcc
	v_cndmask_b32_e32 v22, 7, v22, vcc
	v_cmp_eq_u32_e32 vcc, 0, v5
	v_min_i32_e32 v5, 15, v5
	v_cmp_eq_u64_e64 s[40:41], 0, v[22:23]
	v_lshlrev_b32_e32 v5, 3, v5
	v_and_b32_e32 v5, 0xf8, v5
	v_and_or_b32 v5, v22, 7, v5
	s_and_b64 s[40:41], vcc, s[40:41]
	v_cndmask_b32_e64 v5, v5, 0, s[40:41]
	v_or_b32_e32 v25, v5, v0
.LBB2_7098:                             ;   in Loop: Header=BB2_7030 Depth=3
	s_or_b64 exec, exec, s[48:49]
                                        ; implicit-def: $vgpr0
.LBB2_7099:                             ;   in Loop: Header=BB2_7030 Depth=3
	s_andn2_saveexec_b64 s[40:41], s[38:39]
; %bb.7100:                             ;   in Loop: Header=BB2_7030 Depth=3
	v_or_b32_e32 v25, 0x7e, v0
; %bb.7101:                             ;   in Loop: Header=BB2_7030 Depth=3
	s_or_b64 exec, exec, s[40:41]
                                        ; implicit-def: $vgpr5
.LBB2_7102:                             ;   in Loop: Header=BB2_7030 Depth=3
	s_andn2_saveexec_b64 s[40:41], s[36:37]
; %bb.7103:                             ;   in Loop: Header=BB2_7030 Depth=3
	v_or_b32_sdwa v25, v5, s85 dst_sel:DWORD dst_unused:UNUSED_PAD src0_sel:BYTE_3 src1_sel:DWORD
; %bb.7104:                             ;   in Loop: Header=BB2_7030 Depth=3
	s_or_b64 exec, exec, s[40:41]
	v_cmp_lt_u32_e32 vcc, s57, v8
	v_mov_b32_e32 v0, 0
	s_and_saveexec_b64 s[40:41], vcc
	s_cbranch_execz .LBB2_7110
; %bb.7105:                             ;   in Loop: Header=BB2_7030 Depth=3
	v_lshrrev_b32_e32 v28, 24, v8
	v_cmp_ne_u32_e32 vcc, s87, v28
	v_bfrev_b32_e32 v0, 1
	s_and_saveexec_b64 s[36:37], vcc
	s_cbranch_execz .LBB2_7109
; %bb.7106:                             ;   in Loop: Header=BB2_7030 Depth=3
	v_bfe_u32 v5, v8, 24, 7
	v_cmp_ne_u32_e32 vcc, s85, v5
	v_mov_b32_e32 v0, 0x7f800001
	s_and_saveexec_b64 s[38:39], vcc
	s_cbranch_execz .LBB2_7108
; %bb.7107:                             ;   in Loop: Header=BB2_7030 Depth=3
	v_and_b32_e32 v0, 7, v28
	v_lshrrev_b32_e32 v7, 3, v5
	v_cmp_gt_u32_e32 vcc, 8, v5
	v_ffbh_u32_e32 v5, v0
	v_min_u32_e32 v5, 32, v5
	v_subrev_u32_e32 v16, 28, v5
	v_lshlrev_b64 v[22:23], v16, v[28:29]
	v_sub_u32_e32 v5, 29, v5
	v_and_b32_e32 v16, 7, v22
	v_cndmask_b32_e32 v5, v7, v5, vcc
	v_cndmask_b32_e32 v0, v0, v16, vcc
	v_lshlrev_b32_e32 v7, 24, v28
	v_lshlrev_b32_e32 v0, 20, v0
	v_and_b32_e32 v7, 0x80000000, v7
	v_lshl_add_u32 v5, v5, 23, v17
	v_or3_b32 v0, v7, v5, v0
.LBB2_7108:                             ;   in Loop: Header=BB2_7030 Depth=3
	s_or_b64 exec, exec, s[38:39]
.LBB2_7109:                             ;   in Loop: Header=BB2_7030 Depth=3
	s_or_b64 exec, exec, s[36:37]
.LBB2_7110:                             ;   in Loop: Header=BB2_7030 Depth=3
	s_or_b64 exec, exec, s[40:41]
	v_mul_f32_e32 v5, v3, v0
	v_and_b32_e32 v28, 0x7f800000, v5
	v_cmp_ne_u64_e32 vcc, s[76:77], v[28:29]
                                        ; implicit-def: $vgpr34
	s_and_saveexec_b64 s[40:41], vcc
	s_xor_b64 s[36:37], exec, s[40:41]
	s_cbranch_execz .LBB2_7124
; %bb.7111:                             ;   in Loop: Header=BB2_7030 Depth=3
	v_and_b32_e32 v28, 0x7fffffff, v5
	v_cmp_gt_u64_e32 vcc, s[78:79], v[28:29]
	v_and_b32_sdwa v0, v5, s87 dst_sel:DWORD dst_unused:UNUSED_PAD src0_sel:BYTE_3 src1_sel:DWORD
                                        ; implicit-def: $vgpr34
	s_and_saveexec_b64 s[40:41], vcc
	s_xor_b64 s[38:39], exec, s[40:41]
	s_cbranch_execz .LBB2_7121
; %bb.7112:                             ;   in Loop: Header=BB2_7030 Depth=3
	v_mov_b32_e32 v34, 0
	v_cmp_ne_u32_e32 vcc, 0, v5
	s_and_saveexec_b64 s[48:49], vcc
	s_cbranch_execz .LBB2_7120
; %bb.7113:                             ;   in Loop: Header=BB2_7030 Depth=3
	v_and_b32_e32 v16, 0x7fffff, v5
	v_bfe_u32 v5, v5, 23, 8
	v_cmp_gt_u32_e64 s[40:41], s96, v5
	v_sub_u32_e32 v7, 0x79, v5
	v_cmp_eq_u32_e32 vcc, 0, v5
	v_cndmask_b32_e64 v7, 0, v7, s[40:41]
	v_or_b32_e32 v18, 0x800000, v16
	v_cndmask_b32_e32 v7, v7, v36, vcc
	v_cndmask_b32_e32 v28, v18, v16, vcc
	v_add_u32_e32 v16, 20, v7
	v_lshlrev_b64 v[22:23], v16, -1
	v_add_u32_e32 v16, 19, v7
	v_lshlrev_b64 v[33:34], v16, 1
	v_lshrrev_b64 v[46:47], v7, v[28:29]
	v_bfi_b32 v23, v23, 0, 0
	v_bfi_b32 v22, v22, 0, v28
	v_cmp_eq_u64_e64 s[40:41], v[22:23], v[33:34]
	v_mov_b32_e32 v56, v47
	v_mov_b32_e32 v55, v46
	s_and_saveexec_b64 s[50:51], s[40:41]
; %bb.7114:                             ;   in Loop: Header=BB2_7030 Depth=3
	v_bfe_u32 v16, v46, 20, 1
	v_add_co_u32_e64 v16, s[40:41], v46, v16
	v_add_co_u32_e64 v55, s[40:41], -1, v16
; %bb.7115:                             ;   in Loop: Header=BB2_7030 Depth=3
	s_or_b64 exec, exec, s[50:51]
	v_add_u32_e32 v5, 0xffffff81, v5
	v_cndmask_b32_e32 v5, v5, v37, vcc
	v_lshrrev_b32_e32 v16, 23, v46
	v_add3_u32 v16, v7, v5, v16
	v_add_u32_e32 v7, 6, v16
	v_and_b32_e32 v5, 0xfffff, v55
	v_add_u32_e32 v28, v5, v46
	v_cmp_ne_u32_e32 vcc, 0, v7
                                        ; implicit-def: $vgpr46_vgpr47
                                        ; implicit-def: $vgpr5
	s_and_saveexec_b64 s[40:41], vcc
	s_xor_b64 s[40:41], exec, s[40:41]
; %bb.7116:                             ;   in Loop: Header=BB2_7030 Depth=3
	v_cmp_lt_u64_e32 vcc, s[88:89], v[28:29]
	v_add_u32_e32 v5, 7, v16
	v_cndmask_b32_e32 v5, v7, v5, vcc
	v_cndmask_b32_e64 v7, 0, 1, vcc
	v_lshrrev_b64 v[46:47], v7, v[28:29]
; %bb.7117:                             ;   in Loop: Header=BB2_7030 Depth=3
	s_andn2_saveexec_b64 s[40:41], s[40:41]
; %bb.7118:                             ;   in Loop: Header=BB2_7030 Depth=3
	v_mov_b32_e32 v47, v29
	v_bfe_u32 v5, v28, 23, 1
	v_mov_b32_e32 v46, v28
; %bb.7119:                             ;   in Loop: Header=BB2_7030 Depth=3
	s_or_b64 exec, exec, s[40:41]
	v_lshrrev_b64 v[22:23], 20, v[46:47]
	v_cmp_gt_i32_e32 vcc, 16, v5
	v_cndmask_b32_e32 v23, 0, v23, vcc
	v_cndmask_b32_e32 v22, 7, v22, vcc
	v_cmp_eq_u32_e32 vcc, 0, v5
	v_min_i32_e32 v5, 15, v5
	v_cmp_eq_u64_e64 s[40:41], 0, v[22:23]
	v_lshlrev_b32_e32 v5, 3, v5
	v_and_b32_e32 v5, 0xf8, v5
	v_and_or_b32 v5, v22, 7, v5
	s_and_b64 s[40:41], vcc, s[40:41]
	v_cndmask_b32_e64 v5, v5, 0, s[40:41]
	v_or_b32_e32 v34, v5, v0
.LBB2_7120:                             ;   in Loop: Header=BB2_7030 Depth=3
	s_or_b64 exec, exec, s[48:49]
                                        ; implicit-def: $vgpr0
.LBB2_7121:                             ;   in Loop: Header=BB2_7030 Depth=3
	s_andn2_saveexec_b64 s[40:41], s[38:39]
; %bb.7122:                             ;   in Loop: Header=BB2_7030 Depth=3
	v_or_b32_e32 v34, 0x7e, v0
; %bb.7123:                             ;   in Loop: Header=BB2_7030 Depth=3
	s_or_b64 exec, exec, s[40:41]
                                        ; implicit-def: $vgpr5
.LBB2_7124:                             ;   in Loop: Header=BB2_7030 Depth=3
	s_andn2_saveexec_b64 s[40:41], s[36:37]
; %bb.7125:                             ;   in Loop: Header=BB2_7030 Depth=3
	v_or_b32_sdwa v34, v5, s85 dst_sel:DWORD dst_unused:UNUSED_PAD src0_sel:BYTE_3 src1_sel:DWORD
; %bb.7126:                             ;   in Loop: Header=BB2_7030 Depth=3
	s_or_b64 exec, exec, s[40:41]
	v_mov_b32_e32 v28, v9
	v_cmp_ne_u16_sdwa vcc, v9, v29 src0_sel:BYTE_0 src1_sel:DWORD
	v_mov_b32_e32 v0, 0
	s_and_saveexec_b64 s[40:41], vcc
	s_cbranch_execz .LBB2_7132
; %bb.7127:                             ;   in Loop: Header=BB2_7030 Depth=3
	v_cmp_ne_u16_sdwa vcc, v9, s87 src0_sel:BYTE_0 src1_sel:DWORD
	v_bfrev_b32_e32 v0, 1
	s_and_saveexec_b64 s[36:37], vcc
	s_cbranch_execz .LBB2_7131
; %bb.7128:                             ;   in Loop: Header=BB2_7030 Depth=3
	v_and_b32_e32 v5, 0x7f, v9
	v_cmp_ne_u32_e32 vcc, s85, v5
	v_mov_b32_e32 v0, 0x7f800001
	s_and_saveexec_b64 s[38:39], vcc
	s_cbranch_execz .LBB2_7130
; %bb.7129:                             ;   in Loop: Header=BB2_7030 Depth=3
	v_and_b32_e32 v0, 7, v9
	v_ffbh_u32_e32 v0, v0
	v_min_u32_e32 v0, 32, v0
	v_lshrrev_b32_e32 v7, 3, v5
	v_cmp_gt_u32_e32 vcc, 8, v5
	v_subrev_u32_e32 v5, 28, v0
	v_cndmask_b32_e32 v5, 0, v5, vcc
	v_lshlrev_b64 v[22:23], v5, v[28:29]
	v_sub_u32_e32 v0, 29, v0
	v_cndmask_b32_e32 v0, v7, v0, vcc
	v_lshlrev_b32_e32 v5, 20, v22
	v_lshlrev_b32_e32 v7, 24, v28
	v_and_b32_e32 v5, 0x700000, v5
	v_and_b32_e32 v7, 0x80000000, v7
	v_lshl_add_u32 v0, v0, 23, v17
	v_or3_b32 v0, v7, v0, v5
.LBB2_7130:                             ;   in Loop: Header=BB2_7030 Depth=3
	s_or_b64 exec, exec, s[38:39]
.LBB2_7131:                             ;   in Loop: Header=BB2_7030 Depth=3
	s_or_b64 exec, exec, s[36:37]
.LBB2_7132:                             ;   in Loop: Header=BB2_7030 Depth=3
	s_or_b64 exec, exec, s[40:41]
	v_mul_f32_e32 v5, v3, v0
	v_and_b32_e32 v22, 0x7f800000, v5
	v_mov_b32_e32 v23, v29
	v_cmp_ne_u64_e32 vcc, s[76:77], v[22:23]
                                        ; implicit-def: $vgpr51
	s_and_saveexec_b64 s[40:41], vcc
	s_xor_b64 s[36:37], exec, s[40:41]
	s_cbranch_execz .LBB2_7146
; %bb.7133:                             ;   in Loop: Header=BB2_7030 Depth=3
	v_and_b32_e32 v22, 0x7fffffff, v5
	v_mov_b32_e32 v23, v29
	v_cmp_gt_u64_e32 vcc, s[78:79], v[22:23]
	v_and_b32_sdwa v0, v5, s87 dst_sel:DWORD dst_unused:UNUSED_PAD src0_sel:BYTE_3 src1_sel:DWORD
                                        ; implicit-def: $vgpr51
	s_and_saveexec_b64 s[40:41], vcc
	s_xor_b64 s[38:39], exec, s[40:41]
	s_cbranch_execz .LBB2_7143
; %bb.7134:                             ;   in Loop: Header=BB2_7030 Depth=3
	v_mov_b32_e32 v51, 0
	v_cmp_ne_u32_e32 vcc, 0, v5
	s_and_saveexec_b64 s[48:49], vcc
	s_cbranch_execz .LBB2_7142
; %bb.7135:                             ;   in Loop: Header=BB2_7030 Depth=3
	v_and_b32_e32 v16, 0x7fffff, v5
	v_bfe_u32 v5, v5, 23, 8
	v_cmp_gt_u32_e64 s[40:41], s96, v5
	v_sub_u32_e32 v7, 0x79, v5
	v_cmp_eq_u32_e32 vcc, 0, v5
	v_cndmask_b32_e64 v7, 0, v7, s[40:41]
	v_or_b32_e32 v18, 0x800000, v16
	v_cndmask_b32_e32 v7, v7, v36, vcc
	v_cndmask_b32_e32 v22, v18, v16, vcc
	v_add_u32_e32 v16, 20, v7
	v_mov_b32_e32 v23, v29
	v_lshlrev_b64 v[48:49], v16, -1
	v_add_u32_e32 v16, 19, v7
	v_lshlrev_b64 v[51:52], v16, 1
	v_lshrrev_b64 v[46:47], v7, v[22:23]
	v_bfi_b32 v49, v49, 0, 0
	v_bfi_b32 v48, v48, 0, v22
	v_cmp_eq_u64_e64 s[40:41], v[48:49], v[51:52]
	v_mov_b32_e32 v56, v47
	v_mov_b32_e32 v55, v46
	s_and_saveexec_b64 s[50:51], s[40:41]
; %bb.7136:                             ;   in Loop: Header=BB2_7030 Depth=3
	v_bfe_u32 v16, v46, 20, 1
	v_add_co_u32_e64 v16, s[40:41], v46, v16
	v_add_co_u32_e64 v55, s[40:41], -1, v16
; %bb.7137:                             ;   in Loop: Header=BB2_7030 Depth=3
	s_or_b64 exec, exec, s[50:51]
	v_add_u32_e32 v5, 0xffffff81, v5
	v_cndmask_b32_e32 v5, v5, v37, vcc
	v_lshrrev_b32_e32 v16, 23, v46
	v_add3_u32 v16, v7, v5, v16
	v_add_u32_e32 v7, 6, v16
	v_and_b32_e32 v5, 0xfffff, v55
	v_add_u32_e32 v46, v5, v46
	v_mov_b32_e32 v47, v29
	v_cmp_ne_u32_e32 vcc, 0, v7
                                        ; implicit-def: $vgpr5
	s_and_saveexec_b64 s[40:41], vcc
	s_xor_b64 s[40:41], exec, s[40:41]
; %bb.7138:                             ;   in Loop: Header=BB2_7030 Depth=3
	v_cmp_lt_u64_e32 vcc, s[88:89], v[46:47]
	v_add_u32_e32 v5, 7, v16
	v_cndmask_b32_e32 v5, v7, v5, vcc
	v_cndmask_b32_e64 v7, 0, 1, vcc
	v_lshrrev_b64 v[46:47], v7, v[46:47]
; %bb.7139:                             ;   in Loop: Header=BB2_7030 Depth=3
	s_andn2_saveexec_b64 s[40:41], s[40:41]
; %bb.7140:                             ;   in Loop: Header=BB2_7030 Depth=3
	v_bfe_u32 v5, v46, 23, 1
; %bb.7141:                             ;   in Loop: Header=BB2_7030 Depth=3
	s_or_b64 exec, exec, s[40:41]
	v_lshrrev_b64 v[22:23], 20, v[46:47]
	v_cmp_gt_i32_e32 vcc, 16, v5
	v_cndmask_b32_e32 v23, 0, v23, vcc
	v_cndmask_b32_e32 v22, 7, v22, vcc
	v_cmp_eq_u32_e32 vcc, 0, v5
	v_min_i32_e32 v5, 15, v5
	v_cmp_eq_u64_e64 s[40:41], 0, v[22:23]
	v_lshlrev_b32_e32 v5, 3, v5
	v_and_b32_e32 v5, 0xf8, v5
	v_and_or_b32 v5, v22, 7, v5
	s_and_b64 s[40:41], vcc, s[40:41]
	v_cndmask_b32_e64 v5, v5, 0, s[40:41]
	v_or_b32_e32 v51, v5, v0
.LBB2_7142:                             ;   in Loop: Header=BB2_7030 Depth=3
	s_or_b64 exec, exec, s[48:49]
                                        ; implicit-def: $vgpr0
.LBB2_7143:                             ;   in Loop: Header=BB2_7030 Depth=3
	s_andn2_saveexec_b64 s[40:41], s[38:39]
; %bb.7144:                             ;   in Loop: Header=BB2_7030 Depth=3
	v_or_b32_e32 v51, 0x7e, v0
; %bb.7145:                             ;   in Loop: Header=BB2_7030 Depth=3
	s_or_b64 exec, exec, s[40:41]
                                        ; implicit-def: $vgpr5
.LBB2_7146:                             ;   in Loop: Header=BB2_7030 Depth=3
	s_andn2_saveexec_b64 s[40:41], s[36:37]
; %bb.7147:                             ;   in Loop: Header=BB2_7030 Depth=3
	v_or_b32_sdwa v51, v5, s85 dst_sel:DWORD dst_unused:UNUSED_PAD src0_sel:BYTE_3 src1_sel:DWORD
; %bb.7148:                             ;   in Loop: Header=BB2_7030 Depth=3
	s_or_b64 exec, exec, s[40:41]
	v_lshrrev_b16_e32 v30, 8, v28
	v_cmp_ne_u16_e32 vcc, 0, v30
	v_mov_b32_e32 v0, 0
	s_and_saveexec_b64 s[40:41], vcc
	s_cbranch_execz .LBB2_7154
; %bb.7149:                             ;   in Loop: Header=BB2_7030 Depth=3
	v_cmp_ne_u16_e32 vcc, s87, v30
	v_bfrev_b32_e32 v0, 1
	s_and_saveexec_b64 s[36:37], vcc
	s_cbranch_execz .LBB2_7153
; %bb.7150:                             ;   in Loop: Header=BB2_7030 Depth=3
	v_and_b32_e32 v5, 0x7f, v30
	v_cmp_ne_u32_e32 vcc, s85, v5
	v_mov_b32_e32 v0, 0x7f800001
	s_and_saveexec_b64 s[38:39], vcc
	s_cbranch_execz .LBB2_7152
; %bb.7151:                             ;   in Loop: Header=BB2_7030 Depth=3
	v_and_b32_e32 v0, 7, v30
	v_lshrrev_b32_e32 v7, 3, v5
	v_cmp_gt_u32_e32 vcc, 8, v5
	v_ffbh_u32_e32 v5, v0
	v_min_u32_e32 v5, 32, v5
	v_subrev_u32_e32 v16, 28, v5
	v_lshlrev_b64 v[22:23], v16, v[30:31]
	v_sub_u32_e32 v5, 29, v5
	v_and_b32_e32 v16, 7, v22
	v_cndmask_b32_e32 v5, v7, v5, vcc
	v_cndmask_b32_e32 v0, v0, v16, vcc
	v_lshlrev_b32_e32 v7, 16, v28
	v_lshlrev_b32_e32 v0, 20, v0
	v_and_b32_e32 v7, 0x80000000, v7
	v_lshl_add_u32 v5, v5, 23, v17
	v_or3_b32 v0, v7, v5, v0
.LBB2_7152:                             ;   in Loop: Header=BB2_7030 Depth=3
	s_or_b64 exec, exec, s[38:39]
.LBB2_7153:                             ;   in Loop: Header=BB2_7030 Depth=3
	s_or_b64 exec, exec, s[36:37]
.LBB2_7154:                             ;   in Loop: Header=BB2_7030 Depth=3
	s_or_b64 exec, exec, s[40:41]
	v_mul_f32_e32 v5, v3, v0
	v_and_b32_e32 v28, 0x7f800000, v5
	v_cmp_ne_u64_e32 vcc, s[76:77], v[28:29]
                                        ; implicit-def: $vgpr57
	s_and_saveexec_b64 s[40:41], vcc
	s_xor_b64 s[36:37], exec, s[40:41]
	s_cbranch_execz .LBB2_7168
; %bb.7155:                             ;   in Loop: Header=BB2_7030 Depth=3
	v_and_b32_e32 v28, 0x7fffffff, v5
	v_cmp_gt_u64_e32 vcc, s[78:79], v[28:29]
	v_and_b32_sdwa v0, v5, s87 dst_sel:DWORD dst_unused:UNUSED_PAD src0_sel:BYTE_3 src1_sel:DWORD
                                        ; implicit-def: $vgpr57
	s_and_saveexec_b64 s[40:41], vcc
	s_xor_b64 s[38:39], exec, s[40:41]
	s_cbranch_execz .LBB2_7165
; %bb.7156:                             ;   in Loop: Header=BB2_7030 Depth=3
	v_mov_b32_e32 v57, 0
	v_cmp_ne_u32_e32 vcc, 0, v5
	s_and_saveexec_b64 s[48:49], vcc
	s_cbranch_execz .LBB2_7164
; %bb.7157:                             ;   in Loop: Header=BB2_7030 Depth=3
	v_and_b32_e32 v16, 0x7fffff, v5
	v_bfe_u32 v5, v5, 23, 8
	v_cmp_gt_u32_e64 s[40:41], s96, v5
	v_sub_u32_e32 v7, 0x79, v5
	v_cmp_eq_u32_e32 vcc, 0, v5
	v_cndmask_b32_e64 v7, 0, v7, s[40:41]
	v_or_b32_e32 v18, 0x800000, v16
	v_cndmask_b32_e32 v7, v7, v36, vcc
	v_cndmask_b32_e32 v28, v18, v16, vcc
	v_add_u32_e32 v16, 20, v7
	v_lshlrev_b64 v[22:23], v16, -1
	v_add_u32_e32 v16, 19, v7
	v_lshlrev_b64 v[48:49], v16, 1
	v_lshrrev_b64 v[46:47], v7, v[28:29]
	v_bfi_b32 v23, v23, 0, 0
	v_bfi_b32 v22, v22, 0, v28
	v_cmp_eq_u64_e64 s[40:41], v[22:23], v[48:49]
	v_mov_b32_e32 v56, v47
	v_mov_b32_e32 v55, v46
	s_and_saveexec_b64 s[50:51], s[40:41]
; %bb.7158:                             ;   in Loop: Header=BB2_7030 Depth=3
	v_bfe_u32 v16, v46, 20, 1
	v_add_co_u32_e64 v16, s[40:41], v46, v16
	v_add_co_u32_e64 v55, s[40:41], -1, v16
; %bb.7159:                             ;   in Loop: Header=BB2_7030 Depth=3
	s_or_b64 exec, exec, s[50:51]
	v_add_u32_e32 v5, 0xffffff81, v5
	v_cndmask_b32_e32 v5, v5, v37, vcc
	v_lshrrev_b32_e32 v16, 23, v46
	v_add3_u32 v16, v7, v5, v16
	v_add_u32_e32 v7, 6, v16
	v_and_b32_e32 v5, 0xfffff, v55
	v_add_u32_e32 v28, v5, v46
	v_cmp_ne_u32_e32 vcc, 0, v7
                                        ; implicit-def: $vgpr46_vgpr47
                                        ; implicit-def: $vgpr5
	s_and_saveexec_b64 s[40:41], vcc
	s_xor_b64 s[40:41], exec, s[40:41]
; %bb.7160:                             ;   in Loop: Header=BB2_7030 Depth=3
	v_cmp_lt_u64_e32 vcc, s[88:89], v[28:29]
	v_add_u32_e32 v5, 7, v16
	v_cndmask_b32_e32 v5, v7, v5, vcc
	v_cndmask_b32_e64 v7, 0, 1, vcc
	v_lshrrev_b64 v[46:47], v7, v[28:29]
; %bb.7161:                             ;   in Loop: Header=BB2_7030 Depth=3
	s_andn2_saveexec_b64 s[40:41], s[40:41]
; %bb.7162:                             ;   in Loop: Header=BB2_7030 Depth=3
	v_mov_b32_e32 v47, v29
	v_bfe_u32 v5, v28, 23, 1
	v_mov_b32_e32 v46, v28
; %bb.7163:                             ;   in Loop: Header=BB2_7030 Depth=3
	s_or_b64 exec, exec, s[40:41]
	v_lshrrev_b64 v[22:23], 20, v[46:47]
	v_cmp_gt_i32_e32 vcc, 16, v5
	v_cndmask_b32_e32 v23, 0, v23, vcc
	v_cndmask_b32_e32 v22, 7, v22, vcc
	v_cmp_eq_u32_e32 vcc, 0, v5
	v_min_i32_e32 v5, 15, v5
	v_cmp_eq_u64_e64 s[40:41], 0, v[22:23]
	v_lshlrev_b32_e32 v5, 3, v5
	v_and_b32_e32 v5, 0xf8, v5
	v_and_or_b32 v5, v22, 7, v5
	s_and_b64 s[40:41], vcc, s[40:41]
	v_cndmask_b32_e64 v5, v5, 0, s[40:41]
	v_or_b32_e32 v57, v5, v0
.LBB2_7164:                             ;   in Loop: Header=BB2_7030 Depth=3
	s_or_b64 exec, exec, s[48:49]
                                        ; implicit-def: $vgpr0
.LBB2_7165:                             ;   in Loop: Header=BB2_7030 Depth=3
	s_andn2_saveexec_b64 s[40:41], s[38:39]
; %bb.7166:                             ;   in Loop: Header=BB2_7030 Depth=3
	v_or_b32_e32 v57, 0x7e, v0
; %bb.7167:                             ;   in Loop: Header=BB2_7030 Depth=3
	s_or_b64 exec, exec, s[40:41]
                                        ; implicit-def: $vgpr5
.LBB2_7168:                             ;   in Loop: Header=BB2_7030 Depth=3
	s_andn2_saveexec_b64 s[40:41], s[36:37]
; %bb.7169:                             ;   in Loop: Header=BB2_7030 Depth=3
	v_or_b32_sdwa v57, v5, s85 dst_sel:DWORD dst_unused:UNUSED_PAD src0_sel:BYTE_3 src1_sel:DWORD
; %bb.7170:                             ;   in Loop: Header=BB2_7030 Depth=3
	s_or_b64 exec, exec, s[40:41]
	v_lshrrev_b32_e32 v28, 16, v9
	v_cmp_ne_u16_sdwa vcc, v28, v29 src0_sel:BYTE_0 src1_sel:DWORD
	v_mov_b32_e32 v0, 0
	s_and_saveexec_b64 s[40:41], vcc
	s_cbranch_execz .LBB2_7176
; %bb.7171:                             ;   in Loop: Header=BB2_7030 Depth=3
	v_cmp_ne_u16_sdwa vcc, v28, s87 src0_sel:BYTE_0 src1_sel:DWORD
	v_bfrev_b32_e32 v0, 1
	s_and_saveexec_b64 s[36:37], vcc
	s_cbranch_execz .LBB2_7175
; %bb.7172:                             ;   in Loop: Header=BB2_7030 Depth=3
	v_bfe_u32 v5, v9, 16, 7
	v_cmp_ne_u32_e32 vcc, s85, v5
	v_mov_b32_e32 v0, 0x7f800001
	s_and_saveexec_b64 s[38:39], vcc
	s_cbranch_execz .LBB2_7174
; %bb.7173:                             ;   in Loop: Header=BB2_7030 Depth=3
	v_and_b32_e32 v0, 7, v28
	v_lshrrev_b32_e32 v7, 3, v5
	v_cmp_gt_u32_e32 vcc, 8, v5
	v_ffbh_u32_e32 v5, v0
	v_min_u32_e32 v5, 32, v5
	v_subrev_u32_e32 v16, 28, v5
	v_lshlrev_b64 v[22:23], v16, v[28:29]
	v_sub_u32_e32 v5, 29, v5
	v_and_b32_e32 v16, 7, v22
	v_cndmask_b32_e32 v5, v7, v5, vcc
	v_cndmask_b32_e32 v0, v0, v16, vcc
	v_lshlrev_b32_e32 v7, 24, v28
	v_lshlrev_b32_e32 v0, 20, v0
	v_and_b32_e32 v7, 0x80000000, v7
	v_lshl_add_u32 v5, v5, 23, v17
	v_or3_b32 v0, v7, v5, v0
.LBB2_7174:                             ;   in Loop: Header=BB2_7030 Depth=3
	s_or_b64 exec, exec, s[38:39]
.LBB2_7175:                             ;   in Loop: Header=BB2_7030 Depth=3
	s_or_b64 exec, exec, s[36:37]
.LBB2_7176:                             ;   in Loop: Header=BB2_7030 Depth=3
	s_or_b64 exec, exec, s[40:41]
	v_mul_f32_e32 v5, v3, v0
	v_and_b32_e32 v28, 0x7f800000, v5
	v_cmp_ne_u64_e32 vcc, s[76:77], v[28:29]
                                        ; implicit-def: $vgpr23
	s_and_saveexec_b64 s[40:41], vcc
	s_xor_b64 s[36:37], exec, s[40:41]
	s_cbranch_execz .LBB2_7190
; %bb.7177:                             ;   in Loop: Header=BB2_7030 Depth=3
	v_and_b32_e32 v28, 0x7fffffff, v5
	v_cmp_gt_u64_e32 vcc, s[78:79], v[28:29]
	v_and_b32_sdwa v0, v5, s87 dst_sel:DWORD dst_unused:UNUSED_PAD src0_sel:BYTE_3 src1_sel:DWORD
                                        ; implicit-def: $vgpr23
	s_and_saveexec_b64 s[40:41], vcc
	s_xor_b64 s[38:39], exec, s[40:41]
	s_cbranch_execz .LBB2_7187
; %bb.7178:                             ;   in Loop: Header=BB2_7030 Depth=3
	v_mov_b32_e32 v23, 0
	v_cmp_ne_u32_e32 vcc, 0, v5
	s_and_saveexec_b64 s[48:49], vcc
	s_cbranch_execz .LBB2_7186
; %bb.7179:                             ;   in Loop: Header=BB2_7030 Depth=3
	v_and_b32_e32 v16, 0x7fffff, v5
	v_bfe_u32 v5, v5, 23, 8
	v_cmp_gt_u32_e64 s[40:41], s96, v5
	v_sub_u32_e32 v7, 0x79, v5
	v_cmp_eq_u32_e32 vcc, 0, v5
	v_cndmask_b32_e64 v7, 0, v7, s[40:41]
	v_or_b32_e32 v18, 0x800000, v16
	v_cndmask_b32_e32 v7, v7, v36, vcc
	v_cndmask_b32_e32 v28, v18, v16, vcc
	v_add_u32_e32 v16, 20, v7
	v_lshlrev_b64 v[22:23], v16, -1
	v_add_u32_e32 v16, 19, v7
	v_lshlrev_b64 v[48:49], v16, 1
	v_lshrrev_b64 v[46:47], v7, v[28:29]
	v_bfi_b32 v23, v23, 0, 0
	v_bfi_b32 v22, v22, 0, v28
	v_cmp_eq_u64_e64 s[40:41], v[22:23], v[48:49]
	v_mov_b32_e32 v56, v47
	v_mov_b32_e32 v55, v46
	s_and_saveexec_b64 s[50:51], s[40:41]
; %bb.7180:                             ;   in Loop: Header=BB2_7030 Depth=3
	v_bfe_u32 v16, v46, 20, 1
	v_add_co_u32_e64 v16, s[40:41], v46, v16
	v_add_co_u32_e64 v55, s[40:41], -1, v16
; %bb.7181:                             ;   in Loop: Header=BB2_7030 Depth=3
	s_or_b64 exec, exec, s[50:51]
	v_add_u32_e32 v5, 0xffffff81, v5
	v_cndmask_b32_e32 v5, v5, v37, vcc
	v_lshrrev_b32_e32 v16, 23, v46
	v_add3_u32 v16, v7, v5, v16
	v_add_u32_e32 v7, 6, v16
	v_and_b32_e32 v5, 0xfffff, v55
	v_add_u32_e32 v28, v5, v46
	v_cmp_ne_u32_e32 vcc, 0, v7
                                        ; implicit-def: $vgpr46_vgpr47
                                        ; implicit-def: $vgpr5
	s_and_saveexec_b64 s[40:41], vcc
	s_xor_b64 s[40:41], exec, s[40:41]
; %bb.7182:                             ;   in Loop: Header=BB2_7030 Depth=3
	v_cmp_lt_u64_e32 vcc, s[88:89], v[28:29]
	v_add_u32_e32 v5, 7, v16
	v_cndmask_b32_e32 v5, v7, v5, vcc
	v_cndmask_b32_e64 v7, 0, 1, vcc
	v_lshrrev_b64 v[46:47], v7, v[28:29]
; %bb.7183:                             ;   in Loop: Header=BB2_7030 Depth=3
	s_andn2_saveexec_b64 s[40:41], s[40:41]
; %bb.7184:                             ;   in Loop: Header=BB2_7030 Depth=3
	v_mov_b32_e32 v47, v29
	v_bfe_u32 v5, v28, 23, 1
	v_mov_b32_e32 v46, v28
; %bb.7185:                             ;   in Loop: Header=BB2_7030 Depth=3
	s_or_b64 exec, exec, s[40:41]
	v_lshrrev_b64 v[22:23], 20, v[46:47]
	v_cmp_gt_i32_e32 vcc, 16, v5
	v_cndmask_b32_e32 v23, 0, v23, vcc
	v_cndmask_b32_e32 v22, 7, v22, vcc
	v_cmp_eq_u32_e32 vcc, 0, v5
	v_min_i32_e32 v5, 15, v5
	v_cmp_eq_u64_e64 s[40:41], 0, v[22:23]
	v_lshlrev_b32_e32 v5, 3, v5
	v_and_b32_e32 v5, 0xf8, v5
	v_and_or_b32 v5, v22, 7, v5
	s_and_b64 s[40:41], vcc, s[40:41]
	v_cndmask_b32_e64 v5, v5, 0, s[40:41]
	v_or_b32_e32 v23, v5, v0
.LBB2_7186:                             ;   in Loop: Header=BB2_7030 Depth=3
	s_or_b64 exec, exec, s[48:49]
                                        ; implicit-def: $vgpr0
.LBB2_7187:                             ;   in Loop: Header=BB2_7030 Depth=3
	s_andn2_saveexec_b64 s[40:41], s[38:39]
; %bb.7188:                             ;   in Loop: Header=BB2_7030 Depth=3
	v_or_b32_e32 v23, 0x7e, v0
; %bb.7189:                             ;   in Loop: Header=BB2_7030 Depth=3
	s_or_b64 exec, exec, s[40:41]
                                        ; implicit-def: $vgpr5
.LBB2_7190:                             ;   in Loop: Header=BB2_7030 Depth=3
	s_andn2_saveexec_b64 s[40:41], s[36:37]
; %bb.7191:                             ;   in Loop: Header=BB2_7030 Depth=3
	v_or_b32_sdwa v23, v5, s85 dst_sel:DWORD dst_unused:UNUSED_PAD src0_sel:BYTE_3 src1_sel:DWORD
; %bb.7192:                             ;   in Loop: Header=BB2_7030 Depth=3
	s_or_b64 exec, exec, s[40:41]
	v_cmp_lt_u64_e32 vcc, s[56:57], v[8:9]
	v_mov_b32_e32 v0, 0
	s_and_saveexec_b64 s[40:41], vcc
	s_cbranch_execz .LBB2_7198
; %bb.7193:                             ;   in Loop: Header=BB2_7030 Depth=3
	v_lshrrev_b32_e32 v8, 24, v9
	v_cmp_ne_u32_e32 vcc, s87, v8
	v_bfrev_b32_e32 v0, 1
	s_and_saveexec_b64 s[36:37], vcc
	s_cbranch_execz .LBB2_7197
; %bb.7194:                             ;   in Loop: Header=BB2_7030 Depth=3
	v_bfe_u32 v5, v9, 24, 7
	v_cmp_ne_u32_e32 vcc, s85, v5
	v_mov_b32_e32 v0, 0x7f800001
	s_and_saveexec_b64 s[38:39], vcc
	s_cbranch_execz .LBB2_7196
; %bb.7195:                             ;   in Loop: Header=BB2_7030 Depth=3
	v_and_b32_e32 v0, 7, v8
	v_lshrrev_b32_e32 v7, 3, v5
	v_cmp_gt_u32_e32 vcc, 8, v5
	v_ffbh_u32_e32 v5, v0
	v_min_u32_e32 v5, 32, v5
	v_subrev_u32_e32 v9, 28, v5
	v_lshlrev_b64 v[48:49], v9, v[8:9]
	v_sub_u32_e32 v5, 29, v5
	v_and_b32_e32 v9, 7, v48
	v_cndmask_b32_e32 v5, v7, v5, vcc
	v_cndmask_b32_e32 v0, v0, v9, vcc
	v_lshlrev_b32_e32 v7, 24, v8
	v_lshlrev_b32_e32 v0, 20, v0
	v_and_b32_e32 v7, 0x80000000, v7
	v_lshl_add_u32 v5, v5, 23, v17
	v_or3_b32 v0, v7, v5, v0
.LBB2_7196:                             ;   in Loop: Header=BB2_7030 Depth=3
	s_or_b64 exec, exec, s[38:39]
.LBB2_7197:                             ;   in Loop: Header=BB2_7030 Depth=3
	s_or_b64 exec, exec, s[36:37]
.LBB2_7198:                             ;   in Loop: Header=BB2_7030 Depth=3
	s_or_b64 exec, exec, s[40:41]
	v_mul_f32_e32 v5, v3, v0
	v_and_b32_e32 v28, 0x7f800000, v5
	v_cmp_ne_u64_e32 vcc, s[76:77], v[28:29]
                                        ; implicit-def: $vgpr33
	s_and_saveexec_b64 s[40:41], vcc
	s_xor_b64 s[36:37], exec, s[40:41]
	s_cbranch_execz .LBB2_7212
; %bb.7199:                             ;   in Loop: Header=BB2_7030 Depth=3
	v_and_b32_e32 v28, 0x7fffffff, v5
	v_cmp_gt_u64_e32 vcc, s[78:79], v[28:29]
	v_and_b32_sdwa v0, v5, s87 dst_sel:DWORD dst_unused:UNUSED_PAD src0_sel:BYTE_3 src1_sel:DWORD
                                        ; implicit-def: $vgpr33
	s_and_saveexec_b64 s[40:41], vcc
	s_xor_b64 s[38:39], exec, s[40:41]
	s_cbranch_execz .LBB2_7209
; %bb.7200:                             ;   in Loop: Header=BB2_7030 Depth=3
	v_mov_b32_e32 v33, 0
	v_cmp_ne_u32_e32 vcc, 0, v5
	s_and_saveexec_b64 s[48:49], vcc
	s_cbranch_execz .LBB2_7208
; %bb.7201:                             ;   in Loop: Header=BB2_7030 Depth=3
	v_and_b32_e32 v8, 0x7fffff, v5
	v_bfe_u32 v5, v5, 23, 8
	v_cmp_gt_u32_e64 s[40:41], s96, v5
	v_sub_u32_e32 v7, 0x79, v5
	v_cmp_eq_u32_e32 vcc, 0, v5
	v_cndmask_b32_e64 v7, 0, v7, s[40:41]
	v_or_b32_e32 v9, 0x800000, v8
	v_cndmask_b32_e32 v7, v7, v36, vcc
	v_cndmask_b32_e32 v28, v9, v8, vcc
	v_add_u32_e32 v8, 20, v7
	v_lshlrev_b64 v[8:9], v8, -1
	v_add_u32_e32 v16, 19, v7
	v_lshlrev_b64 v[48:49], v16, 1
	v_bfi_b32 v9, v9, 0, 0
	v_bfi_b32 v8, v8, 0, v28
	v_cmp_eq_u64_e64 s[40:41], v[8:9], v[48:49]
	v_lshrrev_b64 v[8:9], v7, v[28:29]
	v_mov_b32_e32 v47, v9
	v_mov_b32_e32 v46, v8
	s_and_saveexec_b64 s[50:51], s[40:41]
; %bb.7202:                             ;   in Loop: Header=BB2_7030 Depth=3
	v_bfe_u32 v9, v8, 20, 1
	v_add_co_u32_e64 v9, s[40:41], v8, v9
	v_add_co_u32_e64 v46, s[40:41], -1, v9
; %bb.7203:                             ;   in Loop: Header=BB2_7030 Depth=3
	s_or_b64 exec, exec, s[50:51]
	v_add_u32_e32 v5, 0xffffff81, v5
	v_cndmask_b32_e32 v5, v5, v37, vcc
	v_lshrrev_b32_e32 v9, 23, v8
	v_add3_u32 v16, v7, v5, v9
	v_add_u32_e32 v7, 6, v16
	v_and_b32_e32 v5, 0xfffff, v46
	v_add_u32_e32 v28, v5, v8
	v_cmp_ne_u32_e32 vcc, 0, v7
                                        ; implicit-def: $vgpr8_vgpr9
                                        ; implicit-def: $vgpr5
	s_and_saveexec_b64 s[40:41], vcc
	s_xor_b64 s[40:41], exec, s[40:41]
; %bb.7204:                             ;   in Loop: Header=BB2_7030 Depth=3
	v_cmp_lt_u64_e32 vcc, s[88:89], v[28:29]
	v_add_u32_e32 v5, 7, v16
	v_cndmask_b32_e32 v5, v7, v5, vcc
	v_cndmask_b32_e64 v7, 0, 1, vcc
	v_lshrrev_b64 v[8:9], v7, v[28:29]
; %bb.7205:                             ;   in Loop: Header=BB2_7030 Depth=3
	s_andn2_saveexec_b64 s[40:41], s[40:41]
; %bb.7206:                             ;   in Loop: Header=BB2_7030 Depth=3
	v_mov_b32_e32 v8, v28
	v_bfe_u32 v5, v28, 23, 1
	v_mov_b32_e32 v9, v29
; %bb.7207:                             ;   in Loop: Header=BB2_7030 Depth=3
	s_or_b64 exec, exec, s[40:41]
	v_lshrrev_b64 v[7:8], 20, v[8:9]
	v_cmp_gt_i32_e32 vcc, 16, v5
	v_cndmask_b32_e32 v8, 0, v8, vcc
	v_cndmask_b32_e32 v7, 7, v7, vcc
	v_cmp_eq_u32_e32 vcc, 0, v5
	v_min_i32_e32 v5, 15, v5
	v_cmp_eq_u64_e64 s[40:41], 0, v[7:8]
	v_lshlrev_b32_e32 v5, 3, v5
	v_and_b32_e32 v5, 0xf8, v5
	v_and_or_b32 v5, v7, 7, v5
	s_and_b64 s[40:41], vcc, s[40:41]
	v_cndmask_b32_e64 v5, v5, 0, s[40:41]
	v_or_b32_e32 v33, v5, v0
.LBB2_7208:                             ;   in Loop: Header=BB2_7030 Depth=3
	s_or_b64 exec, exec, s[48:49]
                                        ; implicit-def: $vgpr0
.LBB2_7209:                             ;   in Loop: Header=BB2_7030 Depth=3
	s_andn2_saveexec_b64 s[40:41], s[38:39]
; %bb.7210:                             ;   in Loop: Header=BB2_7030 Depth=3
	v_or_b32_e32 v33, 0x7e, v0
; %bb.7211:                             ;   in Loop: Header=BB2_7030 Depth=3
	s_or_b64 exec, exec, s[40:41]
                                        ; implicit-def: $vgpr5
.LBB2_7212:                             ;   in Loop: Header=BB2_7030 Depth=3
	s_andn2_saveexec_b64 s[40:41], s[36:37]
; %bb.7213:                             ;   in Loop: Header=BB2_7030 Depth=3
	v_or_b32_sdwa v33, v5, s85 dst_sel:DWORD dst_unused:UNUSED_PAD src0_sel:BYTE_3 src1_sel:DWORD
; %bb.7214:                             ;   in Loop: Header=BB2_7030 Depth=3
	s_or_b64 exec, exec, s[40:41]
	v_cmp_ne_u16_sdwa vcc, v10, v29 src0_sel:BYTE_0 src1_sel:DWORD
	v_mov_b32_e32 v0, 0
	s_and_saveexec_b64 s[40:41], vcc
	s_cbranch_execz .LBB2_7220
; %bb.7215:                             ;   in Loop: Header=BB2_7030 Depth=3
	v_cmp_ne_u16_sdwa vcc, v10, s87 src0_sel:BYTE_0 src1_sel:DWORD
	v_bfrev_b32_e32 v0, 1
	s_and_saveexec_b64 s[36:37], vcc
	s_cbranch_execz .LBB2_7219
; %bb.7216:                             ;   in Loop: Header=BB2_7030 Depth=3
	v_and_b32_e32 v5, 0x7f, v10
	v_cmp_ne_u32_e32 vcc, s85, v5
	v_mov_b32_e32 v0, 0x7f800001
	s_and_saveexec_b64 s[38:39], vcc
	s_cbranch_execz .LBB2_7218
; %bb.7217:                             ;   in Loop: Header=BB2_7030 Depth=3
	v_and_b32_e32 v0, 7, v10
	v_ffbh_u32_e32 v0, v0
	v_min_u32_e32 v0, 32, v0
	v_lshrrev_b32_e32 v7, 3, v5
	v_cmp_gt_u32_e32 vcc, 8, v5
	v_subrev_u32_e32 v5, 28, v0
	v_sub_u32_e32 v0, 29, v0
	v_cndmask_b32_e32 v5, 0, v5, vcc
	v_cndmask_b32_e32 v0, v7, v0, vcc
	v_lshlrev_b64 v[7:8], v5, v[10:11]
	v_lshl_add_u32 v0, v0, 23, v17
	v_lshlrev_b32_e32 v5, 20, v7
	v_lshlrev_b32_e32 v7, 24, v10
	v_and_b32_e32 v5, 0x700000, v5
	v_and_b32_e32 v7, 0x80000000, v7
	v_or3_b32 v0, v7, v0, v5
.LBB2_7218:                             ;   in Loop: Header=BB2_7030 Depth=3
	s_or_b64 exec, exec, s[38:39]
.LBB2_7219:                             ;   in Loop: Header=BB2_7030 Depth=3
	s_or_b64 exec, exec, s[36:37]
.LBB2_7220:                             ;   in Loop: Header=BB2_7030 Depth=3
	s_or_b64 exec, exec, s[40:41]
	v_mul_f32_e32 v5, v3, v0
	v_and_b32_e32 v28, 0x7f800000, v5
	v_cmp_ne_u64_e32 vcc, s[76:77], v[28:29]
                                        ; implicit-def: $vgpr7
	s_and_saveexec_b64 s[40:41], vcc
	s_xor_b64 s[36:37], exec, s[40:41]
	s_cbranch_execz .LBB2_7234
; %bb.7221:                             ;   in Loop: Header=BB2_7030 Depth=3
	v_and_b32_e32 v28, 0x7fffffff, v5
	v_cmp_gt_u64_e32 vcc, s[78:79], v[28:29]
	v_and_b32_sdwa v0, v5, s87 dst_sel:DWORD dst_unused:UNUSED_PAD src0_sel:BYTE_3 src1_sel:DWORD
                                        ; implicit-def: $vgpr7
	s_and_saveexec_b64 s[40:41], vcc
	s_xor_b64 s[38:39], exec, s[40:41]
	s_cbranch_execz .LBB2_7231
; %bb.7222:                             ;   in Loop: Header=BB2_7030 Depth=3
	v_mov_b32_e32 v7, 0
	v_cmp_ne_u32_e32 vcc, 0, v5
	s_and_saveexec_b64 s[48:49], vcc
	s_cbranch_execz .LBB2_7230
; %bb.7223:                             ;   in Loop: Header=BB2_7030 Depth=3
	v_and_b32_e32 v8, 0x7fffff, v5
	v_bfe_u32 v5, v5, 23, 8
	v_cmp_gt_u32_e64 s[40:41], s96, v5
	v_sub_u32_e32 v7, 0x79, v5
	v_cmp_eq_u32_e32 vcc, 0, v5
	v_cndmask_b32_e64 v7, 0, v7, s[40:41]
	v_or_b32_e32 v9, 0x800000, v8
	v_cndmask_b32_e32 v7, v7, v36, vcc
	v_cndmask_b32_e32 v28, v9, v8, vcc
	v_add_u32_e32 v8, 20, v7
	v_lshlrev_b64 v[8:9], v8, -1
	v_add_u32_e32 v16, 19, v7
	v_lshlrev_b64 v[48:49], v16, 1
	v_bfi_b32 v9, v9, 0, 0
	v_bfi_b32 v8, v8, 0, v28
	v_cmp_eq_u64_e64 s[40:41], v[8:9], v[48:49]
	v_lshrrev_b64 v[8:9], v7, v[28:29]
	v_mov_b32_e32 v47, v9
	v_mov_b32_e32 v46, v8
	s_and_saveexec_b64 s[50:51], s[40:41]
; %bb.7224:                             ;   in Loop: Header=BB2_7030 Depth=3
	v_bfe_u32 v9, v8, 20, 1
	v_add_co_u32_e64 v9, s[40:41], v8, v9
	v_add_co_u32_e64 v46, s[40:41], -1, v9
; %bb.7225:                             ;   in Loop: Header=BB2_7030 Depth=3
	s_or_b64 exec, exec, s[50:51]
	v_add_u32_e32 v5, 0xffffff81, v5
	v_cndmask_b32_e32 v5, v5, v37, vcc
	v_lshrrev_b32_e32 v9, 23, v8
	v_add3_u32 v16, v7, v5, v9
	v_add_u32_e32 v7, 6, v16
	v_and_b32_e32 v5, 0xfffff, v46
	v_add_u32_e32 v28, v5, v8
	v_cmp_ne_u32_e32 vcc, 0, v7
                                        ; implicit-def: $vgpr8_vgpr9
                                        ; implicit-def: $vgpr5
	s_and_saveexec_b64 s[40:41], vcc
	s_xor_b64 s[40:41], exec, s[40:41]
; %bb.7226:                             ;   in Loop: Header=BB2_7030 Depth=3
	v_cmp_lt_u64_e32 vcc, s[88:89], v[28:29]
	v_add_u32_e32 v5, 7, v16
	v_cndmask_b32_e32 v5, v7, v5, vcc
	v_cndmask_b32_e64 v7, 0, 1, vcc
	v_lshrrev_b64 v[8:9], v7, v[28:29]
; %bb.7227:                             ;   in Loop: Header=BB2_7030 Depth=3
	s_andn2_saveexec_b64 s[40:41], s[40:41]
; %bb.7228:                             ;   in Loop: Header=BB2_7030 Depth=3
	v_mov_b32_e32 v8, v28
	v_bfe_u32 v5, v28, 23, 1
	v_mov_b32_e32 v9, v29
; %bb.7229:                             ;   in Loop: Header=BB2_7030 Depth=3
	s_or_b64 exec, exec, s[40:41]
	v_lshrrev_b64 v[7:8], 20, v[8:9]
	v_cmp_gt_i32_e32 vcc, 16, v5
	v_cndmask_b32_e32 v8, 0, v8, vcc
	v_cndmask_b32_e32 v7, 7, v7, vcc
	v_cmp_eq_u32_e32 vcc, 0, v5
	v_min_i32_e32 v5, 15, v5
	v_cmp_eq_u64_e64 s[40:41], 0, v[7:8]
	v_lshlrev_b32_e32 v5, 3, v5
	v_and_b32_e32 v5, 0xf8, v5
	v_and_or_b32 v5, v7, 7, v5
	s_and_b64 s[40:41], vcc, s[40:41]
	v_cndmask_b32_e64 v5, v5, 0, s[40:41]
	v_or_b32_e32 v7, v5, v0
.LBB2_7230:                             ;   in Loop: Header=BB2_7030 Depth=3
	s_or_b64 exec, exec, s[48:49]
                                        ; implicit-def: $vgpr0
.LBB2_7231:                             ;   in Loop: Header=BB2_7030 Depth=3
	s_andn2_saveexec_b64 s[40:41], s[38:39]
; %bb.7232:                             ;   in Loop: Header=BB2_7030 Depth=3
	v_or_b32_e32 v7, 0x7e, v0
; %bb.7233:                             ;   in Loop: Header=BB2_7030 Depth=3
	s_or_b64 exec, exec, s[40:41]
                                        ; implicit-def: $vgpr5
.LBB2_7234:                             ;   in Loop: Header=BB2_7030 Depth=3
	s_andn2_saveexec_b64 s[40:41], s[36:37]
; %bb.7235:                             ;   in Loop: Header=BB2_7030 Depth=3
	v_or_b32_sdwa v7, v5, s85 dst_sel:DWORD dst_unused:UNUSED_PAD src0_sel:BYTE_3 src1_sel:DWORD
; %bb.7236:                             ;   in Loop: Header=BB2_7030 Depth=3
	s_or_b64 exec, exec, s[40:41]
	v_lshrrev_b16_e32 v8, 8, v10
	v_cmp_ne_u16_e32 vcc, 0, v8
	v_mov_b32_e32 v0, 0
	s_and_saveexec_b64 s[40:41], vcc
	s_cbranch_execz .LBB2_7242
; %bb.7237:                             ;   in Loop: Header=BB2_7030 Depth=3
	v_cmp_ne_u16_e32 vcc, s87, v8
	v_bfrev_b32_e32 v0, 1
	s_and_saveexec_b64 s[36:37], vcc
	s_cbranch_execz .LBB2_7241
; %bb.7238:                             ;   in Loop: Header=BB2_7030 Depth=3
	v_and_b32_e32 v5, 0x7f, v8
	v_cmp_ne_u32_e32 vcc, s85, v5
	v_mov_b32_e32 v0, 0x7f800001
	s_and_saveexec_b64 s[38:39], vcc
	s_cbranch_execz .LBB2_7240
; %bb.7239:                             ;   in Loop: Header=BB2_7030 Depth=3
	v_and_b32_e32 v0, 7, v8
	v_lshrrev_b32_e32 v16, 3, v5
	v_cmp_gt_u32_e32 vcc, 8, v5
	v_ffbh_u32_e32 v5, v0
	v_min_u32_e32 v5, 32, v5
	v_subrev_u32_e32 v9, 28, v5
	v_lshlrev_b64 v[8:9], v9, v[8:9]
	v_sub_u32_e32 v5, 29, v5
	v_and_b32_e32 v8, 7, v8
	v_cndmask_b32_e32 v5, v16, v5, vcc
	v_cndmask_b32_e32 v0, v0, v8, vcc
	v_lshlrev_b32_e32 v8, 16, v10
	v_lshlrev_b32_e32 v0, 20, v0
	v_and_b32_e32 v8, 0x80000000, v8
	v_lshl_add_u32 v5, v5, 23, v17
	v_or3_b32 v0, v8, v5, v0
.LBB2_7240:                             ;   in Loop: Header=BB2_7030 Depth=3
	s_or_b64 exec, exec, s[38:39]
.LBB2_7241:                             ;   in Loop: Header=BB2_7030 Depth=3
	s_or_b64 exec, exec, s[36:37]
.LBB2_7242:                             ;   in Loop: Header=BB2_7030 Depth=3
	s_or_b64 exec, exec, s[40:41]
	v_mul_f32_e32 v5, v3, v0
	v_and_b32_e32 v28, 0x7f800000, v5
	v_cmp_ne_u64_e32 vcc, s[76:77], v[28:29]
                                        ; implicit-def: $vgpr52
	s_and_saveexec_b64 s[40:41], vcc
	s_xor_b64 s[36:37], exec, s[40:41]
	s_cbranch_execz .LBB2_7256
; %bb.7243:                             ;   in Loop: Header=BB2_7030 Depth=3
	v_and_b32_e32 v28, 0x7fffffff, v5
	v_cmp_gt_u64_e32 vcc, s[78:79], v[28:29]
	v_and_b32_sdwa v0, v5, s87 dst_sel:DWORD dst_unused:UNUSED_PAD src0_sel:BYTE_3 src1_sel:DWORD
                                        ; implicit-def: $vgpr52
	s_and_saveexec_b64 s[40:41], vcc
	s_xor_b64 s[38:39], exec, s[40:41]
	s_cbranch_execz .LBB2_7253
; %bb.7244:                             ;   in Loop: Header=BB2_7030 Depth=3
	v_mov_b32_e32 v52, 0
	v_cmp_ne_u32_e32 vcc, 0, v5
	s_and_saveexec_b64 s[48:49], vcc
	s_cbranch_execz .LBB2_7252
; %bb.7245:                             ;   in Loop: Header=BB2_7030 Depth=3
	v_and_b32_e32 v8, 0x7fffff, v5
	v_bfe_u32 v5, v5, 23, 8
	v_cmp_gt_u32_e64 s[40:41], s96, v5
	v_sub_u32_e32 v9, 0x79, v5
	v_cmp_eq_u32_e32 vcc, 0, v5
	v_cndmask_b32_e64 v9, 0, v9, s[40:41]
	v_or_b32_e32 v18, 0x800000, v8
	v_cndmask_b32_e32 v16, v9, v36, vcc
	v_cndmask_b32_e32 v28, v18, v8, vcc
	v_add_u32_e32 v8, 20, v16
	v_lshlrev_b64 v[8:9], v8, -1
	v_add_u32_e32 v18, 19, v16
	v_lshlrev_b64 v[48:49], v18, 1
	v_bfi_b32 v9, v9, 0, 0
	v_bfi_b32 v8, v8, 0, v28
	v_cmp_eq_u64_e64 s[40:41], v[8:9], v[48:49]
	v_lshrrev_b64 v[8:9], v16, v[28:29]
	v_mov_b32_e32 v47, v9
	v_mov_b32_e32 v46, v8
	s_and_saveexec_b64 s[50:51], s[40:41]
; %bb.7246:                             ;   in Loop: Header=BB2_7030 Depth=3
	v_bfe_u32 v9, v8, 20, 1
	v_add_co_u32_e64 v9, s[40:41], v8, v9
	v_add_co_u32_e64 v46, s[40:41], -1, v9
; %bb.7247:                             ;   in Loop: Header=BB2_7030 Depth=3
	s_or_b64 exec, exec, s[50:51]
	v_add_u32_e32 v5, 0xffffff81, v5
	v_cndmask_b32_e32 v5, v5, v37, vcc
	v_lshrrev_b32_e32 v9, 23, v8
	v_add3_u32 v18, v16, v5, v9
	v_add_u32_e32 v16, 6, v18
	v_and_b32_e32 v5, 0xfffff, v46
	v_add_u32_e32 v28, v5, v8
	v_cmp_ne_u32_e32 vcc, 0, v16
                                        ; implicit-def: $vgpr8_vgpr9
                                        ; implicit-def: $vgpr5
	s_and_saveexec_b64 s[40:41], vcc
	s_xor_b64 s[40:41], exec, s[40:41]
; %bb.7248:                             ;   in Loop: Header=BB2_7030 Depth=3
	v_cmp_lt_u64_e32 vcc, s[88:89], v[28:29]
	v_add_u32_e32 v5, 7, v18
	v_cndmask_b32_e64 v8, 0, 1, vcc
	v_cndmask_b32_e32 v5, v16, v5, vcc
	v_lshrrev_b64 v[8:9], v8, v[28:29]
; %bb.7249:                             ;   in Loop: Header=BB2_7030 Depth=3
	s_andn2_saveexec_b64 s[40:41], s[40:41]
; %bb.7250:                             ;   in Loop: Header=BB2_7030 Depth=3
	v_mov_b32_e32 v8, v28
	v_bfe_u32 v5, v28, 23, 1
	v_mov_b32_e32 v9, v29
; %bb.7251:                             ;   in Loop: Header=BB2_7030 Depth=3
	s_or_b64 exec, exec, s[40:41]
	v_lshrrev_b64 v[8:9], 20, v[8:9]
	v_cmp_gt_i32_e32 vcc, 16, v5
	v_cndmask_b32_e32 v9, 0, v9, vcc
	v_cndmask_b32_e32 v8, 7, v8, vcc
	v_cmp_eq_u32_e32 vcc, 0, v5
	v_min_i32_e32 v5, 15, v5
	v_cmp_eq_u64_e64 s[40:41], 0, v[8:9]
	v_lshlrev_b32_e32 v5, 3, v5
	v_and_b32_e32 v5, 0xf8, v5
	v_and_or_b32 v5, v8, 7, v5
	s_and_b64 s[40:41], vcc, s[40:41]
	v_cndmask_b32_e64 v5, v5, 0, s[40:41]
	v_or_b32_e32 v52, v5, v0
.LBB2_7252:                             ;   in Loop: Header=BB2_7030 Depth=3
	s_or_b64 exec, exec, s[48:49]
                                        ; implicit-def: $vgpr0
.LBB2_7253:                             ;   in Loop: Header=BB2_7030 Depth=3
	s_andn2_saveexec_b64 s[40:41], s[38:39]
; %bb.7254:                             ;   in Loop: Header=BB2_7030 Depth=3
	v_or_b32_e32 v52, 0x7e, v0
; %bb.7255:                             ;   in Loop: Header=BB2_7030 Depth=3
	s_or_b64 exec, exec, s[40:41]
                                        ; implicit-def: $vgpr5
.LBB2_7256:                             ;   in Loop: Header=BB2_7030 Depth=3
	s_andn2_saveexec_b64 s[40:41], s[36:37]
; %bb.7257:                             ;   in Loop: Header=BB2_7030 Depth=3
	v_or_b32_sdwa v52, v5, s85 dst_sel:DWORD dst_unused:UNUSED_PAD src0_sel:BYTE_3 src1_sel:DWORD
; %bb.7258:                             ;   in Loop: Header=BB2_7030 Depth=3
	s_or_b64 exec, exec, s[40:41]
	v_lshrrev_b32_e32 v8, 16, v10
	v_cmp_ne_u16_sdwa vcc, v8, v29 src0_sel:BYTE_0 src1_sel:DWORD
	v_mov_b32_e32 v0, 0
	s_and_saveexec_b64 s[40:41], vcc
	s_cbranch_execz .LBB2_7264
; %bb.7259:                             ;   in Loop: Header=BB2_7030 Depth=3
	v_cmp_ne_u16_sdwa vcc, v8, s87 src0_sel:BYTE_0 src1_sel:DWORD
	v_bfrev_b32_e32 v0, 1
	s_and_saveexec_b64 s[36:37], vcc
	s_cbranch_execz .LBB2_7263
; %bb.7260:                             ;   in Loop: Header=BB2_7030 Depth=3
	v_bfe_u32 v5, v10, 16, 7
	v_cmp_ne_u32_e32 vcc, s85, v5
	v_mov_b32_e32 v0, 0x7f800001
	s_and_saveexec_b64 s[38:39], vcc
	s_cbranch_execz .LBB2_7262
; %bb.7261:                             ;   in Loop: Header=BB2_7030 Depth=3
	v_and_b32_e32 v0, 7, v8
	v_lshrrev_b32_e32 v9, 3, v5
	v_cmp_gt_u32_e32 vcc, 8, v5
	v_ffbh_u32_e32 v5, v0
	v_min_u32_e32 v5, 32, v5
	v_subrev_u32_e32 v16, 28, v5
	v_lshlrev_b64 v[48:49], v16, v[8:9]
	v_sub_u32_e32 v5, 29, v5
	v_and_b32_e32 v16, 7, v48
	v_cndmask_b32_e32 v5, v9, v5, vcc
	v_cndmask_b32_e32 v0, v0, v16, vcc
	v_lshlrev_b32_e32 v8, 24, v8
	v_lshlrev_b32_e32 v0, 20, v0
	v_and_b32_e32 v8, 0x80000000, v8
	v_lshl_add_u32 v5, v5, 23, v17
	v_or3_b32 v0, v8, v5, v0
.LBB2_7262:                             ;   in Loop: Header=BB2_7030 Depth=3
	s_or_b64 exec, exec, s[38:39]
.LBB2_7263:                             ;   in Loop: Header=BB2_7030 Depth=3
	s_or_b64 exec, exec, s[36:37]
.LBB2_7264:                             ;   in Loop: Header=BB2_7030 Depth=3
	s_or_b64 exec, exec, s[40:41]
	v_mul_f32_e32 v8, v3, v0
	v_and_b32_e32 v28, 0x7f800000, v8
	v_cmp_ne_u64_e32 vcc, s[76:77], v[28:29]
                                        ; implicit-def: $vgpr0
	s_and_saveexec_b64 s[40:41], vcc
	s_xor_b64 s[36:37], exec, s[40:41]
	s_cbranch_execz .LBB2_7278
; %bb.7265:                             ;   in Loop: Header=BB2_7030 Depth=3
	v_and_b32_e32 v28, 0x7fffffff, v8
	v_cmp_gt_u64_e32 vcc, s[78:79], v[28:29]
	v_and_b32_sdwa v5, v8, s87 dst_sel:DWORD dst_unused:UNUSED_PAD src0_sel:BYTE_3 src1_sel:DWORD
                                        ; implicit-def: $vgpr0
	s_and_saveexec_b64 s[40:41], vcc
	s_xor_b64 s[38:39], exec, s[40:41]
	s_cbranch_execz .LBB2_7275
; %bb.7266:                             ;   in Loop: Header=BB2_7030 Depth=3
	v_mov_b32_e32 v0, 0
	v_cmp_ne_u32_e32 vcc, 0, v8
	s_and_saveexec_b64 s[48:49], vcc
	s_cbranch_execz .LBB2_7274
; %bb.7267:                             ;   in Loop: Header=BB2_7030 Depth=3
	v_bfe_u32 v0, v8, 23, 8
	v_and_b32_e32 v9, 0x7fffff, v8
	v_cmp_gt_u32_e64 s[40:41], s96, v0
	v_sub_u32_e32 v8, 0x79, v0
	v_cmp_eq_u32_e32 vcc, 0, v0
	v_cndmask_b32_e64 v8, 0, v8, s[40:41]
	v_cndmask_b32_e32 v16, v8, v36, vcc
	v_or_b32_e32 v18, 0x800000, v9
	v_add_u32_e32 v8, 20, v16
	v_cndmask_b32_e32 v28, v18, v9, vcc
	v_lshlrev_b64 v[8:9], v8, -1
	v_add_u32_e32 v18, 19, v16
	v_lshlrev_b64 v[48:49], v18, 1
	v_bfi_b32 v9, v9, 0, 0
	v_bfi_b32 v8, v8, 0, v28
	v_cmp_eq_u64_e64 s[40:41], v[8:9], v[48:49]
	v_lshrrev_b64 v[8:9], v16, v[28:29]
	v_mov_b32_e32 v47, v9
	v_mov_b32_e32 v46, v8
	s_and_saveexec_b64 s[50:51], s[40:41]
; %bb.7268:                             ;   in Loop: Header=BB2_7030 Depth=3
	v_bfe_u32 v9, v8, 20, 1
	v_add_co_u32_e64 v9, s[40:41], v8, v9
	v_add_co_u32_e64 v46, s[40:41], -1, v9
; %bb.7269:                             ;   in Loop: Header=BB2_7030 Depth=3
	s_or_b64 exec, exec, s[50:51]
	v_add_u32_e32 v0, 0xffffff81, v0
	v_cndmask_b32_e32 v0, v0, v37, vcc
	v_lshrrev_b32_e32 v9, 23, v8
	v_add3_u32 v18, v16, v0, v9
	v_add_u32_e32 v16, 6, v18
	v_and_b32_e32 v0, 0xfffff, v46
	v_add_u32_e32 v28, v0, v8
	v_cmp_ne_u32_e32 vcc, 0, v16
                                        ; implicit-def: $vgpr8_vgpr9
                                        ; implicit-def: $vgpr0
	s_and_saveexec_b64 s[40:41], vcc
	s_xor_b64 s[40:41], exec, s[40:41]
; %bb.7270:                             ;   in Loop: Header=BB2_7030 Depth=3
	v_cmp_lt_u64_e32 vcc, s[88:89], v[28:29]
	v_add_u32_e32 v0, 7, v18
	v_cndmask_b32_e64 v8, 0, 1, vcc
	v_cndmask_b32_e32 v0, v16, v0, vcc
	v_lshrrev_b64 v[8:9], v8, v[28:29]
; %bb.7271:                             ;   in Loop: Header=BB2_7030 Depth=3
	s_andn2_saveexec_b64 s[40:41], s[40:41]
; %bb.7272:                             ;   in Loop: Header=BB2_7030 Depth=3
	v_mov_b32_e32 v8, v28
	v_bfe_u32 v0, v28, 23, 1
	v_mov_b32_e32 v9, v29
; %bb.7273:                             ;   in Loop: Header=BB2_7030 Depth=3
	s_or_b64 exec, exec, s[40:41]
	v_lshrrev_b64 v[8:9], 20, v[8:9]
	v_cmp_gt_i32_e32 vcc, 16, v0
	v_cndmask_b32_e32 v9, 0, v9, vcc
	v_cndmask_b32_e32 v8, 7, v8, vcc
	v_cmp_eq_u32_e32 vcc, 0, v0
	v_min_i32_e32 v0, 15, v0
	v_cmp_eq_u64_e64 s[40:41], 0, v[8:9]
	v_lshlrev_b32_e32 v0, 3, v0
	v_and_b32_e32 v0, 0xf8, v0
	v_and_or_b32 v0, v8, 7, v0
	s_and_b64 s[40:41], vcc, s[40:41]
	v_cndmask_b32_e64 v0, v0, 0, s[40:41]
	v_or_b32_e32 v0, v0, v5
.LBB2_7274:                             ;   in Loop: Header=BB2_7030 Depth=3
	s_or_b64 exec, exec, s[48:49]
                                        ; implicit-def: $vgpr5
.LBB2_7275:                             ;   in Loop: Header=BB2_7030 Depth=3
	s_andn2_saveexec_b64 s[40:41], s[38:39]
; %bb.7276:                             ;   in Loop: Header=BB2_7030 Depth=3
	v_or_b32_e32 v0, 0x7e, v5
; %bb.7277:                             ;   in Loop: Header=BB2_7030 Depth=3
	s_or_b64 exec, exec, s[40:41]
                                        ; implicit-def: $vgpr8
.LBB2_7278:                             ;   in Loop: Header=BB2_7030 Depth=3
	s_andn2_saveexec_b64 s[40:41], s[36:37]
; %bb.7279:                             ;   in Loop: Header=BB2_7030 Depth=3
	v_or_b32_sdwa v0, v8, s85 dst_sel:DWORD dst_unused:UNUSED_PAD src0_sel:BYTE_3 src1_sel:DWORD
; %bb.7280:                             ;   in Loop: Header=BB2_7030 Depth=3
	s_or_b64 exec, exec, s[40:41]
	v_cmp_lt_u32_e32 vcc, s57, v10
	v_mov_b32_e32 v5, 0
	s_and_saveexec_b64 s[40:41], vcc
	s_cbranch_execz .LBB2_7286
; %bb.7281:                             ;   in Loop: Header=BB2_7030 Depth=3
	v_lshrrev_b32_e32 v8, 24, v10
	v_cmp_ne_u32_e32 vcc, s87, v8
	v_bfrev_b32_e32 v5, 1
	s_and_saveexec_b64 s[36:37], vcc
	s_cbranch_execz .LBB2_7285
; %bb.7282:                             ;   in Loop: Header=BB2_7030 Depth=3
	v_bfe_u32 v9, v10, 24, 7
	v_cmp_ne_u32_e32 vcc, s85, v9
	v_mov_b32_e32 v5, 0x7f800001
	s_and_saveexec_b64 s[38:39], vcc
	s_cbranch_execz .LBB2_7284
; %bb.7283:                             ;   in Loop: Header=BB2_7030 Depth=3
	v_and_b32_e32 v5, 7, v8
	v_lshrrev_b32_e32 v16, 3, v9
	v_cmp_gt_u32_e32 vcc, 8, v9
	v_ffbh_u32_e32 v9, v5
	v_min_u32_e32 v9, 32, v9
	v_subrev_u32_e32 v18, 28, v9
	v_lshlrev_b64 v[48:49], v18, v[8:9]
	v_sub_u32_e32 v9, 29, v9
	v_and_b32_e32 v18, 7, v48
	v_cndmask_b32_e32 v9, v16, v9, vcc
	v_cndmask_b32_e32 v5, v5, v18, vcc
	v_lshlrev_b32_e32 v8, 24, v8
	v_lshlrev_b32_e32 v5, 20, v5
	v_and_b32_e32 v8, 0x80000000, v8
	v_lshl_add_u32 v9, v9, 23, v17
	v_or3_b32 v5, v8, v9, v5
.LBB2_7284:                             ;   in Loop: Header=BB2_7030 Depth=3
	s_or_b64 exec, exec, s[38:39]
.LBB2_7285:                             ;   in Loop: Header=BB2_7030 Depth=3
	s_or_b64 exec, exec, s[36:37]
.LBB2_7286:                             ;   in Loop: Header=BB2_7030 Depth=3
	s_or_b64 exec, exec, s[40:41]
	v_mul_f32_e32 v8, v3, v5
	v_and_b32_e32 v28, 0x7f800000, v8
	v_cmp_ne_u64_e32 vcc, s[76:77], v[28:29]
                                        ; implicit-def: $vgpr22
	s_and_saveexec_b64 s[40:41], vcc
	s_xor_b64 s[36:37], exec, s[40:41]
	s_cbranch_execz .LBB2_7300
; %bb.7287:                             ;   in Loop: Header=BB2_7030 Depth=3
	v_and_b32_e32 v28, 0x7fffffff, v8
	v_cmp_gt_u64_e32 vcc, s[78:79], v[28:29]
	v_and_b32_sdwa v5, v8, s87 dst_sel:DWORD dst_unused:UNUSED_PAD src0_sel:BYTE_3 src1_sel:DWORD
                                        ; implicit-def: $vgpr22
	s_and_saveexec_b64 s[40:41], vcc
	s_xor_b64 s[38:39], exec, s[40:41]
	s_cbranch_execz .LBB2_7297
; %bb.7288:                             ;   in Loop: Header=BB2_7030 Depth=3
	v_mov_b32_e32 v22, 0
	v_cmp_ne_u32_e32 vcc, 0, v8
	s_and_saveexec_b64 s[48:49], vcc
	s_cbranch_execz .LBB2_7296
; %bb.7289:                             ;   in Loop: Header=BB2_7030 Depth=3
	v_bfe_u32 v16, v8, 23, 8
	v_and_b32_e32 v9, 0x7fffff, v8
	v_cmp_gt_u32_e64 s[40:41], s96, v16
	v_sub_u32_e32 v8, 0x79, v16
	v_cmp_eq_u32_e32 vcc, 0, v16
	v_cndmask_b32_e64 v8, 0, v8, s[40:41]
	v_cndmask_b32_e32 v18, v8, v36, vcc
	v_or_b32_e32 v22, 0x800000, v9
	v_add_u32_e32 v8, 20, v18
	v_cndmask_b32_e32 v28, v22, v9, vcc
	v_lshlrev_b64 v[8:9], v8, -1
	v_add_u32_e32 v22, 19, v18
	v_lshlrev_b64 v[48:49], v22, 1
	v_bfi_b32 v9, v9, 0, 0
	v_bfi_b32 v8, v8, 0, v28
	v_cmp_eq_u64_e64 s[40:41], v[8:9], v[48:49]
	v_lshrrev_b64 v[8:9], v18, v[28:29]
	v_mov_b32_e32 v47, v9
	v_mov_b32_e32 v46, v8
	s_and_saveexec_b64 s[50:51], s[40:41]
; %bb.7290:                             ;   in Loop: Header=BB2_7030 Depth=3
	v_bfe_u32 v9, v8, 20, 1
	v_add_co_u32_e64 v9, s[40:41], v8, v9
	v_add_co_u32_e64 v46, s[40:41], -1, v9
; %bb.7291:                             ;   in Loop: Header=BB2_7030 Depth=3
	s_or_b64 exec, exec, s[50:51]
	v_add_u32_e32 v9, 0xffffff81, v16
	v_cndmask_b32_e32 v9, v9, v37, vcc
	v_lshrrev_b32_e32 v16, 23, v8
	v_add3_u32 v22, v18, v9, v16
	v_add_u32_e32 v18, 6, v22
	v_and_b32_e32 v9, 0xfffff, v46
	v_add_u32_e32 v28, v9, v8
	v_cmp_ne_u32_e32 vcc, 0, v18
                                        ; implicit-def: $vgpr8_vgpr9
                                        ; implicit-def: $vgpr16
	s_and_saveexec_b64 s[40:41], vcc
	s_xor_b64 s[40:41], exec, s[40:41]
; %bb.7292:                             ;   in Loop: Header=BB2_7030 Depth=3
	v_cmp_lt_u64_e32 vcc, s[88:89], v[28:29]
	v_add_u32_e32 v8, 7, v22
	v_cndmask_b32_e32 v16, v18, v8, vcc
	v_cndmask_b32_e64 v8, 0, 1, vcc
	v_lshrrev_b64 v[8:9], v8, v[28:29]
; %bb.7293:                             ;   in Loop: Header=BB2_7030 Depth=3
	s_andn2_saveexec_b64 s[40:41], s[40:41]
; %bb.7294:                             ;   in Loop: Header=BB2_7030 Depth=3
	v_mov_b32_e32 v8, v28
	v_bfe_u32 v16, v28, 23, 1
	v_mov_b32_e32 v9, v29
; %bb.7295:                             ;   in Loop: Header=BB2_7030 Depth=3
	s_or_b64 exec, exec, s[40:41]
	v_lshrrev_b64 v[8:9], 20, v[8:9]
	v_cmp_gt_i32_e32 vcc, 16, v16
	v_cndmask_b32_e32 v9, 0, v9, vcc
	v_cndmask_b32_e32 v8, 7, v8, vcc
	v_cmp_eq_u64_e64 s[40:41], 0, v[8:9]
	v_min_i32_e32 v9, 15, v16
	v_lshlrev_b32_e32 v9, 3, v9
	v_cmp_eq_u32_e32 vcc, 0, v16
	v_and_b32_e32 v9, 0xf8, v9
	v_and_or_b32 v8, v8, 7, v9
	s_and_b64 s[40:41], vcc, s[40:41]
	v_cndmask_b32_e64 v8, v8, 0, s[40:41]
	v_or_b32_e32 v22, v8, v5
.LBB2_7296:                             ;   in Loop: Header=BB2_7030 Depth=3
	s_or_b64 exec, exec, s[48:49]
                                        ; implicit-def: $vgpr5
.LBB2_7297:                             ;   in Loop: Header=BB2_7030 Depth=3
	s_andn2_saveexec_b64 s[40:41], s[38:39]
; %bb.7298:                             ;   in Loop: Header=BB2_7030 Depth=3
	v_or_b32_e32 v22, 0x7e, v5
; %bb.7299:                             ;   in Loop: Header=BB2_7030 Depth=3
	s_or_b64 exec, exec, s[40:41]
                                        ; implicit-def: $vgpr8
.LBB2_7300:                             ;   in Loop: Header=BB2_7030 Depth=3
	s_andn2_saveexec_b64 s[40:41], s[36:37]
; %bb.7301:                             ;   in Loop: Header=BB2_7030 Depth=3
	v_or_b32_sdwa v22, v8, s85 dst_sel:DWORD dst_unused:UNUSED_PAD src0_sel:BYTE_3 src1_sel:DWORD
; %bb.7302:                             ;   in Loop: Header=BB2_7030 Depth=3
	s_or_b64 exec, exec, s[40:41]
	v_mov_b32_e32 v28, v11
	v_cmp_ne_u16_sdwa vcc, v11, v29 src0_sel:BYTE_0 src1_sel:DWORD
	v_mov_b32_e32 v5, 0
	s_and_saveexec_b64 s[40:41], vcc
	s_cbranch_execz .LBB2_7308
; %bb.7303:                             ;   in Loop: Header=BB2_7030 Depth=3
	v_cmp_ne_u16_sdwa vcc, v11, s87 src0_sel:BYTE_0 src1_sel:DWORD
	v_bfrev_b32_e32 v5, 1
	s_and_saveexec_b64 s[36:37], vcc
	s_cbranch_execz .LBB2_7307
; %bb.7304:                             ;   in Loop: Header=BB2_7030 Depth=3
	v_and_b32_e32 v8, 0x7f, v11
	v_cmp_ne_u32_e32 vcc, s85, v8
	v_mov_b32_e32 v5, 0x7f800001
	s_and_saveexec_b64 s[38:39], vcc
	s_cbranch_execz .LBB2_7306
; %bb.7305:                             ;   in Loop: Header=BB2_7030 Depth=3
	v_and_b32_e32 v5, 7, v11
	v_ffbh_u32_e32 v5, v5
	v_min_u32_e32 v5, 32, v5
	v_lshrrev_b32_e32 v9, 3, v8
	v_cmp_gt_u32_e32 vcc, 8, v8
	v_subrev_u32_e32 v8, 28, v5
	v_sub_u32_e32 v5, 29, v5
	v_cndmask_b32_e32 v8, 0, v8, vcc
	v_cndmask_b32_e32 v5, v9, v5, vcc
	v_lshlrev_b64 v[8:9], v8, v[28:29]
	v_lshlrev_b32_e32 v9, 24, v28
	v_lshlrev_b32_e32 v8, 20, v8
	v_and_b32_e32 v8, 0x700000, v8
	v_and_b32_e32 v9, 0x80000000, v9
	v_lshl_add_u32 v5, v5, 23, v17
	v_or3_b32 v5, v9, v5, v8
.LBB2_7306:                             ;   in Loop: Header=BB2_7030 Depth=3
	s_or_b64 exec, exec, s[38:39]
.LBB2_7307:                             ;   in Loop: Header=BB2_7030 Depth=3
	s_or_b64 exec, exec, s[36:37]
.LBB2_7308:                             ;   in Loop: Header=BB2_7030 Depth=3
	s_or_b64 exec, exec, s[40:41]
	v_mul_f32_e32 v8, v3, v5
	v_and_b32_e32 v48, 0x7f800000, v8
	v_mov_b32_e32 v49, v29
	v_cmp_ne_u64_e32 vcc, s[76:77], v[48:49]
                                        ; implicit-def: $vgpr49
	s_and_saveexec_b64 s[40:41], vcc
	s_xor_b64 s[36:37], exec, s[40:41]
	s_cbranch_execz .LBB2_7322
; %bb.7309:                             ;   in Loop: Header=BB2_7030 Depth=3
	v_and_b32_e32 v48, 0x7fffffff, v8
	v_mov_b32_e32 v49, v29
	v_cmp_gt_u64_e32 vcc, s[78:79], v[48:49]
	v_and_b32_sdwa v5, v8, s87 dst_sel:DWORD dst_unused:UNUSED_PAD src0_sel:BYTE_3 src1_sel:DWORD
                                        ; implicit-def: $vgpr49
	s_and_saveexec_b64 s[40:41], vcc
	s_xor_b64 s[38:39], exec, s[40:41]
	s_cbranch_execz .LBB2_7319
; %bb.7310:                             ;   in Loop: Header=BB2_7030 Depth=3
	v_mov_b32_e32 v49, 0
	v_cmp_ne_u32_e32 vcc, 0, v8
	s_and_saveexec_b64 s[48:49], vcc
	s_cbranch_execz .LBB2_7318
; %bb.7311:                             ;   in Loop: Header=BB2_7030 Depth=3
	v_bfe_u32 v16, v8, 23, 8
	v_and_b32_e32 v9, 0x7fffff, v8
	v_cmp_gt_u32_e64 s[40:41], s96, v16
	v_sub_u32_e32 v8, 0x79, v16
	v_cmp_eq_u32_e32 vcc, 0, v16
	v_cndmask_b32_e64 v8, 0, v8, s[40:41]
	v_or_b32_e32 v30, 0x800000, v9
	v_cndmask_b32_e32 v18, v8, v36, vcc
	v_cndmask_b32_e32 v8, v30, v9, vcc
	v_add_u32_e32 v30, 20, v18
	v_lshlrev_b64 v[48:49], v30, -1
	v_mov_b32_e32 v9, v29
	v_add_u32_e32 v30, 19, v18
	v_bfi_b32 v48, v48, 0, v8
	v_lshlrev_b64 v[53:54], v30, 1
	v_lshrrev_b64 v[8:9], v18, v[8:9]
	v_bfi_b32 v49, v49, 0, 0
	v_cmp_eq_u64_e64 s[40:41], v[48:49], v[53:54]
	v_mov_b32_e32 v47, v9
	v_mov_b32_e32 v46, v8
	s_and_saveexec_b64 s[50:51], s[40:41]
; %bb.7312:                             ;   in Loop: Header=BB2_7030 Depth=3
	v_bfe_u32 v9, v8, 20, 1
	v_add_co_u32_e64 v9, s[40:41], v8, v9
	v_add_co_u32_e64 v46, s[40:41], -1, v9
; %bb.7313:                             ;   in Loop: Header=BB2_7030 Depth=3
	s_or_b64 exec, exec, s[50:51]
	v_add_u32_e32 v9, 0xffffff81, v16
	v_cndmask_b32_e32 v9, v9, v37, vcc
	v_lshrrev_b32_e32 v16, 23, v8
	v_add3_u32 v30, v18, v9, v16
	v_add_u32_e32 v18, 6, v30
	v_and_b32_e32 v9, 0xfffff, v46
	v_add_u32_e32 v8, v9, v8
	v_mov_b32_e32 v9, v29
	v_cmp_ne_u32_e32 vcc, 0, v18
                                        ; implicit-def: $vgpr16
	s_and_saveexec_b64 s[40:41], vcc
	s_xor_b64 s[40:41], exec, s[40:41]
; %bb.7314:                             ;   in Loop: Header=BB2_7030 Depth=3
	v_cmp_lt_u64_e32 vcc, s[88:89], v[8:9]
	v_add_u32_e32 v16, 7, v30
	v_cndmask_b32_e32 v16, v18, v16, vcc
	v_cndmask_b32_e64 v18, 0, 1, vcc
	v_lshrrev_b64 v[8:9], v18, v[8:9]
; %bb.7315:                             ;   in Loop: Header=BB2_7030 Depth=3
	s_andn2_saveexec_b64 s[40:41], s[40:41]
; %bb.7316:                             ;   in Loop: Header=BB2_7030 Depth=3
	v_bfe_u32 v16, v8, 23, 1
; %bb.7317:                             ;   in Loop: Header=BB2_7030 Depth=3
	s_or_b64 exec, exec, s[40:41]
	v_lshrrev_b64 v[8:9], 20, v[8:9]
	v_cmp_gt_i32_e32 vcc, 16, v16
	v_cndmask_b32_e32 v9, 0, v9, vcc
	v_cndmask_b32_e32 v8, 7, v8, vcc
	v_cmp_eq_u64_e64 s[40:41], 0, v[8:9]
	v_min_i32_e32 v9, 15, v16
	v_lshlrev_b32_e32 v9, 3, v9
	v_cmp_eq_u32_e32 vcc, 0, v16
	v_and_b32_e32 v9, 0xf8, v9
	v_and_or_b32 v8, v8, 7, v9
	s_and_b64 s[40:41], vcc, s[40:41]
	v_cndmask_b32_e64 v8, v8, 0, s[40:41]
	v_or_b32_e32 v49, v8, v5
.LBB2_7318:                             ;   in Loop: Header=BB2_7030 Depth=3
	s_or_b64 exec, exec, s[48:49]
                                        ; implicit-def: $vgpr5
.LBB2_7319:                             ;   in Loop: Header=BB2_7030 Depth=3
	s_andn2_saveexec_b64 s[40:41], s[38:39]
; %bb.7320:                             ;   in Loop: Header=BB2_7030 Depth=3
	v_or_b32_e32 v49, 0x7e, v5
; %bb.7321:                             ;   in Loop: Header=BB2_7030 Depth=3
	s_or_b64 exec, exec, s[40:41]
                                        ; implicit-def: $vgpr8
.LBB2_7322:                             ;   in Loop: Header=BB2_7030 Depth=3
	s_andn2_saveexec_b64 s[40:41], s[36:37]
; %bb.7323:                             ;   in Loop: Header=BB2_7030 Depth=3
	v_or_b32_sdwa v49, v8, s85 dst_sel:DWORD dst_unused:UNUSED_PAD src0_sel:BYTE_3 src1_sel:DWORD
; %bb.7324:                             ;   in Loop: Header=BB2_7030 Depth=3
	s_or_b64 exec, exec, s[40:41]
	v_lshrrev_b16_e32 v8, 8, v28
	v_cmp_ne_u16_e32 vcc, 0, v8
	v_mov_b32_e32 v5, 0
	s_and_saveexec_b64 s[40:41], vcc
	s_cbranch_execz .LBB2_7330
; %bb.7325:                             ;   in Loop: Header=BB2_7030 Depth=3
	v_cmp_ne_u16_e32 vcc, s87, v8
	v_bfrev_b32_e32 v5, 1
	s_and_saveexec_b64 s[36:37], vcc
	s_cbranch_execz .LBB2_7329
; %bb.7326:                             ;   in Loop: Header=BB2_7030 Depth=3
	v_and_b32_e32 v9, 0x7f, v8
	v_cmp_ne_u32_e32 vcc, s85, v9
	v_mov_b32_e32 v5, 0x7f800001
	s_and_saveexec_b64 s[38:39], vcc
	s_cbranch_execz .LBB2_7328
; %bb.7327:                             ;   in Loop: Header=BB2_7030 Depth=3
	v_and_b32_e32 v5, 7, v8
	v_lshrrev_b32_e32 v16, 3, v9
	v_cmp_gt_u32_e32 vcc, 8, v9
	v_ffbh_u32_e32 v9, v5
	v_min_u32_e32 v18, 32, v9
	v_subrev_u32_e32 v9, 28, v18
	v_lshlrev_b64 v[8:9], v9, v[8:9]
	v_sub_u32_e32 v9, 29, v18
	v_and_b32_e32 v8, 7, v8
	v_cndmask_b32_e32 v9, v16, v9, vcc
	v_cndmask_b32_e32 v5, v5, v8, vcc
	v_lshlrev_b32_e32 v8, 16, v28
	v_lshlrev_b32_e32 v5, 20, v5
	v_and_b32_e32 v8, 0x80000000, v8
	v_lshl_add_u32 v9, v9, 23, v17
	v_or3_b32 v5, v8, v9, v5
.LBB2_7328:                             ;   in Loop: Header=BB2_7030 Depth=3
	s_or_b64 exec, exec, s[38:39]
.LBB2_7329:                             ;   in Loop: Header=BB2_7030 Depth=3
	s_or_b64 exec, exec, s[36:37]
.LBB2_7330:                             ;   in Loop: Header=BB2_7030 Depth=3
	s_or_b64 exec, exec, s[40:41]
	v_mul_f32_e32 v8, v3, v5
	v_and_b32_e32 v28, 0x7f800000, v8
	v_cmp_ne_u64_e32 vcc, s[76:77], v[28:29]
                                        ; implicit-def: $vgpr16
	s_and_saveexec_b64 s[40:41], vcc
	s_xor_b64 s[36:37], exec, s[40:41]
	s_cbranch_execz .LBB2_7344
; %bb.7331:                             ;   in Loop: Header=BB2_7030 Depth=3
	v_and_b32_e32 v28, 0x7fffffff, v8
	v_cmp_gt_u64_e32 vcc, s[78:79], v[28:29]
	v_and_b32_sdwa v5, v8, s87 dst_sel:DWORD dst_unused:UNUSED_PAD src0_sel:BYTE_3 src1_sel:DWORD
                                        ; implicit-def: $vgpr16
	s_and_saveexec_b64 s[40:41], vcc
	s_xor_b64 s[38:39], exec, s[40:41]
	s_cbranch_execz .LBB2_7341
; %bb.7332:                             ;   in Loop: Header=BB2_7030 Depth=3
	v_mov_b32_e32 v16, 0
	v_cmp_ne_u32_e32 vcc, 0, v8
	s_and_saveexec_b64 s[48:49], vcc
	s_cbranch_execz .LBB2_7340
; %bb.7333:                             ;   in Loop: Header=BB2_7030 Depth=3
	v_bfe_u32 v16, v8, 23, 8
	v_and_b32_e32 v9, 0x7fffff, v8
	v_cmp_gt_u32_e64 s[40:41], s96, v16
	v_sub_u32_e32 v8, 0x79, v16
	v_cmp_eq_u32_e32 vcc, 0, v16
	v_cndmask_b32_e64 v8, 0, v8, s[40:41]
	v_cndmask_b32_e32 v18, v8, v36, vcc
	v_or_b32_e32 v28, 0x800000, v9
	v_add_u32_e32 v8, 20, v18
	v_cndmask_b32_e32 v28, v28, v9, vcc
	v_lshlrev_b64 v[8:9], v8, -1
	v_add_u32_e32 v30, 19, v18
	v_lshlrev_b64 v[53:54], v30, 1
	v_bfi_b32 v9, v9, 0, 0
	v_bfi_b32 v8, v8, 0, v28
	v_cmp_eq_u64_e64 s[40:41], v[8:9], v[53:54]
	v_lshrrev_b64 v[8:9], v18, v[28:29]
	v_mov_b32_e32 v47, v9
	v_mov_b32_e32 v46, v8
	s_and_saveexec_b64 s[50:51], s[40:41]
; %bb.7334:                             ;   in Loop: Header=BB2_7030 Depth=3
	v_bfe_u32 v9, v8, 20, 1
	v_add_co_u32_e64 v9, s[40:41], v8, v9
	v_add_co_u32_e64 v46, s[40:41], -1, v9
; %bb.7335:                             ;   in Loop: Header=BB2_7030 Depth=3
	s_or_b64 exec, exec, s[50:51]
	v_add_u32_e32 v9, 0xffffff81, v16
	v_cndmask_b32_e32 v9, v9, v37, vcc
	v_lshrrev_b32_e32 v16, 23, v8
	v_add3_u32 v30, v18, v9, v16
	v_add_u32_e32 v18, 6, v30
	v_and_b32_e32 v9, 0xfffff, v46
	v_add_u32_e32 v28, v9, v8
	v_cmp_ne_u32_e32 vcc, 0, v18
                                        ; implicit-def: $vgpr8_vgpr9
                                        ; implicit-def: $vgpr16
	s_and_saveexec_b64 s[40:41], vcc
	s_xor_b64 s[40:41], exec, s[40:41]
; %bb.7336:                             ;   in Loop: Header=BB2_7030 Depth=3
	v_cmp_lt_u64_e32 vcc, s[88:89], v[28:29]
	v_add_u32_e32 v8, 7, v30
	v_cndmask_b32_e32 v16, v18, v8, vcc
	v_cndmask_b32_e64 v8, 0, 1, vcc
	v_lshrrev_b64 v[8:9], v8, v[28:29]
; %bb.7337:                             ;   in Loop: Header=BB2_7030 Depth=3
	s_andn2_saveexec_b64 s[40:41], s[40:41]
; %bb.7338:                             ;   in Loop: Header=BB2_7030 Depth=3
	v_mov_b32_e32 v8, v28
	v_bfe_u32 v16, v28, 23, 1
	v_mov_b32_e32 v9, v29
; %bb.7339:                             ;   in Loop: Header=BB2_7030 Depth=3
	s_or_b64 exec, exec, s[40:41]
	v_lshrrev_b64 v[8:9], 20, v[8:9]
	v_cmp_gt_i32_e32 vcc, 16, v16
	v_cndmask_b32_e32 v9, 0, v9, vcc
	v_cndmask_b32_e32 v8, 7, v8, vcc
	v_cmp_eq_u64_e64 s[40:41], 0, v[8:9]
	v_min_i32_e32 v9, 15, v16
	v_lshlrev_b32_e32 v9, 3, v9
	v_cmp_eq_u32_e32 vcc, 0, v16
	v_and_b32_e32 v9, 0xf8, v9
	v_and_or_b32 v8, v8, 7, v9
	s_and_b64 s[40:41], vcc, s[40:41]
	v_cndmask_b32_e64 v8, v8, 0, s[40:41]
	v_or_b32_e32 v16, v8, v5
.LBB2_7340:                             ;   in Loop: Header=BB2_7030 Depth=3
	s_or_b64 exec, exec, s[48:49]
                                        ; implicit-def: $vgpr5
.LBB2_7341:                             ;   in Loop: Header=BB2_7030 Depth=3
	s_andn2_saveexec_b64 s[40:41], s[38:39]
; %bb.7342:                             ;   in Loop: Header=BB2_7030 Depth=3
	v_or_b32_e32 v16, 0x7e, v5
; %bb.7343:                             ;   in Loop: Header=BB2_7030 Depth=3
	s_or_b64 exec, exec, s[40:41]
                                        ; implicit-def: $vgpr8
.LBB2_7344:                             ;   in Loop: Header=BB2_7030 Depth=3
	s_andn2_saveexec_b64 s[40:41], s[36:37]
; %bb.7345:                             ;   in Loop: Header=BB2_7030 Depth=3
	v_or_b32_sdwa v16, v8, s85 dst_sel:DWORD dst_unused:UNUSED_PAD src0_sel:BYTE_3 src1_sel:DWORD
; %bb.7346:                             ;   in Loop: Header=BB2_7030 Depth=3
	s_or_b64 exec, exec, s[40:41]
	v_lshrrev_b32_e32 v8, 16, v11
	v_cmp_ne_u16_sdwa vcc, v8, v29 src0_sel:BYTE_0 src1_sel:DWORD
	v_mov_b32_e32 v5, 0
	s_and_saveexec_b64 s[40:41], vcc
	s_cbranch_execz .LBB2_7352
; %bb.7347:                             ;   in Loop: Header=BB2_7030 Depth=3
	v_cmp_ne_u16_sdwa vcc, v8, s87 src0_sel:BYTE_0 src1_sel:DWORD
	v_bfrev_b32_e32 v5, 1
	s_and_saveexec_b64 s[36:37], vcc
	s_cbranch_execz .LBB2_7351
; %bb.7348:                             ;   in Loop: Header=BB2_7030 Depth=3
	v_bfe_u32 v9, v11, 16, 7
	v_cmp_ne_u32_e32 vcc, s85, v9
	v_mov_b32_e32 v5, 0x7f800001
	s_and_saveexec_b64 s[38:39], vcc
	s_cbranch_execz .LBB2_7350
; %bb.7349:                             ;   in Loop: Header=BB2_7030 Depth=3
	v_and_b32_e32 v5, 7, v8
	v_lshrrev_b32_e32 v18, 3, v9
	v_cmp_gt_u32_e32 vcc, 8, v9
	v_ffbh_u32_e32 v9, v5
	v_min_u32_e32 v9, 32, v9
	v_subrev_u32_e32 v28, 28, v9
	v_lshlrev_b64 v[53:54], v28, v[8:9]
	v_sub_u32_e32 v9, 29, v9
	v_and_b32_e32 v28, 7, v53
	v_cndmask_b32_e32 v9, v18, v9, vcc
	v_cndmask_b32_e32 v5, v5, v28, vcc
	v_lshlrev_b32_e32 v8, 24, v8
	v_lshlrev_b32_e32 v5, 20, v5
	v_and_b32_e32 v8, 0x80000000, v8
	v_lshl_add_u32 v9, v9, 23, v17
	v_or3_b32 v5, v8, v9, v5
.LBB2_7350:                             ;   in Loop: Header=BB2_7030 Depth=3
	s_or_b64 exec, exec, s[38:39]
.LBB2_7351:                             ;   in Loop: Header=BB2_7030 Depth=3
	s_or_b64 exec, exec, s[36:37]
.LBB2_7352:                             ;   in Loop: Header=BB2_7030 Depth=3
	s_or_b64 exec, exec, s[40:41]
	v_mul_f32_e32 v8, v3, v5
	v_and_b32_e32 v28, 0x7f800000, v8
	v_cmp_ne_u64_e32 vcc, s[76:77], v[28:29]
                                        ; implicit-def: $vgpr5
	s_and_saveexec_b64 s[40:41], vcc
	s_xor_b64 s[36:37], exec, s[40:41]
	s_cbranch_execz .LBB2_7366
; %bb.7353:                             ;   in Loop: Header=BB2_7030 Depth=3
	v_and_b32_e32 v28, 0x7fffffff, v8
	v_cmp_gt_u64_e32 vcc, s[78:79], v[28:29]
	v_and_b32_sdwa v18, v8, s87 dst_sel:DWORD dst_unused:UNUSED_PAD src0_sel:BYTE_3 src1_sel:DWORD
                                        ; implicit-def: $vgpr5
	s_and_saveexec_b64 s[40:41], vcc
	s_xor_b64 s[38:39], exec, s[40:41]
	s_cbranch_execz .LBB2_7363
; %bb.7354:                             ;   in Loop: Header=BB2_7030 Depth=3
	v_mov_b32_e32 v5, 0
	v_cmp_ne_u32_e32 vcc, 0, v8
	s_and_saveexec_b64 s[48:49], vcc
	s_cbranch_execz .LBB2_7362
; %bb.7355:                             ;   in Loop: Header=BB2_7030 Depth=3
	v_bfe_u32 v5, v8, 23, 8
	v_and_b32_e32 v9, 0x7fffff, v8
	v_cmp_gt_u32_e64 s[40:41], s96, v5
	v_sub_u32_e32 v8, 0x79, v5
	v_cmp_eq_u32_e32 vcc, 0, v5
	v_cndmask_b32_e64 v8, 0, v8, s[40:41]
	v_cndmask_b32_e32 v30, v8, v36, vcc
	v_or_b32_e32 v28, 0x800000, v9
	v_add_u32_e32 v8, 20, v30
	v_cndmask_b32_e32 v28, v28, v9, vcc
	v_lshlrev_b64 v[8:9], v8, -1
	v_add_u32_e32 v48, 19, v30
	v_lshlrev_b64 v[53:54], v48, 1
	v_bfi_b32 v9, v9, 0, 0
	v_bfi_b32 v8, v8, 0, v28
	v_cmp_eq_u64_e64 s[40:41], v[8:9], v[53:54]
	v_lshrrev_b64 v[8:9], v30, v[28:29]
	v_mov_b32_e32 v47, v9
	v_mov_b32_e32 v46, v8
	s_and_saveexec_b64 s[50:51], s[40:41]
; %bb.7356:                             ;   in Loop: Header=BB2_7030 Depth=3
	v_bfe_u32 v9, v8, 20, 1
	v_add_co_u32_e64 v9, s[40:41], v8, v9
	v_add_co_u32_e64 v46, s[40:41], -1, v9
; %bb.7357:                             ;   in Loop: Header=BB2_7030 Depth=3
	s_or_b64 exec, exec, s[50:51]
	v_add_u32_e32 v5, 0xffffff81, v5
	v_cndmask_b32_e32 v5, v5, v37, vcc
	v_lshrrev_b32_e32 v9, 23, v8
	v_add3_u32 v55, v30, v5, v9
	v_add_u32_e32 v30, 6, v55
	v_and_b32_e32 v5, 0xfffff, v46
	v_add_u32_e32 v28, v5, v8
	v_cmp_ne_u32_e32 vcc, 0, v30
                                        ; implicit-def: $vgpr8_vgpr9
                                        ; implicit-def: $vgpr5
	s_and_saveexec_b64 s[40:41], vcc
	s_xor_b64 s[40:41], exec, s[40:41]
; %bb.7358:                             ;   in Loop: Header=BB2_7030 Depth=3
	v_cmp_lt_u64_e32 vcc, s[88:89], v[28:29]
	v_add_u32_e32 v5, 7, v55
	v_cndmask_b32_e64 v8, 0, 1, vcc
	v_cndmask_b32_e32 v5, v30, v5, vcc
	v_lshrrev_b64 v[8:9], v8, v[28:29]
; %bb.7359:                             ;   in Loop: Header=BB2_7030 Depth=3
	s_andn2_saveexec_b64 s[40:41], s[40:41]
; %bb.7360:                             ;   in Loop: Header=BB2_7030 Depth=3
	v_mov_b32_e32 v8, v28
	v_bfe_u32 v5, v28, 23, 1
	v_mov_b32_e32 v9, v29
; %bb.7361:                             ;   in Loop: Header=BB2_7030 Depth=3
	s_or_b64 exec, exec, s[40:41]
	v_lshrrev_b64 v[8:9], 20, v[8:9]
	v_cmp_gt_i32_e32 vcc, 16, v5
	v_cndmask_b32_e32 v9, 0, v9, vcc
	v_cndmask_b32_e32 v8, 7, v8, vcc
	v_cmp_eq_u32_e32 vcc, 0, v5
	v_min_i32_e32 v5, 15, v5
	v_cmp_eq_u64_e64 s[40:41], 0, v[8:9]
	v_lshlrev_b32_e32 v5, 3, v5
	v_and_b32_e32 v5, 0xf8, v5
	v_and_or_b32 v5, v8, 7, v5
	s_and_b64 s[40:41], vcc, s[40:41]
	v_cndmask_b32_e64 v5, v5, 0, s[40:41]
	v_or_b32_e32 v5, v5, v18
.LBB2_7362:                             ;   in Loop: Header=BB2_7030 Depth=3
	s_or_b64 exec, exec, s[48:49]
                                        ; implicit-def: $vgpr18
.LBB2_7363:                             ;   in Loop: Header=BB2_7030 Depth=3
	s_andn2_saveexec_b64 s[40:41], s[38:39]
; %bb.7364:                             ;   in Loop: Header=BB2_7030 Depth=3
	v_or_b32_e32 v5, 0x7e, v18
; %bb.7365:                             ;   in Loop: Header=BB2_7030 Depth=3
	s_or_b64 exec, exec, s[40:41]
                                        ; implicit-def: $vgpr8
.LBB2_7366:                             ;   in Loop: Header=BB2_7030 Depth=3
	s_andn2_saveexec_b64 s[40:41], s[36:37]
; %bb.7367:                             ;   in Loop: Header=BB2_7030 Depth=3
	v_or_b32_sdwa v5, v8, s85 dst_sel:DWORD dst_unused:UNUSED_PAD src0_sel:BYTE_3 src1_sel:DWORD
; %bb.7368:                             ;   in Loop: Header=BB2_7030 Depth=3
	s_or_b64 exec, exec, s[40:41]
	v_cmp_lt_u64_e32 vcc, s[56:57], v[10:11]
	v_mov_b32_e32 v9, 0
	s_and_saveexec_b64 s[40:41], vcc
	s_cbranch_execz .LBB2_7374
; %bb.7369:                             ;   in Loop: Header=BB2_7030 Depth=3
	v_lshrrev_b32_e32 v8, 24, v11
	v_cmp_ne_u32_e32 vcc, s87, v8
	v_bfrev_b32_e32 v9, 1
	s_and_saveexec_b64 s[36:37], vcc
	s_cbranch_execz .LBB2_7373
; %bb.7370:                             ;   in Loop: Header=BB2_7030 Depth=3
	v_bfe_u32 v10, v11, 24, 7
	v_cmp_ne_u32_e32 vcc, s85, v10
	v_mov_b32_e32 v9, 0x7f800001
	s_and_saveexec_b64 s[38:39], vcc
	s_cbranch_execz .LBB2_7372
; %bb.7371:                             ;   in Loop: Header=BB2_7030 Depth=3
	v_and_b32_e32 v11, 7, v8
	v_ffbh_u32_e32 v9, v11
	v_min_u32_e32 v28, 32, v9
	v_subrev_u32_e32 v9, 28, v28
	v_lshrrev_b32_e32 v18, 3, v10
	v_cmp_gt_u32_e32 vcc, 8, v10
	v_lshlrev_b64 v[9:10], v9, v[8:9]
	v_sub_u32_e32 v10, 29, v28
	v_and_b32_e32 v9, 7, v9
	v_cndmask_b32_e32 v10, v18, v10, vcc
	v_cndmask_b32_e32 v9, v11, v9, vcc
	v_lshlrev_b32_e32 v8, 24, v8
	v_lshlrev_b32_e32 v9, 20, v9
	v_and_b32_e32 v8, 0x80000000, v8
	v_lshl_add_u32 v10, v10, 23, v17
	v_or3_b32 v9, v8, v10, v9
.LBB2_7372:                             ;   in Loop: Header=BB2_7030 Depth=3
	s_or_b64 exec, exec, s[38:39]
.LBB2_7373:                             ;   in Loop: Header=BB2_7030 Depth=3
	s_or_b64 exec, exec, s[36:37]
.LBB2_7374:                             ;   in Loop: Header=BB2_7030 Depth=3
	s_or_b64 exec, exec, s[40:41]
	v_mul_f32_e32 v8, v3, v9
	v_and_b32_e32 v28, 0x7f800000, v8
	v_cmp_ne_u64_e32 vcc, s[76:77], v[28:29]
                                        ; implicit-def: $vgpr3
	s_and_saveexec_b64 s[40:41], vcc
	s_xor_b64 s[36:37], exec, s[40:41]
	s_cbranch_execz .LBB2_7388
; %bb.7375:                             ;   in Loop: Header=BB2_7030 Depth=3
	v_and_b32_e32 v28, 0x7fffffff, v8
	v_cmp_gt_u64_e32 vcc, s[78:79], v[28:29]
	v_and_b32_sdwa v11, v8, s87 dst_sel:DWORD dst_unused:UNUSED_PAD src0_sel:BYTE_3 src1_sel:DWORD
                                        ; implicit-def: $vgpr3
	s_and_saveexec_b64 s[40:41], vcc
	s_xor_b64 s[38:39], exec, s[40:41]
	s_cbranch_execz .LBB2_7385
; %bb.7376:                             ;   in Loop: Header=BB2_7030 Depth=3
	v_mov_b32_e32 v3, 0
	v_cmp_ne_u32_e32 vcc, 0, v8
	s_and_saveexec_b64 s[48:49], vcc
	s_cbranch_execz .LBB2_7384
; %bb.7377:                             ;   in Loop: Header=BB2_7030 Depth=3
	v_bfe_u32 v3, v8, 23, 8
	v_and_b32_e32 v9, 0x7fffff, v8
	v_cmp_gt_u32_e64 s[40:41], s96, v3
	v_sub_u32_e32 v8, 0x79, v3
	v_cmp_eq_u32_e32 vcc, 0, v3
	v_cndmask_b32_e64 v8, 0, v8, s[40:41]
	v_cndmask_b32_e32 v18, v8, v36, vcc
	v_or_b32_e32 v10, 0x800000, v9
	v_add_u32_e32 v8, 20, v18
	v_cndmask_b32_e32 v28, v10, v9, vcc
	v_lshlrev_b64 v[8:9], v8, -1
	v_add_u32_e32 v10, 19, v18
	v_lshlrev_b64 v[53:54], v10, 1
	v_bfi_b32 v9, v9, 0, 0
	v_bfi_b32 v8, v8, 0, v28
	v_cmp_eq_u64_e64 s[40:41], v[8:9], v[53:54]
	v_lshrrev_b64 v[8:9], v18, v[28:29]
	v_mov_b32_e32 v10, v9
	v_mov_b32_e32 v9, v8
	s_and_saveexec_b64 s[50:51], s[40:41]
; %bb.7378:                             ;   in Loop: Header=BB2_7030 Depth=3
	v_bfe_u32 v9, v8, 20, 1
	v_add_co_u32_e64 v9, s[40:41], v8, v9
	v_add_co_u32_e64 v9, s[40:41], -1, v9
; %bb.7379:                             ;   in Loop: Header=BB2_7030 Depth=3
	s_or_b64 exec, exec, s[50:51]
	v_add_u32_e32 v3, 0xffffff81, v3
	v_cndmask_b32_e32 v3, v3, v37, vcc
	v_lshrrev_b32_e32 v10, 23, v8
	v_add3_u32 v18, v18, v3, v10
	v_add_u32_e32 v10, 6, v18
	v_and_b32_e32 v3, 0xfffff, v9
	v_add_u32_e32 v28, v3, v8
	v_cmp_ne_u32_e32 vcc, 0, v10
                                        ; implicit-def: $vgpr8_vgpr9
                                        ; implicit-def: $vgpr3
	s_and_saveexec_b64 s[40:41], vcc
	s_xor_b64 s[40:41], exec, s[40:41]
; %bb.7380:                             ;   in Loop: Header=BB2_7030 Depth=3
	v_cmp_lt_u64_e32 vcc, s[88:89], v[28:29]
	v_add_u32_e32 v3, 7, v18
	v_cndmask_b32_e64 v8, 0, 1, vcc
	v_cndmask_b32_e32 v3, v10, v3, vcc
	v_lshrrev_b64 v[8:9], v8, v[28:29]
; %bb.7381:                             ;   in Loop: Header=BB2_7030 Depth=3
	s_andn2_saveexec_b64 s[40:41], s[40:41]
; %bb.7382:                             ;   in Loop: Header=BB2_7030 Depth=3
	v_mov_b32_e32 v8, v28
	v_bfe_u32 v3, v28, 23, 1
	v_mov_b32_e32 v9, v29
; %bb.7383:                             ;   in Loop: Header=BB2_7030 Depth=3
	s_or_b64 exec, exec, s[40:41]
	v_lshrrev_b64 v[8:9], 20, v[8:9]
	v_cmp_gt_i32_e32 vcc, 16, v3
	v_cndmask_b32_e32 v9, 0, v9, vcc
	v_cndmask_b32_e32 v8, 7, v8, vcc
	v_cmp_eq_u32_e32 vcc, 0, v3
	v_min_i32_e32 v3, 15, v3
	v_cmp_eq_u64_e64 s[40:41], 0, v[8:9]
	v_lshlrev_b32_e32 v3, 3, v3
	v_and_b32_e32 v3, 0xf8, v3
	v_and_or_b32 v3, v8, 7, v3
	s_and_b64 s[40:41], vcc, s[40:41]
	v_cndmask_b32_e64 v3, v3, 0, s[40:41]
	v_or_b32_e32 v3, v3, v11
.LBB2_7384:                             ;   in Loop: Header=BB2_7030 Depth=3
	s_or_b64 exec, exec, s[48:49]
                                        ; implicit-def: $vgpr11
.LBB2_7385:                             ;   in Loop: Header=BB2_7030 Depth=3
	s_andn2_saveexec_b64 s[40:41], s[38:39]
; %bb.7386:                             ;   in Loop: Header=BB2_7030 Depth=3
	v_or_b32_e32 v3, 0x7e, v11
; %bb.7387:                             ;   in Loop: Header=BB2_7030 Depth=3
	s_or_b64 exec, exec, s[40:41]
                                        ; implicit-def: $vgpr8
.LBB2_7388:                             ;   in Loop: Header=BB2_7030 Depth=3
	s_andn2_saveexec_b64 s[40:41], s[36:37]
; %bb.7389:                             ;   in Loop: Header=BB2_7030 Depth=3
	v_or_b32_sdwa v3, v8, s85 dst_sel:DWORD dst_unused:UNUSED_PAD src0_sel:BYTE_3 src1_sel:DWORD
; %bb.7390:                             ;   in Loop: Header=BB2_7030 Depth=3
	s_or_b64 exec, exec, s[40:41]
	v_lshl_or_b32 v6, v6, 8, v2
	v_lshlrev_b32_e32 v8, 16, v25
	v_lshlrev_b32_e32 v9, 24, v34
	v_or3_b32 v28, v8, v9, v6
	global_load_dwordx4 v[8:11], v[42:43], off glc slc
	v_cmp_ne_u32_e32 vcc, 0, v2
	v_mov_b32_e32 v18, 0
	s_and_saveexec_b64 s[40:41], vcc
	s_cbranch_execz .LBB2_7396
; %bb.7391:                             ;   in Loop: Header=BB2_7030 Depth=3
	v_cmp_ne_u32_e32 vcc, s87, v2
	v_bfrev_b32_e32 v18, 1
	s_and_saveexec_b64 s[36:37], vcc
	s_cbranch_execz .LBB2_7395
; %bb.7392:                             ;   in Loop: Header=BB2_7030 Depth=3
	v_and_b32_e32 v25, 0x7f, v2
	v_cmp_ne_u32_e32 vcc, s85, v25
	v_mov_b32_e32 v18, 0x7f800001
	s_and_saveexec_b64 s[38:39], vcc
	s_cbranch_execz .LBB2_7394
; %bb.7393:                             ;   in Loop: Header=BB2_7030 Depth=3
	v_and_b32_e32 v2, 7, v2
	v_ffbh_u32_e32 v2, v2
	v_min_u32_e32 v2, 32, v2
	v_lshrrev_b32_e32 v18, 3, v25
	v_cmp_gt_u32_e32 vcc, 8, v25
	v_subrev_u32_e32 v25, 28, v2
	v_sub_u32_e32 v2, 29, v2
	v_cndmask_b32_e32 v2, v18, v2, vcc
	v_cndmask_b32_e32 v18, 0, v25, vcc
	v_lshlrev_b64 v[53:54], v18, v[28:29]
	v_lshlrev_b32_e32 v25, 24, v28
	v_lshlrev_b32_e32 v18, 20, v53
	v_and_b32_e32 v18, 0x700000, v18
	v_and_b32_e32 v25, 0x80000000, v25
	v_lshl_add_u32 v2, v2, 23, v17
	v_or3_b32 v18, v25, v2, v18
.LBB2_7394:                             ;   in Loop: Header=BB2_7030 Depth=3
	s_or_b64 exec, exec, s[38:39]
.LBB2_7395:                             ;   in Loop: Header=BB2_7030 Depth=3
	s_or_b64 exec, exec, s[36:37]
.LBB2_7396:                             ;   in Loop: Header=BB2_7030 Depth=3
	s_or_b64 exec, exec, s[40:41]
	s_waitcnt vmcnt(0)
	v_cmp_gt_i16_sdwa vcc, v8, s85 src0_sel:BYTE_0 src1_sel:DWORD
	s_mov_b64 s[40:41], 0
	s_and_saveexec_b64 s[36:37], vcc
	s_xor_b64 vcc, exec, s[36:37]
	s_cbranch_execz .LBB2_7818
; %bb.7397:                             ;   in Loop: Header=BB2_7030 Depth=3
	v_cmp_eq_u16_sdwa s[38:39], v8, s87 src0_sel:BYTE_0 src1_sel:DWORD
	s_mov_b64 s[40:41], -1
	s_and_saveexec_b64 s[36:37], s[38:39]
; %bb.7398:                             ;   in Loop: Header=BB2_7030 Depth=3
	s_xor_b64 s[40:41], exec, -1
; %bb.7399:                             ;   in Loop: Header=BB2_7030 Depth=3
	s_or_b64 exec, exec, s[36:37]
	s_and_b64 s[40:41], s[40:41], exec
	s_or_saveexec_b64 vcc, vcc
	v_bfrev_b32_e32 v2, 1
	s_xor_b64 exec, exec, vcc
	s_cbranch_execnz .LBB2_7819
.LBB2_7400:                             ;   in Loop: Header=BB2_7030 Depth=3
	s_or_b64 exec, exec, vcc
	s_and_saveexec_b64 s[36:37], s[40:41]
	s_cbranch_execz .LBB2_7402
.LBB2_7401:                             ;   in Loop: Header=BB2_7030 Depth=3
	v_and_b32_e32 v2, 7, v8
	v_ffbh_u32_e32 v2, v2
	v_and_b32_e32 v25, 0x7f, v8
	v_min_u32_e32 v2, 32, v2
	v_bfe_u32 v30, v8, 3, 4
	v_subrev_u32_e32 v34, 28, v2
	v_sub_u32_e32 v2, 29, v2
	v_cmp_gt_u32_e32 vcc, 8, v25
	v_cndmask_b32_e32 v2, v30, v2, vcc
	v_cndmask_b32_e32 v30, 0, v34, vcc
	v_lshlrev_b64 v[53:54], v30, v[8:9]
	v_lshlrev_b32_e32 v34, 24, v8
	v_lshlrev_b32_e32 v30, 20, v53
	v_and_b32_e32 v30, 0x700000, v30
	v_and_b32_e32 v34, 0x80000000, v34
	v_lshl_add_u32 v2, v2, 23, v17
	v_or3_b32 v2, v34, v2, v30
	v_cmp_ne_u32_e32 vcc, s85, v25
	v_cndmask_b32_e32 v2, v4, v2, vcc
.LBB2_7402:                             ;   in Loop: Header=BB2_7030 Depth=3
	s_or_b64 exec, exec, s[36:37]
	v_add_f32_e32 v18, v18, v2
	v_and_b32_e32 v53, 0x7f800000, v18
	v_mov_b32_e32 v54, v29
	v_cmp_ne_u64_e32 vcc, s[76:77], v[53:54]
                                        ; implicit-def: $vgpr25
	s_and_saveexec_b64 s[40:41], vcc
	s_xor_b64 s[36:37], exec, s[40:41]
	s_cbranch_execz .LBB2_7416
; %bb.7403:                             ;   in Loop: Header=BB2_7030 Depth=3
	v_and_b32_e32 v53, 0x7fffffff, v18
	v_mov_b32_e32 v54, v29
	v_cmp_gt_u64_e32 vcc, s[78:79], v[53:54]
	v_and_b32_sdwa v2, v18, s87 dst_sel:DWORD dst_unused:UNUSED_PAD src0_sel:BYTE_3 src1_sel:DWORD
                                        ; implicit-def: $vgpr25
	s_and_saveexec_b64 s[40:41], vcc
	s_xor_b64 s[38:39], exec, s[40:41]
	s_cbranch_execz .LBB2_7413
; %bb.7404:                             ;   in Loop: Header=BB2_7030 Depth=3
	v_mov_b32_e32 v25, 0
	v_cmp_ne_u32_e32 vcc, 0, v18
	s_and_saveexec_b64 s[48:49], vcc
	s_cbranch_execz .LBB2_7412
; %bb.7405:                             ;   in Loop: Header=BB2_7030 Depth=3
	v_and_b32_e32 v30, 0x7fffff, v18
	v_bfe_u32 v18, v18, 23, 8
	v_cmp_gt_u32_e64 s[40:41], s96, v18
	v_sub_u32_e32 v25, 0x79, v18
	v_cmp_eq_u32_e32 vcc, 0, v18
	v_cndmask_b32_e64 v25, 0, v25, s[40:41]
	v_or_b32_e32 v34, 0x800000, v30
	v_cndmask_b32_e32 v25, v25, v36, vcc
	v_cndmask_b32_e32 v53, v34, v30, vcc
	v_add_u32_e32 v30, 20, v25
	v_lshlrev_b64 v[46:47], v30, -1
	v_add_u32_e32 v30, 19, v25
	v_lshlrev_b64 v[55:56], v30, 1
	v_mov_b32_e32 v54, v29
	v_bfi_b32 v47, v47, 0, 0
	v_bfi_b32 v46, v46, 0, v53
	v_cmp_eq_u64_e64 s[40:41], v[46:47], v[55:56]
	v_lshrrev_b64 v[46:47], v25, v[53:54]
	v_mov_b32_e32 v56, v47
	v_mov_b32_e32 v55, v46
	s_and_saveexec_b64 s[50:51], s[40:41]
; %bb.7406:                             ;   in Loop: Header=BB2_7030 Depth=3
	v_bfe_u32 v30, v46, 20, 1
	v_add_co_u32_e64 v30, s[40:41], v46, v30
	v_add_co_u32_e64 v55, s[40:41], -1, v30
; %bb.7407:                             ;   in Loop: Header=BB2_7030 Depth=3
	s_or_b64 exec, exec, s[50:51]
	v_add_u32_e32 v18, 0xffffff81, v18
	v_cndmask_b32_e32 v18, v18, v37, vcc
	v_lshrrev_b32_e32 v30, 23, v46
	v_add3_u32 v30, v25, v18, v30
	v_add_u32_e32 v25, 6, v30
	v_and_b32_e32 v18, 0xfffff, v55
	v_add_u32_e32 v46, v18, v46
	v_mov_b32_e32 v47, v29
	v_cmp_ne_u32_e32 vcc, 0, v25
                                        ; implicit-def: $vgpr18
	s_and_saveexec_b64 s[40:41], vcc
	s_xor_b64 s[40:41], exec, s[40:41]
; %bb.7408:                             ;   in Loop: Header=BB2_7030 Depth=3
	v_cmp_lt_u64_e32 vcc, s[88:89], v[46:47]
	v_add_u32_e32 v18, 7, v30
	v_cndmask_b32_e32 v18, v25, v18, vcc
	v_cndmask_b32_e64 v25, 0, 1, vcc
	v_lshrrev_b64 v[46:47], v25, v[46:47]
; %bb.7409:                             ;   in Loop: Header=BB2_7030 Depth=3
	s_andn2_saveexec_b64 s[40:41], s[40:41]
; %bb.7410:                             ;   in Loop: Header=BB2_7030 Depth=3
	v_bfe_u32 v18, v46, 23, 1
; %bb.7411:                             ;   in Loop: Header=BB2_7030 Depth=3
	s_or_b64 exec, exec, s[40:41]
	v_lshrrev_b64 v[53:54], 20, v[46:47]
	v_cmp_gt_i32_e32 vcc, 16, v18
	v_cndmask_b32_e32 v54, 0, v54, vcc
	v_cndmask_b32_e32 v53, 7, v53, vcc
	v_cmp_eq_u32_e32 vcc, 0, v18
	v_min_i32_e32 v18, 15, v18
	v_cmp_eq_u64_e64 s[40:41], 0, v[53:54]
	v_lshlrev_b32_e32 v18, 3, v18
	v_and_b32_e32 v18, 0xf8, v18
	v_and_or_b32 v18, v53, 7, v18
	s_and_b64 s[40:41], vcc, s[40:41]
	v_cndmask_b32_e64 v18, v18, 0, s[40:41]
	v_or_b32_e32 v25, v18, v2
.LBB2_7412:                             ;   in Loop: Header=BB2_7030 Depth=3
	s_or_b64 exec, exec, s[48:49]
                                        ; implicit-def: $vgpr2
.LBB2_7413:                             ;   in Loop: Header=BB2_7030 Depth=3
	s_andn2_saveexec_b64 s[40:41], s[38:39]
; %bb.7414:                             ;   in Loop: Header=BB2_7030 Depth=3
	v_or_b32_e32 v25, 0x7e, v2
; %bb.7415:                             ;   in Loop: Header=BB2_7030 Depth=3
	s_or_b64 exec, exec, s[40:41]
                                        ; implicit-def: $vgpr18
.LBB2_7416:                             ;   in Loop: Header=BB2_7030 Depth=3
	s_andn2_saveexec_b64 s[40:41], s[36:37]
; %bb.7417:                             ;   in Loop: Header=BB2_7030 Depth=3
	v_or_b32_sdwa v25, v18, s85 dst_sel:DWORD dst_unused:UNUSED_PAD src0_sel:BYTE_3 src1_sel:DWORD
; %bb.7418:                             ;   in Loop: Header=BB2_7030 Depth=3
	s_or_b64 exec, exec, s[40:41]
	v_lshrrev_b16_e32 v30, 8, v6
	v_cmp_ne_u16_e32 vcc, 0, v30
	v_mov_b32_e32 v2, 0
	s_and_saveexec_b64 s[40:41], vcc
	s_cbranch_execz .LBB2_7424
; %bb.7419:                             ;   in Loop: Header=BB2_7030 Depth=3
	v_cmp_ne_u16_e32 vcc, s87, v30
	v_bfrev_b32_e32 v2, 1
	s_and_saveexec_b64 s[36:37], vcc
	s_cbranch_execz .LBB2_7423
; %bb.7420:                             ;   in Loop: Header=BB2_7030 Depth=3
	v_and_b32_e32 v18, 0x7f, v30
	v_cmp_ne_u32_e32 vcc, s85, v18
	v_mov_b32_e32 v2, 0x7f800001
	s_and_saveexec_b64 s[38:39], vcc
	s_cbranch_execz .LBB2_7422
; %bb.7421:                             ;   in Loop: Header=BB2_7030 Depth=3
	v_and_b32_e32 v2, 7, v30
	v_lshrrev_b32_e32 v34, 3, v18
	v_cmp_gt_u32_e32 vcc, 8, v18
	v_ffbh_u32_e32 v18, v2
	v_min_u32_e32 v18, 32, v18
	v_subrev_u32_e32 v48, 28, v18
	v_lshlrev_b64 v[53:54], v48, v[30:31]
	v_sub_u32_e32 v18, 29, v18
	v_and_b32_e32 v30, 7, v53
	v_cndmask_b32_e32 v18, v34, v18, vcc
	v_cndmask_b32_e32 v2, v2, v30, vcc
	v_lshlrev_b32_e32 v6, 16, v6
	v_lshlrev_b32_e32 v2, 20, v2
	v_and_b32_e32 v6, 0x80000000, v6
	v_lshl_add_u32 v18, v18, 23, v17
	v_or3_b32 v2, v6, v18, v2
.LBB2_7422:                             ;   in Loop: Header=BB2_7030 Depth=3
	s_or_b64 exec, exec, s[38:39]
.LBB2_7423:                             ;   in Loop: Header=BB2_7030 Depth=3
	s_or_b64 exec, exec, s[36:37]
.LBB2_7424:                             ;   in Loop: Header=BB2_7030 Depth=3
	s_or_b64 exec, exec, s[40:41]
	v_lshrrev_b16_e32 v46, 8, v8
	v_cmp_lt_i16_e32 vcc, s85, v46
	s_mov_b64 s[40:41], 0
	s_and_saveexec_b64 s[36:37], vcc
	s_xor_b64 s[36:37], exec, s[36:37]
	s_cbranch_execz .LBB2_7820
; %bb.7425:                             ;   in Loop: Header=BB2_7030 Depth=3
	v_cmp_eq_u16_e32 vcc, s87, v46
	s_mov_b64 s[40:41], -1
	s_and_saveexec_b64 s[38:39], vcc
; %bb.7426:                             ;   in Loop: Header=BB2_7030 Depth=3
	s_xor_b64 s[40:41], exec, -1
; %bb.7427:                             ;   in Loop: Header=BB2_7030 Depth=3
	s_or_b64 exec, exec, s[38:39]
	s_and_b64 s[40:41], s[40:41], exec
	s_or_saveexec_b64 s[36:37], s[36:37]
	v_bfrev_b32_e32 v6, 1
	s_xor_b64 exec, exec, s[36:37]
	s_cbranch_execnz .LBB2_7821
.LBB2_7428:                             ;   in Loop: Header=BB2_7030 Depth=3
	s_or_b64 exec, exec, s[36:37]
	s_and_saveexec_b64 s[36:37], s[40:41]
	s_cbranch_execz .LBB2_7430
.LBB2_7429:                             ;   in Loop: Header=BB2_7030 Depth=3
	v_and_b32_e32 v6, 7, v46
	v_ffbh_u32_e32 v34, v6
	v_min_u32_e32 v34, 32, v34
	v_mov_b32_e32 v47, v29
	v_subrev_u32_e32 v48, 28, v34
	v_lshlrev_b64 v[53:54], v48, v[46:47]
	v_and_b32_e32 v18, 0x7f, v46
	v_bfe_u32 v30, v46, 3, 4
	v_sub_u32_e32 v34, 29, v34
	v_and_b32_e32 v48, 7, v53
	v_cmp_gt_u32_e32 vcc, 8, v18
	v_cndmask_b32_e32 v30, v30, v34, vcc
	v_cndmask_b32_e32 v6, v6, v48, vcc
	v_lshlrev_b32_e32 v34, 24, v46
	v_lshlrev_b32_e32 v6, 20, v6
	v_and_b32_e32 v34, 0x80000000, v34
	v_lshl_add_u32 v30, v30, 23, v17
	v_or3_b32 v6, v34, v30, v6
	v_cmp_ne_u32_e32 vcc, s85, v18
	v_cndmask_b32_e32 v6, v4, v6, vcc
.LBB2_7430:                             ;   in Loop: Header=BB2_7030 Depth=3
	s_or_b64 exec, exec, s[36:37]
	v_add_f32_e32 v18, v2, v6
	v_and_b32_e32 v53, 0x7f800000, v18
	v_mov_b32_e32 v54, v29
	v_cmp_ne_u64_e32 vcc, s[76:77], v[53:54]
                                        ; implicit-def: $vgpr6
	s_and_saveexec_b64 s[40:41], vcc
	s_xor_b64 s[36:37], exec, s[40:41]
	s_cbranch_execz .LBB2_7444
; %bb.7431:                             ;   in Loop: Header=BB2_7030 Depth=3
	v_and_b32_e32 v53, 0x7fffffff, v18
	v_mov_b32_e32 v54, v29
	v_cmp_gt_u64_e32 vcc, s[78:79], v[53:54]
	v_and_b32_sdwa v2, v18, s87 dst_sel:DWORD dst_unused:UNUSED_PAD src0_sel:BYTE_3 src1_sel:DWORD
                                        ; implicit-def: $vgpr6
	s_and_saveexec_b64 s[40:41], vcc
	s_xor_b64 s[38:39], exec, s[40:41]
	s_cbranch_execz .LBB2_7441
; %bb.7432:                             ;   in Loop: Header=BB2_7030 Depth=3
	v_mov_b32_e32 v6, 0
	v_cmp_ne_u32_e32 vcc, 0, v18
	s_and_saveexec_b64 s[48:49], vcc
	s_cbranch_execz .LBB2_7440
; %bb.7433:                             ;   in Loop: Header=BB2_7030 Depth=3
	v_bfe_u32 v6, v18, 23, 8
	v_and_b32_e32 v30, 0x7fffff, v18
	v_cmp_gt_u32_e64 s[40:41], s96, v6
	v_sub_u32_e32 v18, 0x79, v6
	v_cmp_eq_u32_e32 vcc, 0, v6
	v_cndmask_b32_e64 v18, 0, v18, s[40:41]
	v_or_b32_e32 v34, 0x800000, v30
	v_cndmask_b32_e32 v18, v18, v36, vcc
	v_cndmask_b32_e32 v53, v34, v30, vcc
	v_add_u32_e32 v30, 20, v18
	v_lshlrev_b64 v[46:47], v30, -1
	v_add_u32_e32 v30, 19, v18
	v_lshlrev_b64 v[55:56], v30, 1
	v_mov_b32_e32 v54, v29
	v_bfi_b32 v47, v47, 0, 0
	v_bfi_b32 v46, v46, 0, v53
	v_cmp_eq_u64_e64 s[40:41], v[46:47], v[55:56]
	v_lshrrev_b64 v[46:47], v18, v[53:54]
	v_mov_b32_e32 v56, v47
	v_mov_b32_e32 v55, v46
	s_and_saveexec_b64 s[50:51], s[40:41]
; %bb.7434:                             ;   in Loop: Header=BB2_7030 Depth=3
	v_bfe_u32 v30, v46, 20, 1
	v_add_co_u32_e64 v30, s[40:41], v46, v30
	v_add_co_u32_e64 v55, s[40:41], -1, v30
; %bb.7435:                             ;   in Loop: Header=BB2_7030 Depth=3
	s_or_b64 exec, exec, s[50:51]
	v_add_u32_e32 v6, 0xffffff81, v6
	v_cndmask_b32_e32 v6, v6, v37, vcc
	v_lshrrev_b32_e32 v30, 23, v46
	v_add3_u32 v30, v18, v6, v30
	v_add_u32_e32 v18, 6, v30
	v_and_b32_e32 v6, 0xfffff, v55
	v_add_u32_e32 v46, v6, v46
	v_mov_b32_e32 v47, v29
	v_cmp_ne_u32_e32 vcc, 0, v18
                                        ; implicit-def: $vgpr6
	s_and_saveexec_b64 s[40:41], vcc
	s_xor_b64 s[40:41], exec, s[40:41]
; %bb.7436:                             ;   in Loop: Header=BB2_7030 Depth=3
	v_cmp_lt_u64_e32 vcc, s[88:89], v[46:47]
	v_add_u32_e32 v6, 7, v30
	v_cndmask_b32_e32 v6, v18, v6, vcc
	v_cndmask_b32_e64 v18, 0, 1, vcc
	v_lshrrev_b64 v[46:47], v18, v[46:47]
; %bb.7437:                             ;   in Loop: Header=BB2_7030 Depth=3
	s_andn2_saveexec_b64 s[40:41], s[40:41]
; %bb.7438:                             ;   in Loop: Header=BB2_7030 Depth=3
	v_bfe_u32 v6, v46, 23, 1
; %bb.7439:                             ;   in Loop: Header=BB2_7030 Depth=3
	s_or_b64 exec, exec, s[40:41]
	v_lshrrev_b64 v[53:54], 20, v[46:47]
	v_cmp_gt_i32_e32 vcc, 16, v6
	v_cndmask_b32_e32 v54, 0, v54, vcc
	v_cndmask_b32_e32 v53, 7, v53, vcc
	v_cmp_eq_u32_e32 vcc, 0, v6
	v_min_i32_e32 v6, 15, v6
	v_cmp_eq_u64_e64 s[40:41], 0, v[53:54]
	v_lshlrev_b32_e32 v6, 3, v6
	v_and_b32_e32 v6, 0xf8, v6
	v_and_or_b32 v6, v53, 7, v6
	s_and_b64 s[40:41], vcc, s[40:41]
	v_cndmask_b32_e64 v6, v6, 0, s[40:41]
	v_or_b32_e32 v6, v6, v2
.LBB2_7440:                             ;   in Loop: Header=BB2_7030 Depth=3
	s_or_b64 exec, exec, s[48:49]
                                        ; implicit-def: $vgpr2
.LBB2_7441:                             ;   in Loop: Header=BB2_7030 Depth=3
	s_andn2_saveexec_b64 s[40:41], s[38:39]
; %bb.7442:                             ;   in Loop: Header=BB2_7030 Depth=3
	v_or_b32_e32 v6, 0x7e, v2
; %bb.7443:                             ;   in Loop: Header=BB2_7030 Depth=3
	s_or_b64 exec, exec, s[40:41]
                                        ; implicit-def: $vgpr18
.LBB2_7444:                             ;   in Loop: Header=BB2_7030 Depth=3
	s_andn2_saveexec_b64 s[40:41], s[36:37]
; %bb.7445:                             ;   in Loop: Header=BB2_7030 Depth=3
	v_or_b32_sdwa v6, v18, s85 dst_sel:DWORD dst_unused:UNUSED_PAD src0_sel:BYTE_3 src1_sel:DWORD
; %bb.7446:                             ;   in Loop: Header=BB2_7030 Depth=3
	s_or_b64 exec, exec, s[40:41]
	v_and_b32_sdwa v18, v28, s86 dst_sel:DWORD dst_unused:UNUSED_PAD src0_sel:WORD_1 src1_sel:DWORD
	v_lshrrev_b32_e32 v30, 16, v28
	v_cmp_ne_u16_e32 vcc, 0, v18
	v_mov_b32_e32 v2, 0
	s_and_saveexec_b64 s[40:41], vcc
	s_cbranch_execz .LBB2_7452
; %bb.7447:                             ;   in Loop: Header=BB2_7030 Depth=3
	v_cmp_ne_u16_e32 vcc, s87, v18
	v_bfrev_b32_e32 v2, 1
	s_and_saveexec_b64 s[36:37], vcc
	s_cbranch_execz .LBB2_7451
; %bb.7448:                             ;   in Loop: Header=BB2_7030 Depth=3
	v_bfe_u32 v18, v28, 16, 7
	v_cmp_ne_u32_e32 vcc, s85, v18
	v_mov_b32_e32 v2, 0x7f800001
	s_and_saveexec_b64 s[38:39], vcc
	s_cbranch_execz .LBB2_7450
; %bb.7449:                             ;   in Loop: Header=BB2_7030 Depth=3
	v_and_b32_e32 v2, 7, v30
	v_lshrrev_b32_e32 v34, 3, v18
	v_cmp_gt_u32_e32 vcc, 8, v18
	v_ffbh_u32_e32 v18, v2
	v_min_u32_e32 v18, 32, v18
	v_subrev_u32_e32 v48, 28, v18
	v_lshlrev_b64 v[53:54], v48, v[30:31]
	v_sub_u32_e32 v18, 29, v18
	v_and_b32_e32 v30, 7, v53
	v_cndmask_b32_e32 v2, v2, v30, vcc
	v_mov_b32_e32 v30, 24
	v_cndmask_b32_e32 v18, v34, v18, vcc
	v_lshlrev_b32_sdwa v30, v30, v28 dst_sel:DWORD dst_unused:UNUSED_PAD src0_sel:DWORD src1_sel:WORD_1
	v_lshlrev_b32_e32 v2, 20, v2
	v_and_b32_e32 v30, 0x80000000, v30
	v_lshl_add_u32 v18, v18, 23, v17
	v_or3_b32 v2, v30, v18, v2
.LBB2_7450:                             ;   in Loop: Header=BB2_7030 Depth=3
	s_or_b64 exec, exec, s[38:39]
.LBB2_7451:                             ;   in Loop: Header=BB2_7030 Depth=3
	s_or_b64 exec, exec, s[36:37]
.LBB2_7452:                             ;   in Loop: Header=BB2_7030 Depth=3
	s_or_b64 exec, exec, s[40:41]
	v_lshrrev_b32_e32 v30, 16, v8
	v_cmp_gt_i16_sdwa vcc, v30, s85 src0_sel:BYTE_0 src1_sel:DWORD
	s_mov_b64 s[40:41], 0
	s_and_saveexec_b64 s[36:37], vcc
	s_xor_b64 vcc, exec, s[36:37]
	s_cbranch_execz .LBB2_7822
; %bb.7453:                             ;   in Loop: Header=BB2_7030 Depth=3
	v_cmp_eq_u16_sdwa s[38:39], v30, s87 src0_sel:BYTE_0 src1_sel:DWORD
	s_mov_b64 s[40:41], -1
	s_and_saveexec_b64 s[36:37], s[38:39]
; %bb.7454:                             ;   in Loop: Header=BB2_7030 Depth=3
	s_xor_b64 s[40:41], exec, -1
; %bb.7455:                             ;   in Loop: Header=BB2_7030 Depth=3
	s_or_b64 exec, exec, s[36:37]
	s_and_b64 s[40:41], s[40:41], exec
	s_or_saveexec_b64 vcc, vcc
	v_bfrev_b32_e32 v18, 1
	s_xor_b64 exec, exec, vcc
	s_cbranch_execnz .LBB2_7823
.LBB2_7456:                             ;   in Loop: Header=BB2_7030 Depth=3
	s_or_b64 exec, exec, vcc
	s_and_saveexec_b64 s[36:37], s[40:41]
	s_cbranch_execz .LBB2_7458
.LBB2_7457:                             ;   in Loop: Header=BB2_7030 Depth=3
	v_and_b32_e32 v18, 7, v30
	v_ffbh_u32_e32 v53, v18
	v_min_u32_e32 v55, 32, v53
	v_subrev_u32_e32 v53, 28, v55
	v_lshlrev_b64 v[53:54], v53, v[30:31]
	v_and_b32_e32 v34, 0x7f, v30
	v_bfe_u32 v48, v30, 3, 4
	v_sub_u32_e32 v54, 29, v55
	v_and_b32_e32 v53, 7, v53
	v_cmp_gt_u32_e32 vcc, 8, v34
	v_cndmask_b32_e32 v48, v48, v54, vcc
	v_cndmask_b32_e32 v18, v18, v53, vcc
	v_lshlrev_b32_e32 v30, 24, v30
	v_lshlrev_b32_e32 v18, 20, v18
	v_and_b32_e32 v30, 0x80000000, v30
	v_lshl_add_u32 v48, v48, 23, v17
	v_or3_b32 v18, v30, v48, v18
	v_cmp_ne_u32_e32 vcc, s85, v34
	v_cndmask_b32_e32 v18, v4, v18, vcc
.LBB2_7458:                             ;   in Loop: Header=BB2_7030 Depth=3
	s_or_b64 exec, exec, s[36:37]
	v_add_f32_e32 v30, v2, v18
	v_and_b32_e32 v53, 0x7f800000, v30
	v_mov_b32_e32 v54, v29
	v_cmp_ne_u64_e32 vcc, s[76:77], v[53:54]
                                        ; implicit-def: $vgpr2
	s_and_saveexec_b64 s[40:41], vcc
	s_xor_b64 s[36:37], exec, s[40:41]
	s_cbranch_execz .LBB2_7472
; %bb.7459:                             ;   in Loop: Header=BB2_7030 Depth=3
	v_and_b32_e32 v53, 0x7fffffff, v30
	v_mov_b32_e32 v54, v29
	v_cmp_gt_u64_e32 vcc, s[78:79], v[53:54]
	v_and_b32_sdwa v18, v30, s87 dst_sel:DWORD dst_unused:UNUSED_PAD src0_sel:BYTE_3 src1_sel:DWORD
                                        ; implicit-def: $vgpr2
	s_and_saveexec_b64 s[40:41], vcc
	s_xor_b64 s[38:39], exec, s[40:41]
	s_cbranch_execz .LBB2_7469
; %bb.7460:                             ;   in Loop: Header=BB2_7030 Depth=3
	v_mov_b32_e32 v2, 0
	v_cmp_ne_u32_e32 vcc, 0, v30
	s_and_saveexec_b64 s[48:49], vcc
	s_cbranch_execz .LBB2_7468
; %bb.7461:                             ;   in Loop: Header=BB2_7030 Depth=3
	v_bfe_u32 v2, v30, 23, 8
	v_and_b32_e32 v34, 0x7fffff, v30
	v_cmp_gt_u32_e64 s[40:41], s96, v2
	v_sub_u32_e32 v30, 0x79, v2
	v_cmp_eq_u32_e32 vcc, 0, v2
	v_cndmask_b32_e64 v30, 0, v30, s[40:41]
	v_or_b32_e32 v48, 0x800000, v34
	v_cndmask_b32_e32 v30, v30, v36, vcc
	v_cndmask_b32_e32 v53, v48, v34, vcc
	v_add_u32_e32 v34, 20, v30
	v_lshlrev_b64 v[46:47], v34, -1
	v_add_u32_e32 v34, 19, v30
	v_lshlrev_b64 v[55:56], v34, 1
	v_mov_b32_e32 v54, v29
	v_bfi_b32 v47, v47, 0, 0
	v_bfi_b32 v46, v46, 0, v53
	v_cmp_eq_u64_e64 s[40:41], v[46:47], v[55:56]
	v_lshrrev_b64 v[46:47], v30, v[53:54]
	v_mov_b32_e32 v56, v47
	v_mov_b32_e32 v55, v46
	s_and_saveexec_b64 s[50:51], s[40:41]
; %bb.7462:                             ;   in Loop: Header=BB2_7030 Depth=3
	v_bfe_u32 v34, v46, 20, 1
	v_add_co_u32_e64 v34, s[40:41], v46, v34
	v_add_co_u32_e64 v55, s[40:41], -1, v34
; %bb.7463:                             ;   in Loop: Header=BB2_7030 Depth=3
	s_or_b64 exec, exec, s[50:51]
	v_add_u32_e32 v2, 0xffffff81, v2
	v_cndmask_b32_e32 v2, v2, v37, vcc
	v_lshrrev_b32_e32 v34, 23, v46
	v_add3_u32 v34, v30, v2, v34
	v_add_u32_e32 v30, 6, v34
	v_and_b32_e32 v2, 0xfffff, v55
	v_add_u32_e32 v46, v2, v46
	v_mov_b32_e32 v47, v29
	v_cmp_ne_u32_e32 vcc, 0, v30
                                        ; implicit-def: $vgpr2
	s_and_saveexec_b64 s[40:41], vcc
	s_xor_b64 s[40:41], exec, s[40:41]
; %bb.7464:                             ;   in Loop: Header=BB2_7030 Depth=3
	v_cmp_lt_u64_e32 vcc, s[88:89], v[46:47]
	v_add_u32_e32 v2, 7, v34
	v_cndmask_b32_e32 v2, v30, v2, vcc
	v_cndmask_b32_e64 v30, 0, 1, vcc
	v_lshrrev_b64 v[46:47], v30, v[46:47]
; %bb.7465:                             ;   in Loop: Header=BB2_7030 Depth=3
	s_andn2_saveexec_b64 s[40:41], s[40:41]
; %bb.7466:                             ;   in Loop: Header=BB2_7030 Depth=3
	v_bfe_u32 v2, v46, 23, 1
; %bb.7467:                             ;   in Loop: Header=BB2_7030 Depth=3
	s_or_b64 exec, exec, s[40:41]
	v_lshrrev_b64 v[53:54], 20, v[46:47]
	v_cmp_gt_i32_e32 vcc, 16, v2
	v_cndmask_b32_e32 v54, 0, v54, vcc
	v_cndmask_b32_e32 v53, 7, v53, vcc
	v_cmp_eq_u32_e32 vcc, 0, v2
	v_min_i32_e32 v2, 15, v2
	v_cmp_eq_u64_e64 s[40:41], 0, v[53:54]
	v_lshlrev_b32_e32 v2, 3, v2
	v_and_b32_e32 v2, 0xf8, v2
	v_and_or_b32 v2, v53, 7, v2
	s_and_b64 s[40:41], vcc, s[40:41]
	v_cndmask_b32_e64 v2, v2, 0, s[40:41]
	v_or_b32_e32 v2, v2, v18
.LBB2_7468:                             ;   in Loop: Header=BB2_7030 Depth=3
	s_or_b64 exec, exec, s[48:49]
                                        ; implicit-def: $vgpr18
.LBB2_7469:                             ;   in Loop: Header=BB2_7030 Depth=3
	s_andn2_saveexec_b64 s[40:41], s[38:39]
; %bb.7470:                             ;   in Loop: Header=BB2_7030 Depth=3
	v_or_b32_e32 v2, 0x7e, v18
; %bb.7471:                             ;   in Loop: Header=BB2_7030 Depth=3
	s_or_b64 exec, exec, s[40:41]
                                        ; implicit-def: $vgpr30
.LBB2_7472:                             ;   in Loop: Header=BB2_7030 Depth=3
	s_andn2_saveexec_b64 s[40:41], s[36:37]
; %bb.7473:                             ;   in Loop: Header=BB2_7030 Depth=3
	v_or_b32_sdwa v2, v30, s85 dst_sel:DWORD dst_unused:UNUSED_PAD src0_sel:BYTE_3 src1_sel:DWORD
; %bb.7474:                             ;   in Loop: Header=BB2_7030 Depth=3
	s_or_b64 exec, exec, s[40:41]
	v_cmp_lt_u32_e32 vcc, s57, v28
	v_mov_b32_e32 v18, 0
	s_and_saveexec_b64 s[40:41], vcc
	s_cbranch_execz .LBB2_7480
; %bb.7475:                             ;   in Loop: Header=BB2_7030 Depth=3
	v_lshrrev_b32_e32 v30, 24, v28
	v_cmp_ne_u32_e32 vcc, s87, v30
	v_bfrev_b32_e32 v18, 1
	s_and_saveexec_b64 s[36:37], vcc
	s_cbranch_execz .LBB2_7479
; %bb.7476:                             ;   in Loop: Header=BB2_7030 Depth=3
	v_bfe_u32 v28, v28, 24, 7
	v_cmp_ne_u32_e32 vcc, s85, v28
	v_mov_b32_e32 v18, 0x7f800001
	s_and_saveexec_b64 s[38:39], vcc
	s_cbranch_execz .LBB2_7478
; %bb.7477:                             ;   in Loop: Header=BB2_7030 Depth=3
	v_and_b32_e32 v18, 7, v30
	v_lshrrev_b32_e32 v34, 3, v28
	v_cmp_gt_u32_e32 vcc, 8, v28
	v_ffbh_u32_e32 v28, v18
	v_min_u32_e32 v28, 32, v28
	v_subrev_u32_e32 v48, 28, v28
	v_lshlrev_b64 v[53:54], v48, v[30:31]
	v_sub_u32_e32 v28, 29, v28
	v_and_b32_e32 v48, 7, v53
	v_cndmask_b32_e32 v28, v34, v28, vcc
	v_cndmask_b32_e32 v18, v18, v48, vcc
	v_lshlrev_b32_e32 v30, 24, v30
	v_lshlrev_b32_e32 v18, 20, v18
	v_and_b32_e32 v30, 0x80000000, v30
	v_lshl_add_u32 v28, v28, 23, v17
	v_or3_b32 v18, v30, v28, v18
.LBB2_7478:                             ;   in Loop: Header=BB2_7030 Depth=3
	s_or_b64 exec, exec, s[38:39]
.LBB2_7479:                             ;   in Loop: Header=BB2_7030 Depth=3
	s_or_b64 exec, exec, s[36:37]
.LBB2_7480:                             ;   in Loop: Header=BB2_7030 Depth=3
	s_or_b64 exec, exec, s[40:41]
	v_bfe_u32 v30, v8, 24, 3
	v_ffbh_u32_e32 v53, v30
	v_min_u32_e32 v55, 32, v53
	v_lshrrev_b32_e32 v28, 24, v8
	v_subrev_u32_e32 v53, 28, v55
	v_lshlrev_b64 v[53:54], v53, v[28:29]
	v_bfe_u32 v34, v8, 24, 7
	v_bfe_u32 v48, v28, 3, 4
	v_sub_u32_e32 v54, 29, v55
	v_and_b32_e32 v53, 7, v53
	v_cmp_gt_u32_e32 vcc, 8, v34
	v_cndmask_b32_e32 v48, v48, v54, vcc
	v_cndmask_b32_e32 v30, v30, v53, vcc
	v_lshlrev_b32_e32 v30, 20, v30
	v_and_b32_e32 v53, 0x80000000, v8
	v_lshl_add_u32 v48, v48, 23, v17
	v_or3_b32 v30, v53, v48, v30
	v_cmp_ne_u32_e32 vcc, s85, v34
	v_cndmask_b32_e32 v30, v4, v30, vcc
	v_cmp_ne_u32_e32 vcc, s87, v28
	v_bfrev_b32_e32 v28, 1
	v_cndmask_b32_e32 v28, v28, v30, vcc
	v_cmp_lt_u32_e32 vcc, s57, v8
	v_cndmask_b32_e32 v28, 0, v28, vcc
	v_add_f32_e32 v30, v28, v18
	v_and_b32_e32 v28, 0x7f800000, v30
	v_cmp_ne_u64_e32 vcc, s[76:77], v[28:29]
                                        ; implicit-def: $vgpr34
	s_and_saveexec_b64 s[40:41], vcc
	s_xor_b64 s[36:37], exec, s[40:41]
	s_cbranch_execz .LBB2_7494
; %bb.7481:                             ;   in Loop: Header=BB2_7030 Depth=3
	v_and_b32_e32 v28, 0x7fffffff, v30
	v_cmp_gt_u64_e32 vcc, s[78:79], v[28:29]
	v_and_b32_sdwa v18, v30, s87 dst_sel:DWORD dst_unused:UNUSED_PAD src0_sel:BYTE_3 src1_sel:DWORD
                                        ; implicit-def: $vgpr34
	s_and_saveexec_b64 s[40:41], vcc
	s_xor_b64 s[38:39], exec, s[40:41]
	s_cbranch_execz .LBB2_7491
; %bb.7482:                             ;   in Loop: Header=BB2_7030 Depth=3
	v_mov_b32_e32 v34, 0
	v_cmp_ne_u32_e32 vcc, 0, v30
	s_and_saveexec_b64 s[48:49], vcc
	s_cbranch_execz .LBB2_7490
; %bb.7483:                             ;   in Loop: Header=BB2_7030 Depth=3
	v_and_b32_e32 v28, 0x7fffff, v30
	v_bfe_u32 v30, v30, 23, 8
	v_cmp_gt_u32_e64 s[40:41], s96, v30
	v_sub_u32_e32 v34, 0x79, v30
	v_cmp_eq_u32_e32 vcc, 0, v30
	v_cndmask_b32_e64 v34, 0, v34, s[40:41]
	v_or_b32_e32 v48, 0x800000, v28
	v_cndmask_b32_e32 v34, v34, v36, vcc
	v_cndmask_b32_e32 v28, v48, v28, vcc
	v_add_u32_e32 v48, 20, v34
	v_lshlrev_b64 v[53:54], v48, -1
	v_add_u32_e32 v48, 19, v34
	v_lshlrev_b64 v[46:47], v48, 1
	v_bfi_b32 v54, v54, 0, 0
	v_bfi_b32 v53, v53, 0, v28
	v_cmp_eq_u64_e64 s[40:41], v[53:54], v[46:47]
	v_lshrrev_b64 v[46:47], v34, v[28:29]
	v_mov_b32_e32 v56, v47
	v_mov_b32_e32 v55, v46
	s_and_saveexec_b64 s[50:51], s[40:41]
; %bb.7484:                             ;   in Loop: Header=BB2_7030 Depth=3
	v_bfe_u32 v28, v46, 20, 1
	v_add_co_u32_e64 v28, s[40:41], v46, v28
	v_add_co_u32_e64 v55, s[40:41], -1, v28
; %bb.7485:                             ;   in Loop: Header=BB2_7030 Depth=3
	s_or_b64 exec, exec, s[50:51]
	v_add_u32_e32 v28, 0xffffff81, v30
	v_cndmask_b32_e32 v28, v28, v37, vcc
	v_lshrrev_b32_e32 v30, 23, v46
	v_add3_u32 v56, v34, v28, v30
	v_add_u32_e32 v34, 6, v56
	v_and_b32_e32 v28, 0xfffff, v55
	v_add_u32_e32 v28, v28, v46
	v_cmp_ne_u32_e32 vcc, 0, v34
                                        ; implicit-def: $vgpr46_vgpr47
                                        ; implicit-def: $vgpr30
	s_and_saveexec_b64 s[40:41], vcc
	s_xor_b64 s[40:41], exec, s[40:41]
; %bb.7486:                             ;   in Loop: Header=BB2_7030 Depth=3
	v_cmp_lt_u64_e32 vcc, s[88:89], v[28:29]
	v_add_u32_e32 v30, 7, v56
	v_cndmask_b32_e32 v30, v34, v30, vcc
	v_cndmask_b32_e64 v34, 0, 1, vcc
	v_lshrrev_b64 v[46:47], v34, v[28:29]
; %bb.7487:                             ;   in Loop: Header=BB2_7030 Depth=3
	s_andn2_saveexec_b64 s[40:41], s[40:41]
; %bb.7488:                             ;   in Loop: Header=BB2_7030 Depth=3
	v_mov_b32_e32 v47, v29
	v_bfe_u32 v30, v28, 23, 1
	v_mov_b32_e32 v46, v28
; %bb.7489:                             ;   in Loop: Header=BB2_7030 Depth=3
	s_or_b64 exec, exec, s[40:41]
	v_lshrrev_b64 v[53:54], 20, v[46:47]
	v_cmp_gt_i32_e32 vcc, 16, v30
	v_cndmask_b32_e32 v54, 0, v54, vcc
	v_cndmask_b32_e32 v53, 7, v53, vcc
	v_min_i32_e32 v28, 15, v30
	v_cmp_eq_u64_e64 s[40:41], 0, v[53:54]
	v_lshlrev_b32_e32 v28, 3, v28
	v_cmp_eq_u32_e32 vcc, 0, v30
	v_and_b32_e32 v28, 0xf8, v28
	v_and_or_b32 v28, v53, 7, v28
	s_and_b64 s[40:41], vcc, s[40:41]
	v_cndmask_b32_e64 v28, v28, 0, s[40:41]
	v_or_b32_e32 v34, v28, v18
.LBB2_7490:                             ;   in Loop: Header=BB2_7030 Depth=3
	s_or_b64 exec, exec, s[48:49]
                                        ; implicit-def: $vgpr18
.LBB2_7491:                             ;   in Loop: Header=BB2_7030 Depth=3
	s_andn2_saveexec_b64 s[40:41], s[38:39]
; %bb.7492:                             ;   in Loop: Header=BB2_7030 Depth=3
	v_or_b32_e32 v34, 0x7e, v18
; %bb.7493:                             ;   in Loop: Header=BB2_7030 Depth=3
	s_or_b64 exec, exec, s[40:41]
                                        ; implicit-def: $vgpr30
.LBB2_7494:                             ;   in Loop: Header=BB2_7030 Depth=3
	s_andn2_saveexec_b64 s[40:41], s[36:37]
; %bb.7495:                             ;   in Loop: Header=BB2_7030 Depth=3
	v_or_b32_sdwa v34, v30, s85 dst_sel:DWORD dst_unused:UNUSED_PAD src0_sel:BYTE_3 src1_sel:DWORD
; %bb.7496:                             ;   in Loop: Header=BB2_7030 Depth=3
	s_or_b64 exec, exec, s[40:41]
	v_lshl_or_b32 v18, v57, 8, v51
	v_lshlrev_b32_e32 v23, 16, v23
	v_lshlrev_b32_e32 v28, 24, v33
	v_or3_b32 v28, v23, v28, v18
	v_cmp_ne_u32_e32 vcc, 0, v51
	v_mov_b32_e32 v23, 0
	s_and_saveexec_b64 s[40:41], vcc
	s_cbranch_execz .LBB2_7502
; %bb.7497:                             ;   in Loop: Header=BB2_7030 Depth=3
	v_cmp_ne_u32_e32 vcc, s87, v51
	v_bfrev_b32_e32 v23, 1
	s_and_saveexec_b64 s[36:37], vcc
	s_cbranch_execz .LBB2_7501
; %bb.7498:                             ;   in Loop: Header=BB2_7030 Depth=3
	v_and_b32_e32 v30, 0x7f, v51
	v_cmp_ne_u32_e32 vcc, s85, v30
	v_mov_b32_e32 v23, 0x7f800001
	s_and_saveexec_b64 s[38:39], vcc
	s_cbranch_execz .LBB2_7500
; %bb.7499:                             ;   in Loop: Header=BB2_7030 Depth=3
	v_and_b32_e32 v23, 7, v51
	v_ffbh_u32_e32 v23, v23
	v_min_u32_e32 v23, 32, v23
	v_lshrrev_b32_e32 v33, 3, v30
	v_cmp_gt_u32_e32 vcc, 8, v30
	v_subrev_u32_e32 v30, 28, v23
	v_cndmask_b32_e32 v30, 0, v30, vcc
	v_lshlrev_b64 v[53:54], v30, v[28:29]
	v_sub_u32_e32 v23, 29, v23
	v_cndmask_b32_e32 v23, v33, v23, vcc
	v_lshlrev_b32_e32 v30, 20, v53
	v_lshlrev_b32_e32 v33, 24, v28
	v_and_b32_e32 v30, 0x700000, v30
	v_and_b32_e32 v33, 0x80000000, v33
	v_lshl_add_u32 v23, v23, 23, v17
	v_or3_b32 v23, v33, v23, v30
.LBB2_7500:                             ;   in Loop: Header=BB2_7030 Depth=3
	s_or_b64 exec, exec, s[38:39]
.LBB2_7501:                             ;   in Loop: Header=BB2_7030 Depth=3
	s_or_b64 exec, exec, s[36:37]
.LBB2_7502:                             ;   in Loop: Header=BB2_7030 Depth=3
	s_or_b64 exec, exec, s[40:41]
	v_cmp_gt_i16_sdwa vcc, v9, s85 src0_sel:BYTE_0 src1_sel:DWORD
	s_mov_b64 s[40:41], 0
	s_and_saveexec_b64 s[36:37], vcc
	s_xor_b64 vcc, exec, s[36:37]
	s_cbranch_execz .LBB2_7506
; %bb.7503:                             ;   in Loop: Header=BB2_7030 Depth=3
	v_cmp_eq_u16_sdwa s[38:39], v9, s87 src0_sel:BYTE_0 src1_sel:DWORD
	s_mov_b64 s[40:41], -1
	s_and_saveexec_b64 s[36:37], s[38:39]
; %bb.7504:                             ;   in Loop: Header=BB2_7030 Depth=3
	s_xor_b64 s[40:41], exec, -1
; %bb.7505:                             ;   in Loop: Header=BB2_7030 Depth=3
	s_or_b64 exec, exec, s[36:37]
	s_and_b64 s[40:41], s[40:41], exec
.LBB2_7506:                             ;   in Loop: Header=BB2_7030 Depth=3
	s_or_saveexec_b64 vcc, vcc
	v_bfrev_b32_e32 v30, 1
	s_xor_b64 exec, exec, vcc
; %bb.7507:                             ;   in Loop: Header=BB2_7030 Depth=3
	v_cmp_ne_u16_sdwa s[36:37], v9, v29 src0_sel:BYTE_0 src1_sel:DWORD
	s_andn2_b64 s[40:41], s[40:41], exec
	s_and_b64 s[36:37], s[36:37], exec
	v_mov_b32_e32 v30, 0
	s_or_b64 s[40:41], s[40:41], s[36:37]
; %bb.7508:                             ;   in Loop: Header=BB2_7030 Depth=3
	s_or_b64 exec, exec, vcc
	v_mov_b32_e32 v46, v9
	v_mov_b32_e32 v47, v29
	s_and_saveexec_b64 s[36:37], s[40:41]
	s_cbranch_execz .LBB2_7510
; %bb.7509:                             ;   in Loop: Header=BB2_7030 Depth=3
	v_and_b32_e32 v30, 7, v9
	v_ffbh_u32_e32 v30, v30
	v_and_b32_e32 v33, 0x7f, v9
	v_min_u32_e32 v30, 32, v30
	v_bfe_u32 v48, v9, 3, 4
	v_subrev_u32_e32 v51, 28, v30
	v_sub_u32_e32 v30, 29, v30
	v_cmp_gt_u32_e32 vcc, 8, v33
	v_cndmask_b32_e32 v30, v48, v30, vcc
	v_cndmask_b32_e32 v48, 0, v51, vcc
	v_lshlrev_b64 v[53:54], v48, v[46:47]
	v_lshlrev_b32_e32 v51, 24, v46
	v_lshlrev_b32_e32 v48, 20, v53
	v_and_b32_e32 v48, 0x700000, v48
	v_and_b32_e32 v51, 0x80000000, v51
	v_lshl_add_u32 v30, v30, 23, v17
	v_or3_b32 v30, v51, v30, v48
	v_cmp_ne_u32_e32 vcc, s85, v33
	v_cndmask_b32_e32 v30, v4, v30, vcc
.LBB2_7510:                             ;   in Loop: Header=BB2_7030 Depth=3
	s_or_b64 exec, exec, s[36:37]
	v_add_f32_e32 v33, v23, v30
	v_and_b32_e32 v53, 0x7f800000, v33
	v_mov_b32_e32 v54, v29
	v_cmp_ne_u64_e32 vcc, s[76:77], v[53:54]
                                        ; implicit-def: $vgpr23
	s_and_saveexec_b64 s[40:41], vcc
	s_xor_b64 s[36:37], exec, s[40:41]
	s_cbranch_execz .LBB2_7524
; %bb.7511:                             ;   in Loop: Header=BB2_7030 Depth=3
	v_and_b32_e32 v53, 0x7fffffff, v33
	v_mov_b32_e32 v54, v29
	v_cmp_gt_u64_e32 vcc, s[78:79], v[53:54]
	v_and_b32_sdwa v30, v33, s87 dst_sel:DWORD dst_unused:UNUSED_PAD src0_sel:BYTE_3 src1_sel:DWORD
                                        ; implicit-def: $vgpr23
	s_and_saveexec_b64 s[40:41], vcc
	s_xor_b64 s[38:39], exec, s[40:41]
	s_cbranch_execz .LBB2_7521
; %bb.7512:                             ;   in Loop: Header=BB2_7030 Depth=3
	v_mov_b32_e32 v23, 0
	v_cmp_ne_u32_e32 vcc, 0, v33
	s_and_saveexec_b64 s[48:49], vcc
	s_cbranch_execz .LBB2_7520
; %bb.7513:                             ;   in Loop: Header=BB2_7030 Depth=3
	v_bfe_u32 v23, v33, 23, 8
	v_and_b32_e32 v48, 0x7fffff, v33
	v_cmp_gt_u32_e64 s[40:41], s96, v23
	v_sub_u32_e32 v33, 0x79, v23
	v_cmp_eq_u32_e32 vcc, 0, v23
	v_cndmask_b32_e64 v33, 0, v33, s[40:41]
	v_or_b32_e32 v51, 0x800000, v48
	v_cndmask_b32_e32 v33, v33, v36, vcc
	v_cndmask_b32_e32 v53, v51, v48, vcc
	v_add_u32_e32 v48, 20, v33
	v_lshlrev_b64 v[47:48], v48, -1
	v_add_u32_e32 v51, 19, v33
	v_lshlrev_b64 v[55:56], v51, 1
	v_mov_b32_e32 v54, v29
	v_bfi_b32 v48, v48, 0, 0
	v_bfi_b32 v47, v47, 0, v53
	v_cmp_eq_u64_e64 s[40:41], v[47:48], v[55:56]
	v_lshrrev_b64 v[55:56], v33, v[53:54]
	v_mov_b32_e32 v57, v56
	v_mov_b32_e32 v56, v55
	s_and_saveexec_b64 s[50:51], s[40:41]
; %bb.7514:                             ;   in Loop: Header=BB2_7030 Depth=3
	v_bfe_u32 v48, v55, 20, 1
	v_add_co_u32_e64 v48, s[40:41], v55, v48
	v_add_co_u32_e64 v56, s[40:41], -1, v48
; %bb.7515:                             ;   in Loop: Header=BB2_7030 Depth=3
	s_or_b64 exec, exec, s[50:51]
	v_add_u32_e32 v23, 0xffffff81, v23
	v_cndmask_b32_e32 v23, v23, v37, vcc
	v_lshrrev_b32_e32 v48, 23, v55
	v_add3_u32 v51, v33, v23, v48
	v_add_u32_e32 v33, 6, v51
	v_and_b32_e32 v23, 0xfffff, v56
	v_add_u32_e32 v55, v23, v55
	v_mov_b32_e32 v56, v29
	v_cmp_ne_u32_e32 vcc, 0, v33
                                        ; implicit-def: $vgpr23
	s_and_saveexec_b64 s[40:41], vcc
	s_xor_b64 s[40:41], exec, s[40:41]
; %bb.7516:                             ;   in Loop: Header=BB2_7030 Depth=3
	v_cmp_lt_u64_e32 vcc, s[88:89], v[55:56]
	v_add_u32_e32 v23, 7, v51
	v_cndmask_b32_e32 v23, v33, v23, vcc
	v_cndmask_b32_e64 v33, 0, 1, vcc
	v_lshrrev_b64 v[55:56], v33, v[55:56]
; %bb.7517:                             ;   in Loop: Header=BB2_7030 Depth=3
	s_andn2_saveexec_b64 s[40:41], s[40:41]
; %bb.7518:                             ;   in Loop: Header=BB2_7030 Depth=3
	v_bfe_u32 v23, v55, 23, 1
; %bb.7519:                             ;   in Loop: Header=BB2_7030 Depth=3
	s_or_b64 exec, exec, s[40:41]
	v_lshrrev_b64 v[53:54], 20, v[55:56]
	v_cmp_gt_i32_e32 vcc, 16, v23
	v_cndmask_b32_e32 v54, 0, v54, vcc
	v_cndmask_b32_e32 v53, 7, v53, vcc
	v_cmp_eq_u32_e32 vcc, 0, v23
	v_min_i32_e32 v23, 15, v23
	v_cmp_eq_u64_e64 s[40:41], 0, v[53:54]
	v_lshlrev_b32_e32 v23, 3, v23
	v_and_b32_e32 v23, 0xf8, v23
	v_and_or_b32 v23, v53, 7, v23
	s_and_b64 s[40:41], vcc, s[40:41]
	v_cndmask_b32_e64 v23, v23, 0, s[40:41]
	v_or_b32_e32 v23, v23, v30
.LBB2_7520:                             ;   in Loop: Header=BB2_7030 Depth=3
	s_or_b64 exec, exec, s[48:49]
                                        ; implicit-def: $vgpr30
.LBB2_7521:                             ;   in Loop: Header=BB2_7030 Depth=3
	s_andn2_saveexec_b64 s[40:41], s[38:39]
; %bb.7522:                             ;   in Loop: Header=BB2_7030 Depth=3
	v_or_b32_e32 v23, 0x7e, v30
; %bb.7523:                             ;   in Loop: Header=BB2_7030 Depth=3
	s_or_b64 exec, exec, s[40:41]
                                        ; implicit-def: $vgpr33
.LBB2_7524:                             ;   in Loop: Header=BB2_7030 Depth=3
	s_andn2_saveexec_b64 s[40:41], s[36:37]
; %bb.7525:                             ;   in Loop: Header=BB2_7030 Depth=3
	v_or_b32_sdwa v23, v33, s85 dst_sel:DWORD dst_unused:UNUSED_PAD src0_sel:BYTE_3 src1_sel:DWORD
; %bb.7526:                             ;   in Loop: Header=BB2_7030 Depth=3
	s_or_b64 exec, exec, s[40:41]
	v_lshrrev_b16_e32 v30, 8, v18
	v_cmp_ne_u16_e32 vcc, 0, v30
	v_mov_b32_e32 v33, 0
	s_and_saveexec_b64 s[40:41], vcc
	s_cbranch_execz .LBB2_7532
; %bb.7527:                             ;   in Loop: Header=BB2_7030 Depth=3
	v_cmp_ne_u16_e32 vcc, s87, v30
	v_bfrev_b32_e32 v33, 1
	s_and_saveexec_b64 s[36:37], vcc
	s_cbranch_execz .LBB2_7531
; %bb.7528:                             ;   in Loop: Header=BB2_7030 Depth=3
	v_and_b32_e32 v51, 0x7f, v30
	v_cmp_ne_u32_e32 vcc, s85, v51
	v_mov_b32_e32 v33, 0x7f800001
	s_and_saveexec_b64 s[38:39], vcc
	s_cbranch_execz .LBB2_7530
; %bb.7529:                             ;   in Loop: Header=BB2_7030 Depth=3
	v_and_b32_e32 v33, 7, v30
	v_lshrrev_b32_e32 v48, 3, v51
	v_cmp_gt_u32_e32 vcc, 8, v51
	v_ffbh_u32_e32 v51, v33
	v_min_u32_e32 v51, 32, v51
	v_subrev_u32_e32 v53, 28, v51
	v_lshlrev_b64 v[53:54], v53, v[30:31]
	v_sub_u32_e32 v30, 29, v51
	v_and_b32_e32 v51, 7, v53
	v_cndmask_b32_e32 v30, v48, v30, vcc
	v_cndmask_b32_e32 v33, v33, v51, vcc
	v_lshlrev_b32_e32 v18, 16, v18
	v_lshlrev_b32_e32 v33, 20, v33
	v_and_b32_e32 v18, 0x80000000, v18
	v_lshl_add_u32 v30, v30, 23, v17
	v_or3_b32 v33, v18, v30, v33
.LBB2_7530:                             ;   in Loop: Header=BB2_7030 Depth=3
	s_or_b64 exec, exec, s[38:39]
.LBB2_7531:                             ;   in Loop: Header=BB2_7030 Depth=3
	s_or_b64 exec, exec, s[36:37]
.LBB2_7532:                             ;   in Loop: Header=BB2_7030 Depth=3
	s_or_b64 exec, exec, s[40:41]
	v_lshrrev_b16_e32 v46, 8, v46
	v_cmp_lt_i16_e32 vcc, s85, v46
	s_mov_b64 s[40:41], 0
	s_and_saveexec_b64 s[36:37], vcc
	s_xor_b64 s[36:37], exec, s[36:37]
	s_cbranch_execz .LBB2_7824
; %bb.7533:                             ;   in Loop: Header=BB2_7030 Depth=3
	v_cmp_eq_u16_e32 vcc, s87, v46
	s_mov_b64 s[40:41], -1
	s_and_saveexec_b64 s[38:39], vcc
; %bb.7534:                             ;   in Loop: Header=BB2_7030 Depth=3
	s_xor_b64 s[40:41], exec, -1
; %bb.7535:                             ;   in Loop: Header=BB2_7030 Depth=3
	s_or_b64 exec, exec, s[38:39]
	s_and_b64 s[40:41], s[40:41], exec
	s_or_saveexec_b64 s[36:37], s[36:37]
	v_bfrev_b32_e32 v18, 1
	s_xor_b64 exec, exec, s[36:37]
	s_cbranch_execnz .LBB2_7825
.LBB2_7536:                             ;   in Loop: Header=BB2_7030 Depth=3
	s_or_b64 exec, exec, s[36:37]
	s_and_saveexec_b64 s[36:37], s[40:41]
	s_cbranch_execz .LBB2_7538
.LBB2_7537:                             ;   in Loop: Header=BB2_7030 Depth=3
	v_and_b32_e32 v18, 7, v46
	v_ffbh_u32_e32 v51, v18
	v_min_u32_e32 v51, 32, v51
	v_mov_b32_e32 v47, v29
	v_subrev_u32_e32 v53, 28, v51
	v_lshlrev_b64 v[53:54], v53, v[46:47]
	v_and_b32_e32 v30, 0x7f, v46
	v_bfe_u32 v48, v46, 3, 4
	v_sub_u32_e32 v51, 29, v51
	v_and_b32_e32 v53, 7, v53
	v_cmp_gt_u32_e32 vcc, 8, v30
	v_cndmask_b32_e32 v48, v48, v51, vcc
	v_cndmask_b32_e32 v18, v18, v53, vcc
	v_lshlrev_b32_e32 v51, 24, v46
	v_lshlrev_b32_e32 v18, 20, v18
	v_and_b32_e32 v51, 0x80000000, v51
	v_lshl_add_u32 v48, v48, 23, v17
	v_or3_b32 v18, v51, v48, v18
	v_cmp_ne_u32_e32 vcc, s85, v30
	v_cndmask_b32_e32 v18, v4, v18, vcc
.LBB2_7538:                             ;   in Loop: Header=BB2_7030 Depth=3
	s_or_b64 exec, exec, s[36:37]
	v_add_f32_e32 v30, v33, v18
	v_and_b32_e32 v53, 0x7f800000, v30
	v_mov_b32_e32 v54, v29
	v_cmp_ne_u64_e32 vcc, s[76:77], v[53:54]
                                        ; implicit-def: $vgpr33
	s_and_saveexec_b64 s[40:41], vcc
	s_xor_b64 s[36:37], exec, s[40:41]
	s_cbranch_execz .LBB2_7552
; %bb.7539:                             ;   in Loop: Header=BB2_7030 Depth=3
	v_and_b32_e32 v53, 0x7fffffff, v30
	v_mov_b32_e32 v54, v29
	v_cmp_gt_u64_e32 vcc, s[78:79], v[53:54]
	v_and_b32_sdwa v18, v30, s87 dst_sel:DWORD dst_unused:UNUSED_PAD src0_sel:BYTE_3 src1_sel:DWORD
                                        ; implicit-def: $vgpr33
	s_and_saveexec_b64 s[40:41], vcc
	s_xor_b64 s[38:39], exec, s[40:41]
	s_cbranch_execz .LBB2_7549
; %bb.7540:                             ;   in Loop: Header=BB2_7030 Depth=3
	v_mov_b32_e32 v33, 0
	v_cmp_ne_u32_e32 vcc, 0, v30
	s_and_saveexec_b64 s[48:49], vcc
	s_cbranch_execz .LBB2_7548
; %bb.7541:                             ;   in Loop: Header=BB2_7030 Depth=3
	v_and_b32_e32 v48, 0x7fffff, v30
	v_bfe_u32 v30, v30, 23, 8
	v_cmp_gt_u32_e64 s[40:41], s96, v30
	v_sub_u32_e32 v33, 0x79, v30
	v_cmp_eq_u32_e32 vcc, 0, v30
	v_cndmask_b32_e64 v33, 0, v33, s[40:41]
	v_or_b32_e32 v51, 0x800000, v48
	v_cndmask_b32_e32 v33, v33, v36, vcc
	v_cndmask_b32_e32 v53, v51, v48, vcc
	v_add_u32_e32 v48, 20, v33
	v_lshlrev_b64 v[46:47], v48, -1
	v_add_u32_e32 v48, 19, v33
	v_lshlrev_b64 v[55:56], v48, 1
	v_mov_b32_e32 v54, v29
	v_bfi_b32 v47, v47, 0, 0
	v_bfi_b32 v46, v46, 0, v53
	v_cmp_eq_u64_e64 s[40:41], v[46:47], v[55:56]
	v_lshrrev_b64 v[46:47], v33, v[53:54]
	v_mov_b32_e32 v56, v47
	v_mov_b32_e32 v55, v46
	s_and_saveexec_b64 s[50:51], s[40:41]
; %bb.7542:                             ;   in Loop: Header=BB2_7030 Depth=3
	v_bfe_u32 v48, v46, 20, 1
	v_add_co_u32_e64 v48, s[40:41], v46, v48
	v_add_co_u32_e64 v55, s[40:41], -1, v48
; %bb.7543:                             ;   in Loop: Header=BB2_7030 Depth=3
	s_or_b64 exec, exec, s[50:51]
	v_add_u32_e32 v30, 0xffffff81, v30
	v_cndmask_b32_e32 v30, v30, v37, vcc
	v_lshrrev_b32_e32 v48, 23, v46
	v_add3_u32 v51, v33, v30, v48
	v_add_u32_e32 v33, 6, v51
	v_and_b32_e32 v30, 0xfffff, v55
	v_add_u32_e32 v46, v30, v46
	v_mov_b32_e32 v47, v29
	v_cmp_ne_u32_e32 vcc, 0, v33
                                        ; implicit-def: $vgpr30
	s_and_saveexec_b64 s[40:41], vcc
	s_xor_b64 s[40:41], exec, s[40:41]
; %bb.7544:                             ;   in Loop: Header=BB2_7030 Depth=3
	v_cmp_lt_u64_e32 vcc, s[88:89], v[46:47]
	v_add_u32_e32 v30, 7, v51
	v_cndmask_b32_e32 v30, v33, v30, vcc
	v_cndmask_b32_e64 v33, 0, 1, vcc
	v_lshrrev_b64 v[46:47], v33, v[46:47]
; %bb.7545:                             ;   in Loop: Header=BB2_7030 Depth=3
	s_andn2_saveexec_b64 s[40:41], s[40:41]
; %bb.7546:                             ;   in Loop: Header=BB2_7030 Depth=3
	v_bfe_u32 v30, v46, 23, 1
; %bb.7547:                             ;   in Loop: Header=BB2_7030 Depth=3
	s_or_b64 exec, exec, s[40:41]
	v_lshrrev_b64 v[53:54], 20, v[46:47]
	v_cmp_gt_i32_e32 vcc, 16, v30
	v_cndmask_b32_e32 v54, 0, v54, vcc
	v_cndmask_b32_e32 v53, 7, v53, vcc
	v_cmp_eq_u32_e32 vcc, 0, v30
	v_min_i32_e32 v30, 15, v30
	v_cmp_eq_u64_e64 s[40:41], 0, v[53:54]
	v_lshlrev_b32_e32 v30, 3, v30
	v_and_b32_e32 v30, 0xf8, v30
	v_and_or_b32 v30, v53, 7, v30
	s_and_b64 s[40:41], vcc, s[40:41]
	v_cndmask_b32_e64 v30, v30, 0, s[40:41]
	v_or_b32_e32 v33, v30, v18
.LBB2_7548:                             ;   in Loop: Header=BB2_7030 Depth=3
	s_or_b64 exec, exec, s[48:49]
                                        ; implicit-def: $vgpr18
.LBB2_7549:                             ;   in Loop: Header=BB2_7030 Depth=3
	s_andn2_saveexec_b64 s[40:41], s[38:39]
; %bb.7550:                             ;   in Loop: Header=BB2_7030 Depth=3
	v_or_b32_e32 v33, 0x7e, v18
; %bb.7551:                             ;   in Loop: Header=BB2_7030 Depth=3
	s_or_b64 exec, exec, s[40:41]
                                        ; implicit-def: $vgpr30
.LBB2_7552:                             ;   in Loop: Header=BB2_7030 Depth=3
	s_andn2_saveexec_b64 s[40:41], s[36:37]
; %bb.7553:                             ;   in Loop: Header=BB2_7030 Depth=3
	v_or_b32_sdwa v33, v30, s85 dst_sel:DWORD dst_unused:UNUSED_PAD src0_sel:BYTE_3 src1_sel:DWORD
; %bb.7554:                             ;   in Loop: Header=BB2_7030 Depth=3
	s_or_b64 exec, exec, s[40:41]
	v_lshrrev_b32_e32 v30, 16, v28
	v_cmp_ne_u16_sdwa vcc, v30, v29 src0_sel:BYTE_0 src1_sel:DWORD
	v_mov_b32_e32 v18, 0
	s_and_saveexec_b64 s[40:41], vcc
	s_cbranch_execz .LBB2_7560
; %bb.7555:                             ;   in Loop: Header=BB2_7030 Depth=3
	v_cmp_ne_u16_sdwa vcc, v30, s87 src0_sel:BYTE_0 src1_sel:DWORD
	v_bfrev_b32_e32 v18, 1
	s_and_saveexec_b64 s[36:37], vcc
	s_cbranch_execz .LBB2_7559
; %bb.7556:                             ;   in Loop: Header=BB2_7030 Depth=3
	v_bfe_u32 v51, v28, 16, 7
	v_cmp_ne_u32_e32 vcc, s85, v51
	v_mov_b32_e32 v18, 0x7f800001
	s_and_saveexec_b64 s[38:39], vcc
	s_cbranch_execz .LBB2_7558
; %bb.7557:                             ;   in Loop: Header=BB2_7030 Depth=3
	v_and_b32_e32 v18, 7, v30
	v_lshrrev_b32_e32 v48, 3, v51
	v_cmp_gt_u32_e32 vcc, 8, v51
	v_ffbh_u32_e32 v51, v18
	v_min_u32_e32 v51, 32, v51
	v_subrev_u32_e32 v53, 28, v51
	v_lshlrev_b64 v[53:54], v53, v[30:31]
	v_sub_u32_e32 v51, 29, v51
	v_and_b32_e32 v53, 7, v53
	v_cndmask_b32_e32 v48, v48, v51, vcc
	v_cndmask_b32_e32 v18, v18, v53, vcc
	v_lshlrev_b32_e32 v30, 24, v30
	v_lshlrev_b32_e32 v18, 20, v18
	v_and_b32_e32 v30, 0x80000000, v30
	v_lshl_add_u32 v48, v48, 23, v17
	v_or3_b32 v18, v30, v48, v18
.LBB2_7558:                             ;   in Loop: Header=BB2_7030 Depth=3
	s_or_b64 exec, exec, s[38:39]
.LBB2_7559:                             ;   in Loop: Header=BB2_7030 Depth=3
	s_or_b64 exec, exec, s[36:37]
.LBB2_7560:                             ;   in Loop: Header=BB2_7030 Depth=3
	s_or_b64 exec, exec, s[40:41]
	v_lshrrev_b32_e32 v30, 16, v9
	v_cmp_gt_i16_sdwa vcc, v30, s85 src0_sel:BYTE_0 src1_sel:DWORD
	s_mov_b64 s[40:41], 0
	s_and_saveexec_b64 s[36:37], vcc
	s_xor_b64 vcc, exec, s[36:37]
	s_cbranch_execz .LBB2_7826
; %bb.7561:                             ;   in Loop: Header=BB2_7030 Depth=3
	v_cmp_eq_u16_sdwa s[38:39], v30, s87 src0_sel:BYTE_0 src1_sel:DWORD
	s_mov_b64 s[40:41], -1
	s_and_saveexec_b64 s[36:37], s[38:39]
; %bb.7562:                             ;   in Loop: Header=BB2_7030 Depth=3
	s_xor_b64 s[40:41], exec, -1
; %bb.7563:                             ;   in Loop: Header=BB2_7030 Depth=3
	s_or_b64 exec, exec, s[36:37]
	s_and_b64 s[40:41], s[40:41], exec
	s_or_saveexec_b64 vcc, vcc
	v_bfrev_b32_e32 v51, 1
	s_xor_b64 exec, exec, vcc
	s_cbranch_execnz .LBB2_7827
.LBB2_7564:                             ;   in Loop: Header=BB2_7030 Depth=3
	s_or_b64 exec, exec, vcc
	s_and_saveexec_b64 s[36:37], s[40:41]
	s_cbranch_execz .LBB2_7566
.LBB2_7565:                             ;   in Loop: Header=BB2_7030 Depth=3
	v_and_b32_e32 v48, 7, v30
	v_ffbh_u32_e32 v53, v48
	v_min_u32_e32 v46, 32, v53
	v_subrev_u32_e32 v53, 28, v46
	v_lshlrev_b64 v[53:54], v53, v[30:31]
	v_and_b32_e32 v51, 0x7f, v30
	v_bfe_u32 v55, v30, 3, 4
	v_sub_u32_e32 v54, 29, v46
	v_and_b32_e32 v53, 7, v53
	v_cmp_gt_u32_e32 vcc, 8, v51
	v_cndmask_b32_e32 v54, v55, v54, vcc
	v_cndmask_b32_e32 v48, v48, v53, vcc
	v_lshlrev_b32_e32 v30, 24, v30
	v_lshlrev_b32_e32 v48, 20, v48
	v_and_b32_e32 v30, 0x80000000, v30
	v_lshl_add_u32 v53, v54, 23, v17
	v_or3_b32 v30, v30, v53, v48
	v_cmp_ne_u32_e32 vcc, s85, v51
	v_cndmask_b32_e32 v51, v4, v30, vcc
.LBB2_7566:                             ;   in Loop: Header=BB2_7030 Depth=3
	s_or_b64 exec, exec, s[36:37]
	v_add_f32_e32 v30, v18, v51
	v_and_b32_e32 v53, 0x7f800000, v30
	v_mov_b32_e32 v54, v29
	v_cmp_ne_u64_e32 vcc, s[76:77], v[53:54]
                                        ; implicit-def: $vgpr51
	s_and_saveexec_b64 s[40:41], vcc
	s_xor_b64 s[36:37], exec, s[40:41]
	s_cbranch_execz .LBB2_7580
; %bb.7567:                             ;   in Loop: Header=BB2_7030 Depth=3
	v_and_b32_e32 v53, 0x7fffffff, v30
	v_mov_b32_e32 v54, v29
	v_cmp_gt_u64_e32 vcc, s[78:79], v[53:54]
	v_and_b32_sdwa v18, v30, s87 dst_sel:DWORD dst_unused:UNUSED_PAD src0_sel:BYTE_3 src1_sel:DWORD
                                        ; implicit-def: $vgpr51
	s_and_saveexec_b64 s[40:41], vcc
	s_xor_b64 s[38:39], exec, s[40:41]
	s_cbranch_execz .LBB2_7577
; %bb.7568:                             ;   in Loop: Header=BB2_7030 Depth=3
	v_mov_b32_e32 v51, 0
	v_cmp_ne_u32_e32 vcc, 0, v30
	s_and_saveexec_b64 s[48:49], vcc
	s_cbranch_execz .LBB2_7576
; %bb.7569:                             ;   in Loop: Header=BB2_7030 Depth=3
	v_and_b32_e32 v48, 0x7fffff, v30
	v_bfe_u32 v30, v30, 23, 8
	v_cmp_gt_u32_e64 s[40:41], s96, v30
	v_sub_u32_e32 v51, 0x79, v30
	v_cmp_eq_u32_e32 vcc, 0, v30
	v_cndmask_b32_e64 v51, 0, v51, s[40:41]
	v_or_b32_e32 v53, 0x800000, v48
	v_cndmask_b32_e32 v51, v51, v36, vcc
	v_cndmask_b32_e32 v53, v53, v48, vcc
	v_add_u32_e32 v48, 20, v51
	v_lshlrev_b64 v[46:47], v48, -1
	v_add_u32_e32 v48, 19, v51
	v_lshlrev_b64 v[55:56], v48, 1
	v_mov_b32_e32 v54, v29
	v_bfi_b32 v47, v47, 0, 0
	v_bfi_b32 v46, v46, 0, v53
	v_cmp_eq_u64_e64 s[40:41], v[46:47], v[55:56]
	v_lshrrev_b64 v[46:47], v51, v[53:54]
	v_mov_b32_e32 v56, v47
	v_mov_b32_e32 v55, v46
	s_and_saveexec_b64 s[50:51], s[40:41]
; %bb.7570:                             ;   in Loop: Header=BB2_7030 Depth=3
	v_bfe_u32 v48, v46, 20, 1
	v_add_co_u32_e64 v48, s[40:41], v46, v48
	v_add_co_u32_e64 v55, s[40:41], -1, v48
; %bb.7571:                             ;   in Loop: Header=BB2_7030 Depth=3
	s_or_b64 exec, exec, s[50:51]
	v_add_u32_e32 v30, 0xffffff81, v30
	v_cndmask_b32_e32 v30, v30, v37, vcc
	v_lshrrev_b32_e32 v48, 23, v46
	v_add3_u32 v56, v51, v30, v48
	v_add_u32_e32 v51, 6, v56
	v_and_b32_e32 v30, 0xfffff, v55
	v_add_u32_e32 v46, v30, v46
	v_mov_b32_e32 v47, v29
	v_cmp_ne_u32_e32 vcc, 0, v51
                                        ; implicit-def: $vgpr30
	s_and_saveexec_b64 s[40:41], vcc
	s_xor_b64 s[40:41], exec, s[40:41]
; %bb.7572:                             ;   in Loop: Header=BB2_7030 Depth=3
	v_cmp_lt_u64_e32 vcc, s[88:89], v[46:47]
	v_add_u32_e32 v30, 7, v56
	v_cndmask_b32_e64 v48, 0, 1, vcc
	v_cndmask_b32_e32 v30, v51, v30, vcc
	v_lshrrev_b64 v[46:47], v48, v[46:47]
; %bb.7573:                             ;   in Loop: Header=BB2_7030 Depth=3
	s_andn2_saveexec_b64 s[40:41], s[40:41]
; %bb.7574:                             ;   in Loop: Header=BB2_7030 Depth=3
	v_bfe_u32 v30, v46, 23, 1
; %bb.7575:                             ;   in Loop: Header=BB2_7030 Depth=3
	s_or_b64 exec, exec, s[40:41]
	v_lshrrev_b64 v[53:54], 20, v[46:47]
	v_cmp_gt_i32_e32 vcc, 16, v30
	v_cndmask_b32_e32 v54, 0, v54, vcc
	v_cndmask_b32_e32 v53, 7, v53, vcc
	v_cmp_eq_u32_e32 vcc, 0, v30
	v_min_i32_e32 v30, 15, v30
	v_cmp_eq_u64_e64 s[40:41], 0, v[53:54]
	v_lshlrev_b32_e32 v30, 3, v30
	v_and_b32_e32 v30, 0xf8, v30
	v_and_or_b32 v30, v53, 7, v30
	s_and_b64 s[40:41], vcc, s[40:41]
	v_cndmask_b32_e64 v30, v30, 0, s[40:41]
	v_or_b32_e32 v51, v30, v18
.LBB2_7576:                             ;   in Loop: Header=BB2_7030 Depth=3
	s_or_b64 exec, exec, s[48:49]
                                        ; implicit-def: $vgpr18
.LBB2_7577:                             ;   in Loop: Header=BB2_7030 Depth=3
	s_andn2_saveexec_b64 s[40:41], s[38:39]
; %bb.7578:                             ;   in Loop: Header=BB2_7030 Depth=3
	v_or_b32_e32 v51, 0x7e, v18
; %bb.7579:                             ;   in Loop: Header=BB2_7030 Depth=3
	s_or_b64 exec, exec, s[40:41]
                                        ; implicit-def: $vgpr30
.LBB2_7580:                             ;   in Loop: Header=BB2_7030 Depth=3
	s_andn2_saveexec_b64 s[40:41], s[36:37]
; %bb.7581:                             ;   in Loop: Header=BB2_7030 Depth=3
	v_or_b32_sdwa v51, v30, s85 dst_sel:DWORD dst_unused:UNUSED_PAD src0_sel:BYTE_3 src1_sel:DWORD
; %bb.7582:                             ;   in Loop: Header=BB2_7030 Depth=3
	s_or_b64 exec, exec, s[40:41]
	v_cmp_lt_u32_e32 vcc, s57, v28
	v_mov_b32_e32 v18, 0
	s_and_saveexec_b64 s[40:41], vcc
	s_cbranch_execz .LBB2_7588
; %bb.7583:                             ;   in Loop: Header=BB2_7030 Depth=3
	v_lshrrev_b32_e32 v30, 24, v28
	v_cmp_ne_u32_sdwa vcc, v28, s87 src0_sel:BYTE_3 src1_sel:DWORD
	v_bfrev_b32_e32 v18, 1
	s_and_saveexec_b64 s[36:37], vcc
	s_cbranch_execz .LBB2_7587
; %bb.7584:                             ;   in Loop: Header=BB2_7030 Depth=3
	v_bfe_u32 v55, v28, 24, 7
	v_cmp_ne_u32_e32 vcc, s85, v55
	v_mov_b32_e32 v18, 0x7f800001
	s_and_saveexec_b64 s[38:39], vcc
	s_cbranch_execz .LBB2_7586
; %bb.7585:                             ;   in Loop: Header=BB2_7030 Depth=3
	v_and_b32_e32 v18, 7, v30
	v_ffbh_u32_e32 v53, v18
	v_lshrrev_b32_e32 v48, 3, v55
	v_cmp_gt_u32_e32 vcc, 8, v55
	v_min_u32_e32 v55, 32, v53
	v_subrev_u32_e32 v53, 28, v55
	v_lshlrev_b64 v[53:54], v53, v[30:31]
	v_sub_u32_e32 v30, 29, v55
	v_and_b32_e32 v53, 7, v53
	v_cndmask_b32_e32 v30, v48, v30, vcc
	v_mov_b32_e32 v48, 24
	v_cndmask_b32_e32 v18, v18, v53, vcc
	v_lshlrev_b32_sdwa v28, v48, v28 dst_sel:DWORD dst_unused:UNUSED_PAD src0_sel:DWORD src1_sel:BYTE_3
	v_lshlrev_b32_e32 v18, 20, v18
	v_and_b32_e32 v28, 0x80000000, v28
	v_lshl_add_u32 v30, v30, 23, v17
	v_or3_b32 v18, v28, v30, v18
.LBB2_7586:                             ;   in Loop: Header=BB2_7030 Depth=3
	s_or_b64 exec, exec, s[38:39]
.LBB2_7587:                             ;   in Loop: Header=BB2_7030 Depth=3
	s_or_b64 exec, exec, s[36:37]
.LBB2_7588:                             ;   in Loop: Header=BB2_7030 Depth=3
	s_or_b64 exec, exec, s[40:41]
	v_bfe_u32 v30, v9, 24, 3
	v_ffbh_u32_e32 v53, v30
	v_min_u32_e32 v46, 32, v53
	v_lshrrev_b32_e32 v28, 24, v9
	v_subrev_u32_e32 v53, 28, v46
	v_lshlrev_b64 v[53:54], v53, v[28:29]
	v_bfe_u32 v48, v9, 24, 7
	v_bfe_u32 v55, v28, 3, 4
	v_sub_u32_e32 v54, 29, v46
	v_and_b32_e32 v53, 7, v53
	v_cmp_gt_u32_e32 vcc, 8, v48
	v_cndmask_b32_e32 v54, v55, v54, vcc
	v_cndmask_b32_e32 v30, v30, v53, vcc
	v_lshlrev_b32_e32 v30, 20, v30
	v_and_b32_e32 v53, 0x80000000, v9
	v_lshl_add_u32 v54, v54, 23, v17
	v_or3_b32 v30, v53, v54, v30
	v_cmp_ne_u32_e32 vcc, s85, v48
	v_cndmask_b32_e32 v30, v4, v30, vcc
	v_cmp_ne_u32_e32 vcc, s87, v28
	v_bfrev_b32_e32 v28, 1
	v_cndmask_b32_e32 v28, v28, v30, vcc
	v_cmp_lt_u64_e32 vcc, s[56:57], v[8:9]
                                        ; implicit-def: $vgpr30
	v_cndmask_b32_e32 v8, 0, v28, vcc
	v_add_f32_e32 v8, v8, v18
	v_and_b32_e32 v28, 0x7f800000, v8
	v_cmp_ne_u64_e32 vcc, s[76:77], v[28:29]
	s_and_saveexec_b64 s[40:41], vcc
	s_xor_b64 s[36:37], exec, s[40:41]
	s_cbranch_execz .LBB2_7602
; %bb.7589:                             ;   in Loop: Header=BB2_7030 Depth=3
	v_and_b32_e32 v28, 0x7fffffff, v8
	v_cmp_gt_u64_e32 vcc, s[78:79], v[28:29]
	v_and_b32_sdwa v18, v8, s87 dst_sel:DWORD dst_unused:UNUSED_PAD src0_sel:BYTE_3 src1_sel:DWORD
                                        ; implicit-def: $vgpr30
	s_and_saveexec_b64 s[40:41], vcc
	s_xor_b64 s[38:39], exec, s[40:41]
	s_cbranch_execz .LBB2_7599
; %bb.7590:                             ;   in Loop: Header=BB2_7030 Depth=3
	v_mov_b32_e32 v30, 0
	v_cmp_ne_u32_e32 vcc, 0, v8
	s_and_saveexec_b64 s[48:49], vcc
	s_cbranch_execz .LBB2_7598
; %bb.7591:                             ;   in Loop: Header=BB2_7030 Depth=3
	v_bfe_u32 v30, v8, 23, 8
	v_and_b32_e32 v9, 0x7fffff, v8
	v_cmp_gt_u32_e64 s[40:41], s96, v30
	v_sub_u32_e32 v8, 0x79, v30
	v_cmp_eq_u32_e32 vcc, 0, v30
	v_cndmask_b32_e64 v8, 0, v8, s[40:41]
	v_cndmask_b32_e32 v55, v8, v36, vcc
	v_or_b32_e32 v28, 0x800000, v9
	v_add_u32_e32 v8, 20, v55
	v_cndmask_b32_e32 v28, v28, v9, vcc
	v_lshlrev_b64 v[8:9], v8, -1
	v_add_u32_e32 v48, 19, v55
	v_lshlrev_b64 v[53:54], v48, 1
	v_bfi_b32 v9, v9, 0, 0
	v_bfi_b32 v8, v8, 0, v28
	v_cmp_eq_u64_e64 s[40:41], v[8:9], v[53:54]
	v_lshrrev_b64 v[8:9], v55, v[28:29]
	v_mov_b32_e32 v47, v9
	v_mov_b32_e32 v46, v8
	s_and_saveexec_b64 s[50:51], s[40:41]
; %bb.7592:                             ;   in Loop: Header=BB2_7030 Depth=3
	v_bfe_u32 v9, v8, 20, 1
	v_add_co_u32_e64 v9, s[40:41], v8, v9
	v_add_co_u32_e64 v46, s[40:41], -1, v9
; %bb.7593:                             ;   in Loop: Header=BB2_7030 Depth=3
	s_or_b64 exec, exec, s[50:51]
	v_add_u32_e32 v9, 0xffffff81, v30
	v_cndmask_b32_e32 v9, v9, v37, vcc
	v_lshrrev_b32_e32 v28, 23, v8
	v_add3_u32 v47, v55, v9, v28
	v_add_u32_e32 v55, 6, v47
	v_and_b32_e32 v9, 0xfffff, v46
	v_add_u32_e32 v28, v9, v8
	v_cmp_ne_u32_e32 vcc, 0, v55
                                        ; implicit-def: $vgpr8_vgpr9
                                        ; implicit-def: $vgpr30
	s_and_saveexec_b64 s[40:41], vcc
	s_xor_b64 s[40:41], exec, s[40:41]
; %bb.7594:                             ;   in Loop: Header=BB2_7030 Depth=3
	v_cmp_lt_u64_e32 vcc, s[88:89], v[28:29]
	v_add_u32_e32 v8, 7, v47
	v_cndmask_b32_e32 v30, v55, v8, vcc
	v_cndmask_b32_e64 v8, 0, 1, vcc
	v_lshrrev_b64 v[8:9], v8, v[28:29]
; %bb.7595:                             ;   in Loop: Header=BB2_7030 Depth=3
	s_andn2_saveexec_b64 s[40:41], s[40:41]
; %bb.7596:                             ;   in Loop: Header=BB2_7030 Depth=3
	v_mov_b32_e32 v8, v28
	v_bfe_u32 v30, v28, 23, 1
	v_mov_b32_e32 v9, v29
; %bb.7597:                             ;   in Loop: Header=BB2_7030 Depth=3
	s_or_b64 exec, exec, s[40:41]
	v_lshrrev_b64 v[8:9], 20, v[8:9]
	v_cmp_gt_i32_e32 vcc, 16, v30
	v_cndmask_b32_e32 v9, 0, v9, vcc
	v_cndmask_b32_e32 v8, 7, v8, vcc
	v_cmp_eq_u64_e64 s[40:41], 0, v[8:9]
	v_min_i32_e32 v9, 15, v30
	v_lshlrev_b32_e32 v9, 3, v9
	v_cmp_eq_u32_e32 vcc, 0, v30
	v_and_b32_e32 v9, 0xf8, v9
	v_and_or_b32 v8, v8, 7, v9
	s_and_b64 s[40:41], vcc, s[40:41]
	v_cndmask_b32_e64 v8, v8, 0, s[40:41]
	v_or_b32_e32 v30, v8, v18
.LBB2_7598:                             ;   in Loop: Header=BB2_7030 Depth=3
	s_or_b64 exec, exec, s[48:49]
                                        ; implicit-def: $vgpr18
.LBB2_7599:                             ;   in Loop: Header=BB2_7030 Depth=3
	s_andn2_saveexec_b64 s[40:41], s[38:39]
; %bb.7600:                             ;   in Loop: Header=BB2_7030 Depth=3
	v_or_b32_e32 v30, 0x7e, v18
; %bb.7601:                             ;   in Loop: Header=BB2_7030 Depth=3
	s_or_b64 exec, exec, s[40:41]
                                        ; implicit-def: $vgpr8
.LBB2_7602:                             ;   in Loop: Header=BB2_7030 Depth=3
	s_andn2_saveexec_b64 s[40:41], s[36:37]
; %bb.7603:                             ;   in Loop: Header=BB2_7030 Depth=3
	v_or_b32_sdwa v30, v8, s85 dst_sel:DWORD dst_unused:UNUSED_PAD src0_sel:BYTE_3 src1_sel:DWORD
; %bb.7604:                             ;   in Loop: Header=BB2_7030 Depth=3
	s_or_b64 exec, exec, s[40:41]
	v_lshl_or_b32 v18, v52, 8, v7
	v_lshlrev_b32_e32 v0, 16, v0
	v_lshlrev_b32_e32 v8, 24, v22
	v_or3_b32 v28, v0, v8, v18
	v_cmp_ne_u32_e32 vcc, 0, v7
	v_mov_b32_e32 v0, 0
	s_and_saveexec_b64 s[40:41], vcc
	s_cbranch_execz .LBB2_7610
; %bb.7605:                             ;   in Loop: Header=BB2_7030 Depth=3
	v_cmp_ne_u32_e32 vcc, s87, v7
	v_bfrev_b32_e32 v0, 1
	s_and_saveexec_b64 s[36:37], vcc
	s_cbranch_execz .LBB2_7609
; %bb.7606:                             ;   in Loop: Header=BB2_7030 Depth=3
	v_and_b32_e32 v8, 0x7f, v7
	v_cmp_ne_u32_e32 vcc, s85, v8
	v_mov_b32_e32 v0, 0x7f800001
	s_and_saveexec_b64 s[38:39], vcc
	s_cbranch_execz .LBB2_7608
; %bb.7607:                             ;   in Loop: Header=BB2_7030 Depth=3
	v_and_b32_e32 v0, 7, v7
	v_ffbh_u32_e32 v0, v0
	v_min_u32_e32 v0, 32, v0
	v_lshrrev_b32_e32 v7, 3, v8
	v_cmp_gt_u32_e32 vcc, 8, v8
	v_subrev_u32_e32 v8, 28, v0
	v_sub_u32_e32 v0, 29, v0
	v_cndmask_b32_e32 v0, v7, v0, vcc
	v_cndmask_b32_e32 v7, 0, v8, vcc
	v_lshlrev_b64 v[7:8], v7, v[28:29]
	v_lshlrev_b32_e32 v8, 24, v28
	v_lshlrev_b32_e32 v7, 20, v7
	v_and_b32_e32 v7, 0x700000, v7
	v_and_b32_e32 v8, 0x80000000, v8
	v_lshl_add_u32 v0, v0, 23, v17
	v_or3_b32 v0, v8, v0, v7
.LBB2_7608:                             ;   in Loop: Header=BB2_7030 Depth=3
	s_or_b64 exec, exec, s[38:39]
.LBB2_7609:                             ;   in Loop: Header=BB2_7030 Depth=3
	s_or_b64 exec, exec, s[36:37]
.LBB2_7610:                             ;   in Loop: Header=BB2_7030 Depth=3
	s_or_b64 exec, exec, s[40:41]
	v_cmp_gt_i16_sdwa vcc, v10, s85 src0_sel:BYTE_0 src1_sel:DWORD
	s_mov_b64 s[40:41], 0
	s_and_saveexec_b64 s[36:37], vcc
	s_xor_b64 vcc, exec, s[36:37]
	s_cbranch_execz .LBB2_7828
; %bb.7611:                             ;   in Loop: Header=BB2_7030 Depth=3
	v_cmp_eq_u16_sdwa s[38:39], v10, s87 src0_sel:BYTE_0 src1_sel:DWORD
	s_mov_b64 s[40:41], -1
	s_and_saveexec_b64 s[36:37], s[38:39]
; %bb.7612:                             ;   in Loop: Header=BB2_7030 Depth=3
	s_xor_b64 s[40:41], exec, -1
; %bb.7613:                             ;   in Loop: Header=BB2_7030 Depth=3
	s_or_b64 exec, exec, s[36:37]
	s_and_b64 s[40:41], s[40:41], exec
	s_or_saveexec_b64 vcc, vcc
	v_bfrev_b32_e32 v7, 1
	s_xor_b64 exec, exec, vcc
	s_cbranch_execnz .LBB2_7829
.LBB2_7614:                             ;   in Loop: Header=BB2_7030 Depth=3
	s_or_b64 exec, exec, vcc
	s_and_saveexec_b64 s[36:37], s[40:41]
	s_cbranch_execz .LBB2_7616
.LBB2_7615:                             ;   in Loop: Header=BB2_7030 Depth=3
	v_and_b32_e32 v7, 7, v10
	v_ffbh_u32_e32 v7, v7
	v_and_b32_e32 v9, 0x7f, v10
	v_min_u32_e32 v7, 32, v7
	v_bfe_u32 v8, v10, 3, 4
	v_subrev_u32_e32 v22, 28, v7
	v_sub_u32_e32 v7, 29, v7
	v_cmp_gt_u32_e32 vcc, 8, v9
	v_cndmask_b32_e32 v48, v8, v7, vcc
	v_cndmask_b32_e32 v7, 0, v22, vcc
	v_lshlrev_b64 v[7:8], v7, v[10:11]
	v_lshlrev_b32_e32 v8, 24, v10
	v_lshlrev_b32_e32 v7, 20, v7
	v_and_b32_e32 v7, 0x700000, v7
	v_and_b32_e32 v8, 0x80000000, v8
	v_lshl_add_u32 v22, v48, 23, v17
	v_or3_b32 v7, v8, v22, v7
	v_cmp_ne_u32_e32 vcc, s85, v9
	v_cndmask_b32_e32 v7, v4, v7, vcc
.LBB2_7616:                             ;   in Loop: Header=BB2_7030 Depth=3
	s_or_b64 exec, exec, s[36:37]
	v_add_f32_e32 v8, v0, v7
	v_and_b32_e32 v52, 0x7f800000, v8
	v_mov_b32_e32 v53, v29
	v_cmp_ne_u64_e32 vcc, s[76:77], v[52:53]
                                        ; implicit-def: $vgpr0
	s_and_saveexec_b64 s[40:41], vcc
	s_xor_b64 s[36:37], exec, s[40:41]
	s_cbranch_execz .LBB2_7630
; %bb.7617:                             ;   in Loop: Header=BB2_7030 Depth=3
	v_and_b32_e32 v52, 0x7fffffff, v8
	v_mov_b32_e32 v53, v29
	v_cmp_gt_u64_e32 vcc, s[78:79], v[52:53]
	v_and_b32_sdwa v7, v8, s87 dst_sel:DWORD dst_unused:UNUSED_PAD src0_sel:BYTE_3 src1_sel:DWORD
                                        ; implicit-def: $vgpr0
	s_and_saveexec_b64 s[40:41], vcc
	s_xor_b64 s[38:39], exec, s[40:41]
	s_cbranch_execz .LBB2_7627
; %bb.7618:                             ;   in Loop: Header=BB2_7030 Depth=3
	v_mov_b32_e32 v0, 0
	v_cmp_ne_u32_e32 vcc, 0, v8
	s_and_saveexec_b64 s[48:49], vcc
	s_cbranch_execz .LBB2_7626
; %bb.7619:                             ;   in Loop: Header=BB2_7030 Depth=3
	v_bfe_u32 v0, v8, 23, 8
	v_and_b32_e32 v9, 0x7fffff, v8
	v_cmp_gt_u32_e64 s[40:41], s96, v0
	v_sub_u32_e32 v8, 0x79, v0
	v_cmp_eq_u32_e32 vcc, 0, v0
	v_cndmask_b32_e64 v8, 0, v8, s[40:41]
	v_or_b32_e32 v48, 0x800000, v9
	v_cndmask_b32_e32 v22, v8, v36, vcc
	v_cndmask_b32_e32 v8, v48, v9, vcc
	v_add_u32_e32 v48, 20, v22
	v_lshlrev_b64 v[52:53], v48, -1
	v_mov_b32_e32 v9, v29
	v_add_u32_e32 v48, 19, v22
	v_bfi_b32 v52, v52, 0, v8
	v_lshlrev_b64 v[54:55], v48, 1
	v_lshrrev_b64 v[8:9], v22, v[8:9]
	v_bfi_b32 v53, v53, 0, 0
	v_cmp_eq_u64_e64 s[40:41], v[52:53], v[54:55]
	v_mov_b32_e32 v47, v9
	v_mov_b32_e32 v46, v8
	s_and_saveexec_b64 s[50:51], s[40:41]
; %bb.7620:                             ;   in Loop: Header=BB2_7030 Depth=3
	v_bfe_u32 v9, v8, 20, 1
	v_add_co_u32_e64 v9, s[40:41], v8, v9
	v_add_co_u32_e64 v46, s[40:41], -1, v9
; %bb.7621:                             ;   in Loop: Header=BB2_7030 Depth=3
	s_or_b64 exec, exec, s[50:51]
	v_add_u32_e32 v0, 0xffffff81, v0
	v_cndmask_b32_e32 v0, v0, v37, vcc
	v_lshrrev_b32_e32 v9, 23, v8
	v_add3_u32 v52, v22, v0, v9
	v_add_u32_e32 v22, 6, v52
	v_and_b32_e32 v0, 0xfffff, v46
	v_add_u32_e32 v8, v0, v8
	v_mov_b32_e32 v9, v29
	v_cmp_ne_u32_e32 vcc, 0, v22
                                        ; implicit-def: $vgpr0
	s_and_saveexec_b64 s[40:41], vcc
	s_xor_b64 s[40:41], exec, s[40:41]
; %bb.7622:                             ;   in Loop: Header=BB2_7030 Depth=3
	v_cmp_lt_u64_e32 vcc, s[88:89], v[8:9]
	v_add_u32_e32 v0, 7, v52
	v_cndmask_b32_e32 v0, v22, v0, vcc
	v_cndmask_b32_e64 v22, 0, 1, vcc
	v_lshrrev_b64 v[8:9], v22, v[8:9]
; %bb.7623:                             ;   in Loop: Header=BB2_7030 Depth=3
	s_andn2_saveexec_b64 s[40:41], s[40:41]
; %bb.7624:                             ;   in Loop: Header=BB2_7030 Depth=3
	v_bfe_u32 v0, v8, 23, 1
; %bb.7625:                             ;   in Loop: Header=BB2_7030 Depth=3
	s_or_b64 exec, exec, s[40:41]
	v_lshrrev_b64 v[8:9], 20, v[8:9]
	v_cmp_gt_i32_e32 vcc, 16, v0
	v_cndmask_b32_e32 v9, 0, v9, vcc
	v_cndmask_b32_e32 v8, 7, v8, vcc
	v_cmp_eq_u32_e32 vcc, 0, v0
	v_min_i32_e32 v0, 15, v0
	v_cmp_eq_u64_e64 s[40:41], 0, v[8:9]
	v_lshlrev_b32_e32 v0, 3, v0
	v_and_b32_e32 v0, 0xf8, v0
	v_and_or_b32 v0, v8, 7, v0
	s_and_b64 s[40:41], vcc, s[40:41]
	v_cndmask_b32_e64 v0, v0, 0, s[40:41]
	v_or_b32_e32 v0, v0, v7
.LBB2_7626:                             ;   in Loop: Header=BB2_7030 Depth=3
	s_or_b64 exec, exec, s[48:49]
                                        ; implicit-def: $vgpr7
.LBB2_7627:                             ;   in Loop: Header=BB2_7030 Depth=3
	s_andn2_saveexec_b64 s[40:41], s[38:39]
; %bb.7628:                             ;   in Loop: Header=BB2_7030 Depth=3
	v_or_b32_e32 v0, 0x7e, v7
; %bb.7629:                             ;   in Loop: Header=BB2_7030 Depth=3
	s_or_b64 exec, exec, s[40:41]
                                        ; implicit-def: $vgpr8
.LBB2_7630:                             ;   in Loop: Header=BB2_7030 Depth=3
	s_andn2_saveexec_b64 s[40:41], s[36:37]
; %bb.7631:                             ;   in Loop: Header=BB2_7030 Depth=3
	v_or_b32_sdwa v0, v8, s85 dst_sel:DWORD dst_unused:UNUSED_PAD src0_sel:BYTE_3 src1_sel:DWORD
; %bb.7632:                             ;   in Loop: Header=BB2_7030 Depth=3
	s_or_b64 exec, exec, s[40:41]
	v_lshrrev_b16_e32 v8, 8, v18
	v_cmp_ne_u16_e32 vcc, 0, v8
	v_mov_b32_e32 v7, 0
	s_and_saveexec_b64 s[40:41], vcc
	s_cbranch_execz .LBB2_7638
; %bb.7633:                             ;   in Loop: Header=BB2_7030 Depth=3
	v_cmp_ne_u16_e32 vcc, s87, v8
	v_bfrev_b32_e32 v7, 1
	s_and_saveexec_b64 s[36:37], vcc
	s_cbranch_execz .LBB2_7637
; %bb.7634:                             ;   in Loop: Header=BB2_7030 Depth=3
	v_and_b32_e32 v9, 0x7f, v8
	v_cmp_ne_u32_e32 vcc, s85, v9
	v_mov_b32_e32 v7, 0x7f800001
	s_and_saveexec_b64 s[38:39], vcc
	s_cbranch_execz .LBB2_7636
; %bb.7635:                             ;   in Loop: Header=BB2_7030 Depth=3
	v_and_b32_e32 v22, 7, v8
	v_ffbh_u32_e32 v7, v22
	v_lshrrev_b32_e32 v48, 3, v9
	v_cmp_gt_u32_e32 vcc, 8, v9
	v_min_u32_e32 v9, 32, v7
	v_subrev_u32_e32 v7, 28, v9
	v_lshlrev_b64 v[7:8], v7, v[8:9]
	v_sub_u32_e32 v8, 29, v9
	v_and_b32_e32 v7, 7, v7
	v_cndmask_b32_e32 v8, v48, v8, vcc
	v_cndmask_b32_e32 v7, v22, v7, vcc
	v_lshlrev_b32_e32 v9, 16, v18
	v_lshlrev_b32_e32 v7, 20, v7
	v_and_b32_e32 v9, 0x80000000, v9
	v_lshl_add_u32 v8, v8, 23, v17
	v_or3_b32 v7, v9, v8, v7
.LBB2_7636:                             ;   in Loop: Header=BB2_7030 Depth=3
	s_or_b64 exec, exec, s[38:39]
.LBB2_7637:                             ;   in Loop: Header=BB2_7030 Depth=3
	s_or_b64 exec, exec, s[36:37]
.LBB2_7638:                             ;   in Loop: Header=BB2_7030 Depth=3
	s_or_b64 exec, exec, s[40:41]
	v_lshrrev_b16_e32 v8, 8, v10
	v_cmp_lt_i16_e32 vcc, s85, v8
	s_mov_b64 s[40:41], 0
	s_and_saveexec_b64 s[36:37], vcc
	s_xor_b64 s[36:37], exec, s[36:37]
	s_cbranch_execz .LBB2_7830
; %bb.7639:                             ;   in Loop: Header=BB2_7030 Depth=3
	v_cmp_eq_u16_e32 vcc, s87, v8
	s_mov_b64 s[40:41], -1
	s_and_saveexec_b64 s[38:39], vcc
; %bb.7640:                             ;   in Loop: Header=BB2_7030 Depth=3
	s_xor_b64 s[40:41], exec, -1
; %bb.7641:                             ;   in Loop: Header=BB2_7030 Depth=3
	s_or_b64 exec, exec, s[38:39]
	s_and_b64 s[40:41], s[40:41], exec
	s_or_saveexec_b64 s[36:37], s[36:37]
	v_bfrev_b32_e32 v9, 1
	s_xor_b64 exec, exec, s[36:37]
	s_cbranch_execnz .LBB2_7831
.LBB2_7642:                             ;   in Loop: Header=BB2_7030 Depth=3
	s_or_b64 exec, exec, s[36:37]
	s_and_saveexec_b64 s[36:37], s[40:41]
	s_cbranch_execz .LBB2_7644
.LBB2_7643:                             ;   in Loop: Header=BB2_7030 Depth=3
	v_and_b32_e32 v18, 7, v8
	v_ffbh_u32_e32 v52, v18
	v_min_u32_e32 v54, 32, v52
	v_mov_b32_e32 v9, v29
	v_subrev_u32_e32 v52, 28, v54
	v_lshlrev_b64 v[52:53], v52, v[8:9]
	v_and_b32_e32 v22, 0x7f, v8
	v_bfe_u32 v48, v8, 3, 4
	v_sub_u32_e32 v9, 29, v54
	v_and_b32_e32 v52, 7, v52
	v_cmp_gt_u32_e32 vcc, 8, v22
	v_cndmask_b32_e32 v9, v48, v9, vcc
	v_cndmask_b32_e32 v18, v18, v52, vcc
	v_lshlrev_b32_e32 v8, 24, v8
	v_lshlrev_b32_e32 v18, 20, v18
	v_and_b32_e32 v8, 0x80000000, v8
	v_lshl_add_u32 v9, v9, 23, v17
	v_or3_b32 v8, v8, v9, v18
	v_cmp_ne_u32_e32 vcc, s85, v22
	v_cndmask_b32_e32 v9, v4, v8, vcc
.LBB2_7644:                             ;   in Loop: Header=BB2_7030 Depth=3
	s_or_b64 exec, exec, s[36:37]
	v_add_f32_e32 v8, v7, v9
	v_and_b32_e32 v52, 0x7f800000, v8
	v_mov_b32_e32 v53, v29
	v_cmp_ne_u64_e32 vcc, s[76:77], v[52:53]
                                        ; implicit-def: $vgpr7
	s_and_saveexec_b64 s[40:41], vcc
	s_xor_b64 s[36:37], exec, s[40:41]
	s_cbranch_execz .LBB2_7658
; %bb.7645:                             ;   in Loop: Header=BB2_7030 Depth=3
	v_and_b32_e32 v52, 0x7fffffff, v8
	v_mov_b32_e32 v53, v29
	v_cmp_gt_u64_e32 vcc, s[78:79], v[52:53]
	v_and_b32_sdwa v18, v8, s87 dst_sel:DWORD dst_unused:UNUSED_PAD src0_sel:BYTE_3 src1_sel:DWORD
                                        ; implicit-def: $vgpr7
	s_and_saveexec_b64 s[40:41], vcc
	s_xor_b64 s[38:39], exec, s[40:41]
	s_cbranch_execz .LBB2_7655
; %bb.7646:                             ;   in Loop: Header=BB2_7030 Depth=3
	v_mov_b32_e32 v7, 0
	v_cmp_ne_u32_e32 vcc, 0, v8
	s_and_saveexec_b64 s[48:49], vcc
	s_cbranch_execz .LBB2_7654
; %bb.7647:                             ;   in Loop: Header=BB2_7030 Depth=3
	v_bfe_u32 v7, v8, 23, 8
	v_and_b32_e32 v9, 0x7fffff, v8
	v_cmp_gt_u32_e64 s[40:41], s96, v7
	v_sub_u32_e32 v8, 0x79, v7
	v_cmp_eq_u32_e32 vcc, 0, v7
	v_cndmask_b32_e64 v8, 0, v8, s[40:41]
	v_or_b32_e32 v48, 0x800000, v9
	v_cndmask_b32_e32 v22, v8, v36, vcc
	v_cndmask_b32_e32 v8, v48, v9, vcc
	v_add_u32_e32 v48, 20, v22
	v_lshlrev_b64 v[52:53], v48, -1
	v_mov_b32_e32 v9, v29
	v_add_u32_e32 v48, 19, v22
	v_bfi_b32 v52, v52, 0, v8
	v_lshlrev_b64 v[54:55], v48, 1
	v_lshrrev_b64 v[8:9], v22, v[8:9]
	v_bfi_b32 v53, v53, 0, 0
	v_cmp_eq_u64_e64 s[40:41], v[52:53], v[54:55]
	v_mov_b32_e32 v47, v9
	v_mov_b32_e32 v46, v8
	s_and_saveexec_b64 s[50:51], s[40:41]
; %bb.7648:                             ;   in Loop: Header=BB2_7030 Depth=3
	v_bfe_u32 v9, v8, 20, 1
	v_add_co_u32_e64 v9, s[40:41], v8, v9
	v_add_co_u32_e64 v46, s[40:41], -1, v9
; %bb.7649:                             ;   in Loop: Header=BB2_7030 Depth=3
	s_or_b64 exec, exec, s[50:51]
	v_add_u32_e32 v7, 0xffffff81, v7
	v_cndmask_b32_e32 v7, v7, v37, vcc
	v_lshrrev_b32_e32 v9, 23, v8
	v_add3_u32 v52, v22, v7, v9
	v_add_u32_e32 v22, 6, v52
	v_and_b32_e32 v7, 0xfffff, v46
	v_add_u32_e32 v8, v7, v8
	v_mov_b32_e32 v9, v29
	v_cmp_ne_u32_e32 vcc, 0, v22
                                        ; implicit-def: $vgpr7
	s_and_saveexec_b64 s[40:41], vcc
	s_xor_b64 s[40:41], exec, s[40:41]
; %bb.7650:                             ;   in Loop: Header=BB2_7030 Depth=3
	v_cmp_lt_u64_e32 vcc, s[88:89], v[8:9]
	v_add_u32_e32 v7, 7, v52
	v_cndmask_b32_e32 v7, v22, v7, vcc
	v_cndmask_b32_e64 v22, 0, 1, vcc
	v_lshrrev_b64 v[8:9], v22, v[8:9]
; %bb.7651:                             ;   in Loop: Header=BB2_7030 Depth=3
	s_andn2_saveexec_b64 s[40:41], s[40:41]
; %bb.7652:                             ;   in Loop: Header=BB2_7030 Depth=3
	v_bfe_u32 v7, v8, 23, 1
; %bb.7653:                             ;   in Loop: Header=BB2_7030 Depth=3
	s_or_b64 exec, exec, s[40:41]
	v_lshrrev_b64 v[8:9], 20, v[8:9]
	v_cmp_gt_i32_e32 vcc, 16, v7
	v_cndmask_b32_e32 v9, 0, v9, vcc
	v_cndmask_b32_e32 v8, 7, v8, vcc
	v_cmp_eq_u32_e32 vcc, 0, v7
	v_min_i32_e32 v7, 15, v7
	v_cmp_eq_u64_e64 s[40:41], 0, v[8:9]
	v_lshlrev_b32_e32 v7, 3, v7
	v_and_b32_e32 v7, 0xf8, v7
	v_and_or_b32 v7, v8, 7, v7
	s_and_b64 s[40:41], vcc, s[40:41]
	v_cndmask_b32_e64 v7, v7, 0, s[40:41]
	v_or_b32_e32 v7, v7, v18
.LBB2_7654:                             ;   in Loop: Header=BB2_7030 Depth=3
	s_or_b64 exec, exec, s[48:49]
                                        ; implicit-def: $vgpr18
.LBB2_7655:                             ;   in Loop: Header=BB2_7030 Depth=3
	s_andn2_saveexec_b64 s[40:41], s[38:39]
; %bb.7656:                             ;   in Loop: Header=BB2_7030 Depth=3
	v_or_b32_e32 v7, 0x7e, v18
; %bb.7657:                             ;   in Loop: Header=BB2_7030 Depth=3
	s_or_b64 exec, exec, s[40:41]
                                        ; implicit-def: $vgpr8
.LBB2_7658:                             ;   in Loop: Header=BB2_7030 Depth=3
	s_andn2_saveexec_b64 s[40:41], s[36:37]
; %bb.7659:                             ;   in Loop: Header=BB2_7030 Depth=3
	v_or_b32_sdwa v7, v8, s85 dst_sel:DWORD dst_unused:UNUSED_PAD src0_sel:BYTE_3 src1_sel:DWORD
; %bb.7660:                             ;   in Loop: Header=BB2_7030 Depth=3
	s_or_b64 exec, exec, s[40:41]
	v_lshrrev_b32_e32 v8, 16, v28
	v_cmp_ne_u16_sdwa vcc, v8, v29 src0_sel:BYTE_0 src1_sel:DWORD
	v_mov_b32_e32 v9, 0
	s_and_saveexec_b64 s[40:41], vcc
	s_cbranch_execz .LBB2_7666
; %bb.7661:                             ;   in Loop: Header=BB2_7030 Depth=3
	v_cmp_ne_u16_sdwa vcc, v8, s87 src0_sel:BYTE_0 src1_sel:DWORD
	v_bfrev_b32_e32 v9, 1
	s_and_saveexec_b64 s[36:37], vcc
	s_cbranch_execz .LBB2_7665
; %bb.7662:                             ;   in Loop: Header=BB2_7030 Depth=3
	v_bfe_u32 v18, v28, 16, 7
	v_cmp_ne_u32_e32 vcc, s85, v18
	v_mov_b32_e32 v9, 0x7f800001
	s_and_saveexec_b64 s[38:39], vcc
	s_cbranch_execz .LBB2_7664
; %bb.7663:                             ;   in Loop: Header=BB2_7030 Depth=3
	v_and_b32_e32 v9, 7, v8
	v_lshrrev_b32_e32 v22, 3, v18
	v_cmp_gt_u32_e32 vcc, 8, v18
	v_ffbh_u32_e32 v18, v9
	v_min_u32_e32 v18, 32, v18
	v_subrev_u32_e32 v48, 28, v18
	v_lshlrev_b64 v[52:53], v48, v[8:9]
	v_sub_u32_e32 v18, 29, v18
	v_and_b32_e32 v48, 7, v52
	v_cndmask_b32_e32 v18, v22, v18, vcc
	v_cndmask_b32_e32 v9, v9, v48, vcc
	v_lshlrev_b32_e32 v8, 24, v8
	v_lshlrev_b32_e32 v9, 20, v9
	v_and_b32_e32 v8, 0x80000000, v8
	v_lshl_add_u32 v18, v18, 23, v17
	v_or3_b32 v9, v8, v18, v9
.LBB2_7664:                             ;   in Loop: Header=BB2_7030 Depth=3
	s_or_b64 exec, exec, s[38:39]
.LBB2_7665:                             ;   in Loop: Header=BB2_7030 Depth=3
	s_or_b64 exec, exec, s[36:37]
.LBB2_7666:                             ;   in Loop: Header=BB2_7030 Depth=3
	s_or_b64 exec, exec, s[40:41]
	v_lshrrev_b32_e32 v8, 16, v10
	v_cmp_gt_i16_sdwa vcc, v8, s85 src0_sel:BYTE_0 src1_sel:DWORD
	s_mov_b64 s[40:41], 0
	s_and_saveexec_b64 s[36:37], vcc
	s_xor_b64 vcc, exec, s[36:37]
	s_cbranch_execz .LBB2_7832
; %bb.7667:                             ;   in Loop: Header=BB2_7030 Depth=3
	v_cmp_eq_u16_sdwa s[38:39], v8, s87 src0_sel:BYTE_0 src1_sel:DWORD
	s_mov_b64 s[40:41], -1
	s_and_saveexec_b64 s[36:37], s[38:39]
; %bb.7668:                             ;   in Loop: Header=BB2_7030 Depth=3
	s_xor_b64 s[40:41], exec, -1
; %bb.7669:                             ;   in Loop: Header=BB2_7030 Depth=3
	s_or_b64 exec, exec, s[36:37]
	s_and_b64 s[40:41], s[40:41], exec
	s_or_saveexec_b64 vcc, vcc
	v_bfrev_b32_e32 v18, 1
	s_xor_b64 exec, exec, vcc
	s_cbranch_execnz .LBB2_7833
.LBB2_7670:                             ;   in Loop: Header=BB2_7030 Depth=3
	s_or_b64 exec, exec, vcc
	s_and_saveexec_b64 s[36:37], s[40:41]
	s_cbranch_execz .LBB2_7672
.LBB2_7671:                             ;   in Loop: Header=BB2_7030 Depth=3
	v_and_b32_e32 v18, 7, v8
	v_ffbh_u32_e32 v52, v18
	v_min_u32_e32 v54, 32, v52
	v_subrev_u32_e32 v52, 28, v54
	v_lshlrev_b64 v[52:53], v52, v[8:9]
	v_and_b32_e32 v22, 0x7f, v8
	v_bfe_u32 v48, v8, 3, 4
	v_sub_u32_e32 v53, 29, v54
	v_and_b32_e32 v52, 7, v52
	v_cmp_gt_u32_e32 vcc, 8, v22
	v_cndmask_b32_e32 v48, v48, v53, vcc
	v_cndmask_b32_e32 v18, v18, v52, vcc
	v_lshlrev_b32_e32 v8, 24, v8
	v_lshlrev_b32_e32 v18, 20, v18
	v_and_b32_e32 v8, 0x80000000, v8
	v_lshl_add_u32 v48, v48, 23, v17
	v_or3_b32 v8, v8, v48, v18
	v_cmp_ne_u32_e32 vcc, s85, v22
	v_cndmask_b32_e32 v18, v4, v8, vcc
.LBB2_7672:                             ;   in Loop: Header=BB2_7030 Depth=3
	s_or_b64 exec, exec, s[36:37]
	v_add_f32_e32 v8, v9, v18
	v_and_b32_e32 v52, 0x7f800000, v8
	v_mov_b32_e32 v53, v29
	v_cmp_ne_u64_e32 vcc, s[76:77], v[52:53]
                                        ; implicit-def: $vgpr22
	s_and_saveexec_b64 s[40:41], vcc
	s_xor_b64 s[36:37], exec, s[40:41]
	s_cbranch_execz .LBB2_7686
; %bb.7673:                             ;   in Loop: Header=BB2_7030 Depth=3
	v_and_b32_e32 v52, 0x7fffffff, v8
	v_mov_b32_e32 v53, v29
	v_cmp_gt_u64_e32 vcc, s[78:79], v[52:53]
	v_and_b32_sdwa v18, v8, s87 dst_sel:DWORD dst_unused:UNUSED_PAD src0_sel:BYTE_3 src1_sel:DWORD
                                        ; implicit-def: $vgpr22
	s_and_saveexec_b64 s[40:41], vcc
	s_xor_b64 s[38:39], exec, s[40:41]
	s_cbranch_execz .LBB2_7683
; %bb.7674:                             ;   in Loop: Header=BB2_7030 Depth=3
	v_mov_b32_e32 v22, 0
	v_cmp_ne_u32_e32 vcc, 0, v8
	s_and_saveexec_b64 s[48:49], vcc
	s_cbranch_execz .LBB2_7682
; %bb.7675:                             ;   in Loop: Header=BB2_7030 Depth=3
	v_bfe_u32 v22, v8, 23, 8
	v_and_b32_e32 v9, 0x7fffff, v8
	v_cmp_gt_u32_e64 s[40:41], s96, v22
	v_sub_u32_e32 v8, 0x79, v22
	v_cmp_eq_u32_e32 vcc, 0, v22
	v_cndmask_b32_e64 v8, 0, v8, s[40:41]
	v_or_b32_e32 v48, 0x800000, v9
	v_cndmask_b32_e32 v52, v8, v36, vcc
	v_cndmask_b32_e32 v8, v48, v9, vcc
	v_add_u32_e32 v48, 20, v52
	v_lshlrev_b64 v[53:54], v48, -1
	v_mov_b32_e32 v9, v29
	v_add_u32_e32 v48, 19, v52
	v_bfi_b32 v53, v53, 0, v8
	v_lshlrev_b64 v[46:47], v48, 1
	v_lshrrev_b64 v[8:9], v52, v[8:9]
	v_bfi_b32 v54, v54, 0, 0
	v_cmp_eq_u64_e64 s[40:41], v[53:54], v[46:47]
	v_mov_b32_e32 v47, v9
	v_mov_b32_e32 v46, v8
	s_and_saveexec_b64 s[50:51], s[40:41]
; %bb.7676:                             ;   in Loop: Header=BB2_7030 Depth=3
	v_bfe_u32 v9, v8, 20, 1
	v_add_co_u32_e64 v9, s[40:41], v8, v9
	v_add_co_u32_e64 v46, s[40:41], -1, v9
; %bb.7677:                             ;   in Loop: Header=BB2_7030 Depth=3
	s_or_b64 exec, exec, s[50:51]
	v_add_u32_e32 v9, 0xffffff81, v22
	v_cndmask_b32_e32 v9, v9, v37, vcc
	v_lshrrev_b32_e32 v22, 23, v8
	v_add3_u32 v55, v52, v9, v22
	v_add_u32_e32 v52, 6, v55
	v_and_b32_e32 v9, 0xfffff, v46
	v_add_u32_e32 v8, v9, v8
	v_mov_b32_e32 v9, v29
	v_cmp_ne_u32_e32 vcc, 0, v52
                                        ; implicit-def: $vgpr22
	s_and_saveexec_b64 s[40:41], vcc
	s_xor_b64 s[40:41], exec, s[40:41]
; %bb.7678:                             ;   in Loop: Header=BB2_7030 Depth=3
	v_cmp_lt_u64_e32 vcc, s[88:89], v[8:9]
	v_add_u32_e32 v22, 7, v55
	v_cndmask_b32_e64 v48, 0, 1, vcc
	v_cndmask_b32_e32 v22, v52, v22, vcc
	v_lshrrev_b64 v[8:9], v48, v[8:9]
; %bb.7679:                             ;   in Loop: Header=BB2_7030 Depth=3
	s_andn2_saveexec_b64 s[40:41], s[40:41]
; %bb.7680:                             ;   in Loop: Header=BB2_7030 Depth=3
	v_bfe_u32 v22, v8, 23, 1
; %bb.7681:                             ;   in Loop: Header=BB2_7030 Depth=3
	s_or_b64 exec, exec, s[40:41]
	v_lshrrev_b64 v[8:9], 20, v[8:9]
	v_cmp_gt_i32_e32 vcc, 16, v22
	v_cndmask_b32_e32 v9, 0, v9, vcc
	v_cndmask_b32_e32 v8, 7, v8, vcc
	v_cmp_eq_u64_e64 s[40:41], 0, v[8:9]
	v_min_i32_e32 v9, 15, v22
	v_lshlrev_b32_e32 v9, 3, v9
	v_cmp_eq_u32_e32 vcc, 0, v22
	v_and_b32_e32 v9, 0xf8, v9
	v_and_or_b32 v8, v8, 7, v9
	s_and_b64 s[40:41], vcc, s[40:41]
	v_cndmask_b32_e64 v8, v8, 0, s[40:41]
	v_or_b32_e32 v22, v8, v18
.LBB2_7682:                             ;   in Loop: Header=BB2_7030 Depth=3
	s_or_b64 exec, exec, s[48:49]
                                        ; implicit-def: $vgpr18
.LBB2_7683:                             ;   in Loop: Header=BB2_7030 Depth=3
	s_andn2_saveexec_b64 s[40:41], s[38:39]
; %bb.7684:                             ;   in Loop: Header=BB2_7030 Depth=3
	v_or_b32_e32 v22, 0x7e, v18
; %bb.7685:                             ;   in Loop: Header=BB2_7030 Depth=3
	s_or_b64 exec, exec, s[40:41]
                                        ; implicit-def: $vgpr8
.LBB2_7686:                             ;   in Loop: Header=BB2_7030 Depth=3
	s_andn2_saveexec_b64 s[40:41], s[36:37]
; %bb.7687:                             ;   in Loop: Header=BB2_7030 Depth=3
	v_or_b32_sdwa v22, v8, s85 dst_sel:DWORD dst_unused:UNUSED_PAD src0_sel:BYTE_3 src1_sel:DWORD
; %bb.7688:                             ;   in Loop: Header=BB2_7030 Depth=3
	s_or_b64 exec, exec, s[40:41]
	v_cmp_lt_u32_e32 vcc, s57, v28
	v_mov_b32_e32 v9, 0
	s_and_saveexec_b64 s[40:41], vcc
	s_cbranch_execz .LBB2_7694
; %bb.7689:                             ;   in Loop: Header=BB2_7030 Depth=3
	v_lshrrev_b32_e32 v8, 24, v28
	v_cmp_ne_u32_sdwa vcc, v28, s87 src0_sel:BYTE_3 src1_sel:DWORD
	v_bfrev_b32_e32 v9, 1
	s_and_saveexec_b64 s[36:37], vcc
	s_cbranch_execz .LBB2_7693
; %bb.7690:                             ;   in Loop: Header=BB2_7030 Depth=3
	v_bfe_u32 v18, v28, 24, 7
	v_cmp_ne_u32_e32 vcc, s85, v18
	v_mov_b32_e32 v9, 0x7f800001
	s_and_saveexec_b64 s[38:39], vcc
	s_cbranch_execz .LBB2_7692
; %bb.7691:                             ;   in Loop: Header=BB2_7030 Depth=3
	v_and_b32_e32 v48, 7, v8
	v_ffbh_u32_e32 v9, v48
	v_lshrrev_b32_e32 v52, 3, v18
	v_cmp_gt_u32_e32 vcc, 8, v18
	v_min_u32_e32 v18, 32, v9
	v_subrev_u32_e32 v9, 28, v18
	v_lshlrev_b64 v[8:9], v9, v[8:9]
	v_sub_u32_e32 v9, 29, v18
	v_and_b32_e32 v8, 7, v8
	v_mov_b32_e32 v18, 24
	v_cndmask_b32_e32 v9, v52, v9, vcc
	v_cndmask_b32_e32 v8, v48, v8, vcc
	v_lshlrev_b32_sdwa v18, v18, v28 dst_sel:DWORD dst_unused:UNUSED_PAD src0_sel:DWORD src1_sel:BYTE_3
	v_lshlrev_b32_e32 v8, 20, v8
	v_and_b32_e32 v18, 0x80000000, v18
	v_lshl_add_u32 v9, v9, 23, v17
	v_or3_b32 v9, v18, v9, v8
.LBB2_7692:                             ;   in Loop: Header=BB2_7030 Depth=3
	s_or_b64 exec, exec, s[38:39]
.LBB2_7693:                             ;   in Loop: Header=BB2_7030 Depth=3
	s_or_b64 exec, exec, s[36:37]
.LBB2_7694:                             ;   in Loop: Header=BB2_7030 Depth=3
	s_or_b64 exec, exec, s[40:41]
	v_bfe_u32 v18, v10, 24, 3
	v_ffbh_u32_e32 v52, v18
	v_min_u32_e32 v54, 32, v52
	v_lshrrev_b32_e32 v8, 24, v10
	v_subrev_u32_e32 v52, 28, v54
	v_lshlrev_b64 v[52:53], v52, v[8:9]
	v_bfe_u32 v28, v10, 24, 7
	v_bfe_u32 v48, v8, 3, 4
	v_sub_u32_e32 v53, 29, v54
	v_and_b32_e32 v52, 7, v52
	v_cmp_gt_u32_e32 vcc, 8, v28
	v_cndmask_b32_e32 v48, v48, v53, vcc
	v_cndmask_b32_e32 v18, v18, v52, vcc
	v_lshlrev_b32_e32 v18, 20, v18
	v_and_b32_e32 v52, 0x80000000, v10
	v_lshl_add_u32 v48, v48, 23, v17
	v_or3_b32 v18, v52, v48, v18
	v_cmp_ne_u32_e32 vcc, s85, v28
	v_cndmask_b32_e32 v18, v4, v18, vcc
	v_cmp_ne_u32_e32 vcc, s87, v8
	v_bfrev_b32_e32 v8, 1
	v_cndmask_b32_e32 v8, v8, v18, vcc
	v_cmp_lt_u32_e32 vcc, s57, v10
	v_cndmask_b32_e32 v8, 0, v8, vcc
	v_add_f32_e32 v8, v8, v9
	v_and_b32_e32 v28, 0x7f800000, v8
	v_cmp_ne_u64_e32 vcc, s[76:77], v[28:29]
                                        ; implicit-def: $vgpr52
	s_and_saveexec_b64 s[40:41], vcc
	s_xor_b64 s[36:37], exec, s[40:41]
	s_cbranch_execz .LBB2_7708
; %bb.7695:                             ;   in Loop: Header=BB2_7030 Depth=3
	v_and_b32_e32 v28, 0x7fffffff, v8
	v_cmp_gt_u64_e32 vcc, s[78:79], v[28:29]
	v_and_b32_sdwa v18, v8, s87 dst_sel:DWORD dst_unused:UNUSED_PAD src0_sel:BYTE_3 src1_sel:DWORD
                                        ; implicit-def: $vgpr52
	s_and_saveexec_b64 s[40:41], vcc
	s_xor_b64 s[38:39], exec, s[40:41]
	s_cbranch_execz .LBB2_7705
; %bb.7696:                             ;   in Loop: Header=BB2_7030 Depth=3
	v_mov_b32_e32 v52, 0
	v_cmp_ne_u32_e32 vcc, 0, v8
	s_and_saveexec_b64 s[48:49], vcc
	s_cbranch_execz .LBB2_7704
; %bb.7697:                             ;   in Loop: Header=BB2_7030 Depth=3
	v_bfe_u32 v52, v8, 23, 8
	v_and_b32_e32 v9, 0x7fffff, v8
	v_cmp_gt_u32_e64 s[40:41], s96, v52
	v_sub_u32_e32 v8, 0x79, v52
	v_cmp_eq_u32_e32 vcc, 0, v52
	v_cndmask_b32_e64 v8, 0, v8, s[40:41]
	v_cndmask_b32_e32 v55, v8, v36, vcc
	v_or_b32_e32 v28, 0x800000, v9
	v_add_u32_e32 v8, 20, v55
	v_cndmask_b32_e32 v28, v28, v9, vcc
	v_lshlrev_b64 v[8:9], v8, -1
	v_add_u32_e32 v48, 19, v55
	v_lshlrev_b64 v[53:54], v48, 1
	v_bfi_b32 v9, v9, 0, 0
	v_bfi_b32 v8, v8, 0, v28
	v_cmp_eq_u64_e64 s[40:41], v[8:9], v[53:54]
	v_lshrrev_b64 v[8:9], v55, v[28:29]
	v_mov_b32_e32 v47, v9
	v_mov_b32_e32 v46, v8
	s_and_saveexec_b64 s[50:51], s[40:41]
; %bb.7698:                             ;   in Loop: Header=BB2_7030 Depth=3
	v_bfe_u32 v9, v8, 20, 1
	v_add_co_u32_e64 v9, s[40:41], v8, v9
	v_add_co_u32_e64 v46, s[40:41], -1, v9
; %bb.7699:                             ;   in Loop: Header=BB2_7030 Depth=3
	s_or_b64 exec, exec, s[50:51]
	v_add_u32_e32 v9, 0xffffff81, v52
	v_cndmask_b32_e32 v9, v9, v37, vcc
	v_lshrrev_b32_e32 v28, 23, v8
	v_add3_u32 v47, v55, v9, v28
	v_add_u32_e32 v55, 6, v47
	v_and_b32_e32 v9, 0xfffff, v46
	v_add_u32_e32 v28, v9, v8
	v_cmp_ne_u32_e32 vcc, 0, v55
                                        ; implicit-def: $vgpr8_vgpr9
                                        ; implicit-def: $vgpr52
	s_and_saveexec_b64 s[40:41], vcc
	s_xor_b64 s[40:41], exec, s[40:41]
; %bb.7700:                             ;   in Loop: Header=BB2_7030 Depth=3
	v_cmp_lt_u64_e32 vcc, s[88:89], v[28:29]
	v_add_u32_e32 v8, 7, v47
	v_cndmask_b32_e32 v52, v55, v8, vcc
	v_cndmask_b32_e64 v8, 0, 1, vcc
	v_lshrrev_b64 v[8:9], v8, v[28:29]
; %bb.7701:                             ;   in Loop: Header=BB2_7030 Depth=3
	s_andn2_saveexec_b64 s[40:41], s[40:41]
; %bb.7702:                             ;   in Loop: Header=BB2_7030 Depth=3
	v_mov_b32_e32 v8, v28
	v_bfe_u32 v52, v28, 23, 1
	v_mov_b32_e32 v9, v29
; %bb.7703:                             ;   in Loop: Header=BB2_7030 Depth=3
	s_or_b64 exec, exec, s[40:41]
	v_lshrrev_b64 v[8:9], 20, v[8:9]
	v_cmp_gt_i32_e32 vcc, 16, v52
	v_cndmask_b32_e32 v9, 0, v9, vcc
	v_cndmask_b32_e32 v8, 7, v8, vcc
	v_cmp_eq_u64_e64 s[40:41], 0, v[8:9]
	v_min_i32_e32 v9, 15, v52
	v_lshlrev_b32_e32 v9, 3, v9
	v_cmp_eq_u32_e32 vcc, 0, v52
	v_and_b32_e32 v9, 0xf8, v9
	v_and_or_b32 v8, v8, 7, v9
	s_and_b64 s[40:41], vcc, s[40:41]
	v_cndmask_b32_e64 v8, v8, 0, s[40:41]
	v_or_b32_e32 v52, v8, v18
.LBB2_7704:                             ;   in Loop: Header=BB2_7030 Depth=3
	s_or_b64 exec, exec, s[48:49]
                                        ; implicit-def: $vgpr18
.LBB2_7705:                             ;   in Loop: Header=BB2_7030 Depth=3
	s_andn2_saveexec_b64 s[40:41], s[38:39]
; %bb.7706:                             ;   in Loop: Header=BB2_7030 Depth=3
	v_or_b32_e32 v52, 0x7e, v18
; %bb.7707:                             ;   in Loop: Header=BB2_7030 Depth=3
	s_or_b64 exec, exec, s[40:41]
                                        ; implicit-def: $vgpr8
.LBB2_7708:                             ;   in Loop: Header=BB2_7030 Depth=3
	s_andn2_saveexec_b64 s[40:41], s[36:37]
; %bb.7709:                             ;   in Loop: Header=BB2_7030 Depth=3
	v_or_b32_sdwa v52, v8, s85 dst_sel:DWORD dst_unused:UNUSED_PAD src0_sel:BYTE_3 src1_sel:DWORD
; %bb.7710:                             ;   in Loop: Header=BB2_7030 Depth=3
	s_or_b64 exec, exec, s[40:41]
	v_lshlrev_b32_e32 v3, 24, v3
	v_lshlrev_b32_e32 v8, 16, v5
	v_lshl_or_b32 v5, v16, 8, v49
	v_or3_b32 v28, v8, v3, v5
	v_cmp_ne_u32_e32 vcc, 0, v49
	v_mov_b32_e32 v3, 0
	s_and_saveexec_b64 s[40:41], vcc
	s_cbranch_execz .LBB2_7716
; %bb.7711:                             ;   in Loop: Header=BB2_7030 Depth=3
	v_cmp_ne_u32_e32 vcc, s87, v49
	v_bfrev_b32_e32 v3, 1
	s_and_saveexec_b64 s[36:37], vcc
	s_cbranch_execz .LBB2_7715
; %bb.7712:                             ;   in Loop: Header=BB2_7030 Depth=3
	v_and_b32_e32 v8, 0x7f, v49
	v_cmp_ne_u32_e32 vcc, s85, v8
	v_mov_b32_e32 v3, 0x7f800001
	s_and_saveexec_b64 s[38:39], vcc
	s_cbranch_execz .LBB2_7714
; %bb.7713:                             ;   in Loop: Header=BB2_7030 Depth=3
	v_and_b32_e32 v3, 7, v49
	v_ffbh_u32_e32 v3, v3
	v_min_u32_e32 v3, 32, v3
	v_lshrrev_b32_e32 v9, 3, v8
	v_cmp_gt_u32_e32 vcc, 8, v8
	v_subrev_u32_e32 v8, 28, v3
	v_sub_u32_e32 v3, 29, v3
	v_cndmask_b32_e32 v8, 0, v8, vcc
	v_cndmask_b32_e32 v3, v9, v3, vcc
	v_lshlrev_b64 v[8:9], v8, v[28:29]
	v_lshlrev_b32_e32 v9, 24, v28
	v_lshlrev_b32_e32 v8, 20, v8
	v_and_b32_e32 v8, 0x700000, v8
	v_and_b32_e32 v9, 0x80000000, v9
	v_lshl_add_u32 v3, v3, 23, v17
	v_or3_b32 v3, v9, v3, v8
.LBB2_7714:                             ;   in Loop: Header=BB2_7030 Depth=3
	s_or_b64 exec, exec, s[38:39]
.LBB2_7715:                             ;   in Loop: Header=BB2_7030 Depth=3
	s_or_b64 exec, exec, s[36:37]
.LBB2_7716:                             ;   in Loop: Header=BB2_7030 Depth=3
	s_or_b64 exec, exec, s[40:41]
	v_cmp_gt_i16_sdwa vcc, v11, s85 src0_sel:BYTE_0 src1_sel:DWORD
	s_mov_b64 s[40:41], 0
	s_and_saveexec_b64 s[36:37], vcc
	s_xor_b64 vcc, exec, s[36:37]
	s_cbranch_execz .LBB2_7720
; %bb.7717:                             ;   in Loop: Header=BB2_7030 Depth=3
	v_cmp_eq_u16_sdwa s[38:39], v11, s87 src0_sel:BYTE_0 src1_sel:DWORD
	s_mov_b64 s[40:41], -1
	s_and_saveexec_b64 s[36:37], s[38:39]
; %bb.7718:                             ;   in Loop: Header=BB2_7030 Depth=3
	s_xor_b64 s[40:41], exec, -1
; %bb.7719:                             ;   in Loop: Header=BB2_7030 Depth=3
	s_or_b64 exec, exec, s[36:37]
	s_and_b64 s[40:41], s[40:41], exec
.LBB2_7720:                             ;   in Loop: Header=BB2_7030 Depth=3
	s_or_saveexec_b64 vcc, vcc
	v_bfrev_b32_e32 v16, 1
	s_xor_b64 exec, exec, vcc
; %bb.7721:                             ;   in Loop: Header=BB2_7030 Depth=3
	v_cmp_ne_u16_sdwa s[36:37], v11, v29 src0_sel:BYTE_0 src1_sel:DWORD
	s_andn2_b64 s[40:41], s[40:41], exec
	s_and_b64 s[36:37], s[36:37], exec
	v_mov_b32_e32 v16, 0
	s_or_b64 s[40:41], s[40:41], s[36:37]
; %bb.7722:                             ;   in Loop: Header=BB2_7030 Depth=3
	s_or_b64 exec, exec, vcc
	v_mov_b32_e32 v8, v11
	v_mov_b32_e32 v9, v29
	s_and_saveexec_b64 s[36:37], s[40:41]
	s_cbranch_execz .LBB2_7724
; %bb.7723:                             ;   in Loop: Header=BB2_7030 Depth=3
	v_and_b32_e32 v16, 7, v11
	v_ffbh_u32_e32 v16, v16
	v_and_b32_e32 v18, 0x7f, v11
	v_min_u32_e32 v16, 32, v16
	v_bfe_u32 v48, v11, 3, 4
	v_subrev_u32_e32 v49, 28, v16
	v_sub_u32_e32 v16, 29, v16
	v_cmp_gt_u32_e32 vcc, 8, v18
	v_cndmask_b32_e32 v16, v48, v16, vcc
	v_cndmask_b32_e32 v48, 0, v49, vcc
	v_lshlrev_b64 v[48:49], v48, v[8:9]
	v_lshl_add_u32 v16, v16, 23, v17
	v_lshlrev_b32_e32 v9, 20, v48
	v_lshlrev_b32_e32 v48, 24, v8
	v_and_b32_e32 v9, 0x700000, v9
	v_and_b32_e32 v48, 0x80000000, v48
	v_or3_b32 v9, v48, v16, v9
	v_cmp_ne_u32_e32 vcc, s85, v18
	v_cndmask_b32_e32 v16, v4, v9, vcc
.LBB2_7724:                             ;   in Loop: Header=BB2_7030 Depth=3
	s_or_b64 exec, exec, s[36:37]
	v_add_f32_e32 v16, v3, v16
	v_and_b32_e32 v48, 0x7f800000, v16
	v_mov_b32_e32 v49, v29
	v_cmp_ne_u64_e32 vcc, s[76:77], v[48:49]
                                        ; implicit-def: $vgpr3
	s_and_saveexec_b64 s[40:41], vcc
	s_xor_b64 s[36:37], exec, s[40:41]
	s_cbranch_execz .LBB2_7738
; %bb.7725:                             ;   in Loop: Header=BB2_7030 Depth=3
	v_and_b32_e32 v48, 0x7fffffff, v16
	v_mov_b32_e32 v49, v29
	v_cmp_gt_u64_e32 vcc, s[78:79], v[48:49]
	v_and_b32_sdwa v9, v16, s87 dst_sel:DWORD dst_unused:UNUSED_PAD src0_sel:BYTE_3 src1_sel:DWORD
                                        ; implicit-def: $vgpr3
	s_and_saveexec_b64 s[40:41], vcc
	s_xor_b64 s[38:39], exec, s[40:41]
	s_cbranch_execz .LBB2_7735
; %bb.7726:                             ;   in Loop: Header=BB2_7030 Depth=3
	v_mov_b32_e32 v3, 0
	v_cmp_ne_u32_e32 vcc, 0, v16
	s_and_saveexec_b64 s[48:49], vcc
	s_cbranch_execz .LBB2_7734
; %bb.7727:                             ;   in Loop: Header=BB2_7030 Depth=3
	v_bfe_u32 v3, v16, 23, 8
	v_and_b32_e32 v18, 0x7fffff, v16
	v_cmp_gt_u32_e64 s[40:41], s96, v3
	v_sub_u32_e32 v16, 0x79, v3
	v_cmp_eq_u32_e32 vcc, 0, v3
	v_cndmask_b32_e64 v16, 0, v16, s[40:41]
	v_or_b32_e32 v48, 0x800000, v18
	v_cndmask_b32_e32 v16, v16, v36, vcc
	v_cndmask_b32_e32 v48, v48, v18, vcc
	v_add_u32_e32 v18, 20, v16
	v_lshlrev_b64 v[53:54], v18, -1
	v_add_u32_e32 v18, 19, v16
	v_lshlrev_b64 v[46:47], v18, 1
	v_mov_b32_e32 v49, v29
	v_bfi_b32 v54, v54, 0, 0
	v_bfi_b32 v53, v53, 0, v48
	v_cmp_eq_u64_e64 s[40:41], v[53:54], v[46:47]
	v_lshrrev_b64 v[46:47], v16, v[48:49]
	v_mov_b32_e32 v56, v47
	v_mov_b32_e32 v55, v46
	s_and_saveexec_b64 s[50:51], s[40:41]
; %bb.7728:                             ;   in Loop: Header=BB2_7030 Depth=3
	v_bfe_u32 v18, v46, 20, 1
	v_add_co_u32_e64 v18, s[40:41], v46, v18
	v_add_co_u32_e64 v55, s[40:41], -1, v18
; %bb.7729:                             ;   in Loop: Header=BB2_7030 Depth=3
	s_or_b64 exec, exec, s[50:51]
	v_add_u32_e32 v3, 0xffffff81, v3
	v_cndmask_b32_e32 v3, v3, v37, vcc
	v_lshrrev_b32_e32 v18, 23, v46
	v_add3_u32 v18, v16, v3, v18
	v_add_u32_e32 v16, 6, v18
	v_and_b32_e32 v3, 0xfffff, v55
	v_add_u32_e32 v46, v3, v46
	v_mov_b32_e32 v47, v29
	v_cmp_ne_u32_e32 vcc, 0, v16
                                        ; implicit-def: $vgpr3
	s_and_saveexec_b64 s[40:41], vcc
	s_xor_b64 s[40:41], exec, s[40:41]
; %bb.7730:                             ;   in Loop: Header=BB2_7030 Depth=3
	v_cmp_lt_u64_e32 vcc, s[88:89], v[46:47]
	v_add_u32_e32 v3, 7, v18
	v_cndmask_b32_e32 v3, v16, v3, vcc
	v_cndmask_b32_e64 v16, 0, 1, vcc
	v_lshrrev_b64 v[46:47], v16, v[46:47]
; %bb.7731:                             ;   in Loop: Header=BB2_7030 Depth=3
	s_andn2_saveexec_b64 s[40:41], s[40:41]
; %bb.7732:                             ;   in Loop: Header=BB2_7030 Depth=3
	v_bfe_u32 v3, v46, 23, 1
; %bb.7733:                             ;   in Loop: Header=BB2_7030 Depth=3
	s_or_b64 exec, exec, s[40:41]
	v_lshrrev_b64 v[48:49], 20, v[46:47]
	v_cmp_gt_i32_e32 vcc, 16, v3
	v_cndmask_b32_e32 v49, 0, v49, vcc
	v_cndmask_b32_e32 v48, 7, v48, vcc
	v_cmp_eq_u32_e32 vcc, 0, v3
	v_min_i32_e32 v3, 15, v3
	v_cmp_eq_u64_e64 s[40:41], 0, v[48:49]
	v_lshlrev_b32_e32 v3, 3, v3
	v_and_b32_e32 v3, 0xf8, v3
	v_and_or_b32 v3, v48, 7, v3
	s_and_b64 s[40:41], vcc, s[40:41]
	v_cndmask_b32_e64 v3, v3, 0, s[40:41]
	v_or_b32_e32 v3, v3, v9
.LBB2_7734:                             ;   in Loop: Header=BB2_7030 Depth=3
	s_or_b64 exec, exec, s[48:49]
                                        ; implicit-def: $vgpr9
.LBB2_7735:                             ;   in Loop: Header=BB2_7030 Depth=3
	s_andn2_saveexec_b64 s[40:41], s[38:39]
; %bb.7736:                             ;   in Loop: Header=BB2_7030 Depth=3
	v_or_b32_e32 v3, 0x7e, v9
; %bb.7737:                             ;   in Loop: Header=BB2_7030 Depth=3
	s_or_b64 exec, exec, s[40:41]
                                        ; implicit-def: $vgpr16
.LBB2_7738:                             ;   in Loop: Header=BB2_7030 Depth=3
	s_andn2_saveexec_b64 s[40:41], s[36:37]
; %bb.7739:                             ;   in Loop: Header=BB2_7030 Depth=3
	v_or_b32_sdwa v3, v16, s85 dst_sel:DWORD dst_unused:UNUSED_PAD src0_sel:BYTE_3 src1_sel:DWORD
; %bb.7740:                             ;   in Loop: Header=BB2_7030 Depth=3
	s_or_b64 exec, exec, s[40:41]
	v_lshrrev_b16_e32 v9, 8, v5
	v_cmp_ne_u16_e32 vcc, 0, v9
	v_mov_b32_e32 v16, 0
	s_and_saveexec_b64 s[40:41], vcc
	s_cbranch_execz .LBB2_7746
; %bb.7741:                             ;   in Loop: Header=BB2_7030 Depth=3
	v_cmp_ne_u16_e32 vcc, s87, v9
	v_bfrev_b32_e32 v16, 1
	s_and_saveexec_b64 s[36:37], vcc
	s_cbranch_execz .LBB2_7745
; %bb.7742:                             ;   in Loop: Header=BB2_7030 Depth=3
	v_and_b32_e32 v18, 0x7f, v9
	v_cmp_ne_u32_e32 vcc, s85, v18
	v_mov_b32_e32 v16, 0x7f800001
	s_and_saveexec_b64 s[38:39], vcc
	s_cbranch_execz .LBB2_7744
; %bb.7743:                             ;   in Loop: Header=BB2_7030 Depth=3
	v_and_b32_e32 v16, 7, v9
	v_lshrrev_b32_e32 v53, 3, v18
	v_cmp_gt_u32_e32 vcc, 8, v18
	v_ffbh_u32_e32 v18, v16
	v_min_u32_e32 v18, 32, v18
	v_subrev_u32_e32 v48, 28, v18
	v_lshlrev_b64 v[48:49], v48, v[9:10]
	v_sub_u32_e32 v9, 29, v18
	v_and_b32_e32 v18, 7, v48
	v_cndmask_b32_e32 v9, v53, v9, vcc
	v_cndmask_b32_e32 v16, v16, v18, vcc
	v_lshlrev_b32_e32 v5, 16, v5
	v_lshlrev_b32_e32 v16, 20, v16
	v_and_b32_e32 v5, 0x80000000, v5
	v_lshl_add_u32 v9, v9, 23, v17
	v_or3_b32 v16, v5, v9, v16
.LBB2_7744:                             ;   in Loop: Header=BB2_7030 Depth=3
	s_or_b64 exec, exec, s[38:39]
.LBB2_7745:                             ;   in Loop: Header=BB2_7030 Depth=3
	s_or_b64 exec, exec, s[36:37]
.LBB2_7746:                             ;   in Loop: Header=BB2_7030 Depth=3
	s_or_b64 exec, exec, s[40:41]
	v_lshrrev_b16_e32 v8, 8, v8
	v_cmp_lt_i16_e32 vcc, s85, v8
	s_mov_b64 s[40:41], 0
	s_and_saveexec_b64 s[36:37], vcc
	s_xor_b64 s[36:37], exec, s[36:37]
	s_cbranch_execz .LBB2_7834
; %bb.7747:                             ;   in Loop: Header=BB2_7030 Depth=3
	v_cmp_eq_u16_e32 vcc, s87, v8
	s_mov_b64 s[40:41], -1
	s_and_saveexec_b64 s[38:39], vcc
; %bb.7748:                             ;   in Loop: Header=BB2_7030 Depth=3
	s_xor_b64 s[40:41], exec, -1
; %bb.7749:                             ;   in Loop: Header=BB2_7030 Depth=3
	s_or_b64 exec, exec, s[38:39]
	s_and_b64 s[40:41], s[40:41], exec
	s_or_saveexec_b64 s[36:37], s[36:37]
	v_bfrev_b32_e32 v5, 1
	s_xor_b64 exec, exec, s[36:37]
	s_cbranch_execnz .LBB2_7835
.LBB2_7750:                             ;   in Loop: Header=BB2_7030 Depth=3
	s_or_b64 exec, exec, s[36:37]
	s_and_saveexec_b64 s[36:37], s[40:41]
	s_cbranch_execz .LBB2_7752
.LBB2_7751:                             ;   in Loop: Header=BB2_7030 Depth=3
	v_and_b32_e32 v5, 7, v8
	v_ffbh_u32_e32 v48, v5
	v_min_u32_e32 v54, 32, v48
	v_mov_b32_e32 v9, v29
	v_subrev_u32_e32 v48, 28, v54
	v_lshlrev_b64 v[48:49], v48, v[8:9]
	v_and_b32_e32 v18, 0x7f, v8
	v_bfe_u32 v53, v8, 3, 4
	v_sub_u32_e32 v9, 29, v54
	v_and_b32_e32 v48, 7, v48
	v_cmp_gt_u32_e32 vcc, 8, v18
	v_cndmask_b32_e32 v9, v53, v9, vcc
	v_cndmask_b32_e32 v5, v5, v48, vcc
	v_lshlrev_b32_e32 v8, 24, v8
	v_lshlrev_b32_e32 v5, 20, v5
	v_and_b32_e32 v8, 0x80000000, v8
	v_lshl_add_u32 v9, v9, 23, v17
	v_or3_b32 v5, v8, v9, v5
	v_cmp_ne_u32_e32 vcc, s85, v18
	v_cndmask_b32_e32 v5, v4, v5, vcc
.LBB2_7752:                             ;   in Loop: Header=BB2_7030 Depth=3
	s_or_b64 exec, exec, s[36:37]
	v_add_f32_e32 v8, v16, v5
	v_and_b32_e32 v48, 0x7f800000, v8
	v_mov_b32_e32 v49, v29
	v_cmp_ne_u64_e32 vcc, s[76:77], v[48:49]
                                        ; implicit-def: $vgpr5
	s_and_saveexec_b64 s[40:41], vcc
	s_xor_b64 s[36:37], exec, s[40:41]
	s_cbranch_execz .LBB2_7766
; %bb.7753:                             ;   in Loop: Header=BB2_7030 Depth=3
	v_and_b32_e32 v48, 0x7fffffff, v8
	v_mov_b32_e32 v49, v29
	v_cmp_gt_u64_e32 vcc, s[78:79], v[48:49]
	v_and_b32_sdwa v16, v8, s87 dst_sel:DWORD dst_unused:UNUSED_PAD src0_sel:BYTE_3 src1_sel:DWORD
                                        ; implicit-def: $vgpr5
	s_and_saveexec_b64 s[40:41], vcc
	s_xor_b64 s[38:39], exec, s[40:41]
	s_cbranch_execz .LBB2_7763
; %bb.7754:                             ;   in Loop: Header=BB2_7030 Depth=3
	v_mov_b32_e32 v5, 0
	v_cmp_ne_u32_e32 vcc, 0, v8
	s_and_saveexec_b64 s[48:49], vcc
	s_cbranch_execz .LBB2_7762
; %bb.7755:                             ;   in Loop: Header=BB2_7030 Depth=3
	v_bfe_u32 v5, v8, 23, 8
	v_and_b32_e32 v9, 0x7fffff, v8
	v_cmp_gt_u32_e64 s[40:41], s96, v5
	v_sub_u32_e32 v8, 0x79, v5
	v_cmp_eq_u32_e32 vcc, 0, v5
	v_cndmask_b32_e64 v8, 0, v8, s[40:41]
	v_or_b32_e32 v48, 0x800000, v9
	v_cndmask_b32_e32 v18, v8, v36, vcc
	v_cndmask_b32_e32 v8, v48, v9, vcc
	v_add_u32_e32 v48, 20, v18
	v_lshlrev_b64 v[48:49], v48, -1
	v_mov_b32_e32 v9, v29
	v_add_u32_e32 v53, 19, v18
	v_bfi_b32 v48, v48, 0, v8
	v_lshlrev_b64 v[53:54], v53, 1
	v_lshrrev_b64 v[8:9], v18, v[8:9]
	v_bfi_b32 v49, v49, 0, 0
	v_cmp_eq_u64_e64 s[40:41], v[48:49], v[53:54]
	v_mov_b32_e32 v47, v9
	v_mov_b32_e32 v46, v8
	s_and_saveexec_b64 s[50:51], s[40:41]
; %bb.7756:                             ;   in Loop: Header=BB2_7030 Depth=3
	v_bfe_u32 v9, v8, 20, 1
	v_add_co_u32_e64 v9, s[40:41], v8, v9
	v_add_co_u32_e64 v46, s[40:41], -1, v9
; %bb.7757:                             ;   in Loop: Header=BB2_7030 Depth=3
	s_or_b64 exec, exec, s[50:51]
	v_add_u32_e32 v5, 0xffffff81, v5
	v_cndmask_b32_e32 v5, v5, v37, vcc
	v_lshrrev_b32_e32 v9, 23, v8
	v_add3_u32 v49, v18, v5, v9
	v_add_u32_e32 v18, 6, v49
	v_and_b32_e32 v5, 0xfffff, v46
	v_add_u32_e32 v8, v5, v8
	v_mov_b32_e32 v9, v29
	v_cmp_ne_u32_e32 vcc, 0, v18
                                        ; implicit-def: $vgpr5
	s_and_saveexec_b64 s[40:41], vcc
	s_xor_b64 s[40:41], exec, s[40:41]
; %bb.7758:                             ;   in Loop: Header=BB2_7030 Depth=3
	v_cmp_lt_u64_e32 vcc, s[88:89], v[8:9]
	v_add_u32_e32 v5, 7, v49
	v_cndmask_b32_e32 v5, v18, v5, vcc
	v_cndmask_b32_e64 v18, 0, 1, vcc
	v_lshrrev_b64 v[8:9], v18, v[8:9]
; %bb.7759:                             ;   in Loop: Header=BB2_7030 Depth=3
	s_andn2_saveexec_b64 s[40:41], s[40:41]
; %bb.7760:                             ;   in Loop: Header=BB2_7030 Depth=3
	v_bfe_u32 v5, v8, 23, 1
; %bb.7761:                             ;   in Loop: Header=BB2_7030 Depth=3
	s_or_b64 exec, exec, s[40:41]
	v_lshrrev_b64 v[8:9], 20, v[8:9]
	v_cmp_gt_i32_e32 vcc, 16, v5
	v_cndmask_b32_e32 v9, 0, v9, vcc
	v_cndmask_b32_e32 v8, 7, v8, vcc
	v_cmp_eq_u32_e32 vcc, 0, v5
	v_min_i32_e32 v5, 15, v5
	v_cmp_eq_u64_e64 s[40:41], 0, v[8:9]
	v_lshlrev_b32_e32 v5, 3, v5
	v_and_b32_e32 v5, 0xf8, v5
	v_and_or_b32 v5, v8, 7, v5
	s_and_b64 s[40:41], vcc, s[40:41]
	v_cndmask_b32_e64 v5, v5, 0, s[40:41]
	v_or_b32_e32 v5, v5, v16
.LBB2_7762:                             ;   in Loop: Header=BB2_7030 Depth=3
	s_or_b64 exec, exec, s[48:49]
                                        ; implicit-def: $vgpr16
.LBB2_7763:                             ;   in Loop: Header=BB2_7030 Depth=3
	s_andn2_saveexec_b64 s[40:41], s[38:39]
; %bb.7764:                             ;   in Loop: Header=BB2_7030 Depth=3
	v_or_b32_e32 v5, 0x7e, v16
; %bb.7765:                             ;   in Loop: Header=BB2_7030 Depth=3
	s_or_b64 exec, exec, s[40:41]
                                        ; implicit-def: $vgpr8
.LBB2_7766:                             ;   in Loop: Header=BB2_7030 Depth=3
	s_andn2_saveexec_b64 s[40:41], s[36:37]
; %bb.7767:                             ;   in Loop: Header=BB2_7030 Depth=3
	v_or_b32_sdwa v5, v8, s85 dst_sel:DWORD dst_unused:UNUSED_PAD src0_sel:BYTE_3 src1_sel:DWORD
; %bb.7768:                             ;   in Loop: Header=BB2_7030 Depth=3
	s_or_b64 exec, exec, s[40:41]
	v_lshrrev_b32_e32 v8, 16, v28
	v_cmp_ne_u16_sdwa vcc, v8, v29 src0_sel:BYTE_0 src1_sel:DWORD
	v_mov_b32_e32 v9, 0
	s_and_saveexec_b64 s[40:41], vcc
	s_cbranch_execz .LBB2_7774
; %bb.7769:                             ;   in Loop: Header=BB2_7030 Depth=3
	v_cmp_ne_u16_sdwa vcc, v8, s87 src0_sel:BYTE_0 src1_sel:DWORD
	v_bfrev_b32_e32 v9, 1
	s_and_saveexec_b64 s[36:37], vcc
	s_cbranch_execz .LBB2_7773
; %bb.7770:                             ;   in Loop: Header=BB2_7030 Depth=3
	v_bfe_u32 v16, v28, 16, 7
	v_cmp_ne_u32_e32 vcc, s85, v16
	v_mov_b32_e32 v9, 0x7f800001
	s_and_saveexec_b64 s[38:39], vcc
	s_cbranch_execz .LBB2_7772
; %bb.7771:                             ;   in Loop: Header=BB2_7030 Depth=3
	v_and_b32_e32 v9, 7, v8
	v_lshrrev_b32_e32 v18, 3, v16
	v_cmp_gt_u32_e32 vcc, 8, v16
	v_ffbh_u32_e32 v16, v9
	v_min_u32_e32 v16, 32, v16
	v_subrev_u32_e32 v48, 28, v16
	v_lshlrev_b64 v[48:49], v48, v[8:9]
	v_sub_u32_e32 v16, 29, v16
	v_and_b32_e32 v48, 7, v48
	v_cndmask_b32_e32 v16, v18, v16, vcc
	v_cndmask_b32_e32 v9, v9, v48, vcc
	v_lshlrev_b32_e32 v8, 24, v8
	v_lshlrev_b32_e32 v9, 20, v9
	v_and_b32_e32 v8, 0x80000000, v8
	v_lshl_add_u32 v16, v16, 23, v17
	v_or3_b32 v9, v8, v16, v9
.LBB2_7772:                             ;   in Loop: Header=BB2_7030 Depth=3
	s_or_b64 exec, exec, s[38:39]
.LBB2_7773:                             ;   in Loop: Header=BB2_7030 Depth=3
	s_or_b64 exec, exec, s[36:37]
.LBB2_7774:                             ;   in Loop: Header=BB2_7030 Depth=3
	s_or_b64 exec, exec, s[40:41]
	v_lshrrev_b32_e32 v8, 16, v11
	v_cmp_gt_i16_sdwa vcc, v8, s85 src0_sel:BYTE_0 src1_sel:DWORD
	s_mov_b64 s[40:41], 0
	s_and_saveexec_b64 s[36:37], vcc
	s_xor_b64 vcc, exec, s[36:37]
	s_cbranch_execz .LBB2_7836
; %bb.7775:                             ;   in Loop: Header=BB2_7030 Depth=3
	v_cmp_eq_u16_sdwa s[38:39], v8, s87 src0_sel:BYTE_0 src1_sel:DWORD
	s_mov_b64 s[40:41], -1
	s_and_saveexec_b64 s[36:37], s[38:39]
; %bb.7776:                             ;   in Loop: Header=BB2_7030 Depth=3
	s_xor_b64 s[40:41], exec, -1
; %bb.7777:                             ;   in Loop: Header=BB2_7030 Depth=3
	s_or_b64 exec, exec, s[36:37]
	s_and_b64 s[40:41], s[40:41], exec
	s_or_saveexec_b64 vcc, vcc
	v_bfrev_b32_e32 v16, 1
	s_xor_b64 exec, exec, vcc
	s_cbranch_execnz .LBB2_7837
.LBB2_7778:                             ;   in Loop: Header=BB2_7030 Depth=3
	s_or_b64 exec, exec, vcc
	s_and_saveexec_b64 s[36:37], s[40:41]
	s_cbranch_execz .LBB2_7780
.LBB2_7779:                             ;   in Loop: Header=BB2_7030 Depth=3
	v_and_b32_e32 v16, 7, v8
	v_ffbh_u32_e32 v48, v16
	v_min_u32_e32 v54, 32, v48
	v_subrev_u32_e32 v48, 28, v54
	v_lshlrev_b64 v[48:49], v48, v[8:9]
	v_and_b32_e32 v18, 0x7f, v8
	v_bfe_u32 v53, v8, 3, 4
	v_sub_u32_e32 v49, 29, v54
	v_and_b32_e32 v48, 7, v48
	v_cmp_gt_u32_e32 vcc, 8, v18
	v_cndmask_b32_e32 v49, v53, v49, vcc
	v_cndmask_b32_e32 v16, v16, v48, vcc
	v_lshlrev_b32_e32 v8, 24, v8
	v_lshlrev_b32_e32 v16, 20, v16
	v_and_b32_e32 v8, 0x80000000, v8
	v_lshl_add_u32 v48, v49, 23, v17
	v_or3_b32 v8, v8, v48, v16
	v_cmp_ne_u32_e32 vcc, s85, v18
	v_cndmask_b32_e32 v16, v4, v8, vcc
.LBB2_7780:                             ;   in Loop: Header=BB2_7030 Depth=3
	s_or_b64 exec, exec, s[36:37]
	v_add_f32_e32 v8, v9, v16
	v_and_b32_e32 v48, 0x7f800000, v8
	v_mov_b32_e32 v49, v29
	v_cmp_ne_u64_e32 vcc, s[76:77], v[48:49]
                                        ; implicit-def: $vgpr16
	s_and_saveexec_b64 s[40:41], vcc
	s_xor_b64 s[36:37], exec, s[40:41]
	s_cbranch_execz .LBB2_7794
; %bb.7781:                             ;   in Loop: Header=BB2_7030 Depth=3
	v_and_b32_e32 v48, 0x7fffffff, v8
	v_mov_b32_e32 v49, v29
	v_cmp_gt_u64_e32 vcc, s[78:79], v[48:49]
	v_and_b32_sdwa v18, v8, s87 dst_sel:DWORD dst_unused:UNUSED_PAD src0_sel:BYTE_3 src1_sel:DWORD
                                        ; implicit-def: $vgpr16
	s_and_saveexec_b64 s[40:41], vcc
	s_xor_b64 s[38:39], exec, s[40:41]
	s_cbranch_execz .LBB2_7791
; %bb.7782:                             ;   in Loop: Header=BB2_7030 Depth=3
	v_mov_b32_e32 v16, 0
	v_cmp_ne_u32_e32 vcc, 0, v8
	s_and_saveexec_b64 s[48:49], vcc
	s_cbranch_execz .LBB2_7790
; %bb.7783:                             ;   in Loop: Header=BB2_7030 Depth=3
	v_bfe_u32 v16, v8, 23, 8
	v_and_b32_e32 v9, 0x7fffff, v8
	v_cmp_gt_u32_e64 s[40:41], s96, v16
	v_sub_u32_e32 v8, 0x79, v16
	v_cmp_eq_u32_e32 vcc, 0, v16
	v_cndmask_b32_e64 v8, 0, v8, s[40:41]
	v_or_b32_e32 v48, 0x800000, v9
	v_cndmask_b32_e32 v49, v8, v36, vcc
	v_cndmask_b32_e32 v8, v48, v9, vcc
	v_add_u32_e32 v48, 20, v49
	v_lshlrev_b64 v[53:54], v48, -1
	v_mov_b32_e32 v9, v29
	v_add_u32_e32 v48, 19, v49
	v_bfi_b32 v53, v53, 0, v8
	v_lshlrev_b64 v[46:47], v48, 1
	v_lshrrev_b64 v[8:9], v49, v[8:9]
	v_bfi_b32 v54, v54, 0, 0
	v_cmp_eq_u64_e64 s[40:41], v[53:54], v[46:47]
	v_mov_b32_e32 v47, v9
	v_mov_b32_e32 v46, v8
	s_and_saveexec_b64 s[50:51], s[40:41]
; %bb.7784:                             ;   in Loop: Header=BB2_7030 Depth=3
	v_bfe_u32 v9, v8, 20, 1
	v_add_co_u32_e64 v9, s[40:41], v8, v9
	v_add_co_u32_e64 v46, s[40:41], -1, v9
; %bb.7785:                             ;   in Loop: Header=BB2_7030 Depth=3
	s_or_b64 exec, exec, s[50:51]
	v_add_u32_e32 v9, 0xffffff81, v16
	v_cndmask_b32_e32 v9, v9, v37, vcc
	v_lshrrev_b32_e32 v16, 23, v8
	v_add3_u32 v55, v49, v9, v16
	v_add_u32_e32 v49, 6, v55
	v_and_b32_e32 v9, 0xfffff, v46
	v_add_u32_e32 v8, v9, v8
	v_mov_b32_e32 v9, v29
	v_cmp_ne_u32_e32 vcc, 0, v49
                                        ; implicit-def: $vgpr16
	s_and_saveexec_b64 s[40:41], vcc
	s_xor_b64 s[40:41], exec, s[40:41]
; %bb.7786:                             ;   in Loop: Header=BB2_7030 Depth=3
	v_cmp_lt_u64_e32 vcc, s[88:89], v[8:9]
	v_add_u32_e32 v16, 7, v55
	v_cndmask_b32_e64 v48, 0, 1, vcc
	v_cndmask_b32_e32 v16, v49, v16, vcc
	v_lshrrev_b64 v[8:9], v48, v[8:9]
; %bb.7787:                             ;   in Loop: Header=BB2_7030 Depth=3
	s_andn2_saveexec_b64 s[40:41], s[40:41]
; %bb.7788:                             ;   in Loop: Header=BB2_7030 Depth=3
	v_bfe_u32 v16, v8, 23, 1
; %bb.7789:                             ;   in Loop: Header=BB2_7030 Depth=3
	s_or_b64 exec, exec, s[40:41]
	v_lshrrev_b64 v[8:9], 20, v[8:9]
	v_cmp_gt_i32_e32 vcc, 16, v16
	v_cndmask_b32_e32 v9, 0, v9, vcc
	v_cndmask_b32_e32 v8, 7, v8, vcc
	v_cmp_eq_u64_e64 s[40:41], 0, v[8:9]
	v_min_i32_e32 v9, 15, v16
	v_lshlrev_b32_e32 v9, 3, v9
	v_cmp_eq_u32_e32 vcc, 0, v16
	v_and_b32_e32 v9, 0xf8, v9
	v_and_or_b32 v8, v8, 7, v9
	s_and_b64 s[40:41], vcc, s[40:41]
	v_cndmask_b32_e64 v8, v8, 0, s[40:41]
	v_or_b32_e32 v16, v8, v18
.LBB2_7790:                             ;   in Loop: Header=BB2_7030 Depth=3
	s_or_b64 exec, exec, s[48:49]
                                        ; implicit-def: $vgpr18
.LBB2_7791:                             ;   in Loop: Header=BB2_7030 Depth=3
	s_andn2_saveexec_b64 s[40:41], s[38:39]
; %bb.7792:                             ;   in Loop: Header=BB2_7030 Depth=3
	v_or_b32_e32 v16, 0x7e, v18
; %bb.7793:                             ;   in Loop: Header=BB2_7030 Depth=3
	s_or_b64 exec, exec, s[40:41]
                                        ; implicit-def: $vgpr8
.LBB2_7794:                             ;   in Loop: Header=BB2_7030 Depth=3
	s_andn2_saveexec_b64 s[40:41], s[36:37]
; %bb.7795:                             ;   in Loop: Header=BB2_7030 Depth=3
	v_or_b32_sdwa v16, v8, s85 dst_sel:DWORD dst_unused:UNUSED_PAD src0_sel:BYTE_3 src1_sel:DWORD
; %bb.7796:                             ;   in Loop: Header=BB2_7030 Depth=3
	s_or_b64 exec, exec, s[40:41]
	v_cmp_lt_u32_e32 vcc, s57, v28
	v_mov_b32_e32 v9, 0
	s_and_saveexec_b64 s[40:41], vcc
	s_cbranch_execz .LBB2_7802
; %bb.7797:                             ;   in Loop: Header=BB2_7030 Depth=3
	v_lshrrev_b32_e32 v8, 24, v28
	v_cmp_ne_u32_sdwa vcc, v28, s87 src0_sel:BYTE_3 src1_sel:DWORD
	v_bfrev_b32_e32 v9, 1
	s_and_saveexec_b64 s[36:37], vcc
	s_cbranch_execz .LBB2_7801
; %bb.7798:                             ;   in Loop: Header=BB2_7030 Depth=3
	v_bfe_u32 v18, v28, 24, 7
	v_cmp_ne_u32_e32 vcc, s85, v18
	v_mov_b32_e32 v9, 0x7f800001
	s_and_saveexec_b64 s[38:39], vcc
	s_cbranch_execz .LBB2_7800
; %bb.7799:                             ;   in Loop: Header=BB2_7030 Depth=3
	v_and_b32_e32 v48, 7, v8
	v_ffbh_u32_e32 v9, v48
	v_lshrrev_b32_e32 v49, 3, v18
	v_cmp_gt_u32_e32 vcc, 8, v18
	v_min_u32_e32 v18, 32, v9
	v_subrev_u32_e32 v9, 28, v18
	v_lshlrev_b64 v[8:9], v9, v[8:9]
	v_sub_u32_e32 v9, 29, v18
	v_and_b32_e32 v8, 7, v8
	v_mov_b32_e32 v18, 24
	v_cndmask_b32_e32 v9, v49, v9, vcc
	v_cndmask_b32_e32 v8, v48, v8, vcc
	v_lshlrev_b32_sdwa v18, v18, v28 dst_sel:DWORD dst_unused:UNUSED_PAD src0_sel:DWORD src1_sel:BYTE_3
	v_lshlrev_b32_e32 v8, 20, v8
	v_and_b32_e32 v18, 0x80000000, v18
	v_lshl_add_u32 v9, v9, 23, v17
	v_or3_b32 v9, v18, v9, v8
.LBB2_7800:                             ;   in Loop: Header=BB2_7030 Depth=3
	s_or_b64 exec, exec, s[38:39]
.LBB2_7801:                             ;   in Loop: Header=BB2_7030 Depth=3
	s_or_b64 exec, exec, s[36:37]
.LBB2_7802:                             ;   in Loop: Header=BB2_7030 Depth=3
	s_or_b64 exec, exec, s[40:41]
	v_bfe_u32 v18, v11, 24, 3
	v_ffbh_u32_e32 v48, v18
	v_min_u32_e32 v54, 32, v48
	v_lshrrev_b32_e32 v8, 24, v11
	v_subrev_u32_e32 v48, 28, v54
	v_lshlrev_b64 v[48:49], v48, v[8:9]
	v_bfe_u32 v28, v11, 24, 7
	v_bfe_u32 v53, v8, 3, 4
	v_sub_u32_e32 v49, 29, v54
	v_and_b32_e32 v48, 7, v48
	v_cmp_gt_u32_e32 vcc, 8, v28
	v_cndmask_b32_e32 v49, v53, v49, vcc
	v_cndmask_b32_e32 v18, v18, v48, vcc
	v_lshlrev_b32_e32 v18, 20, v18
	v_and_b32_e32 v48, 0x80000000, v11
	v_lshl_add_u32 v49, v49, 23, v17
	v_or3_b32 v18, v48, v49, v18
	v_cmp_ne_u32_e32 vcc, s85, v28
	v_cndmask_b32_e32 v18, v4, v18, vcc
	v_cmp_ne_u32_e32 vcc, s87, v8
	v_bfrev_b32_e32 v8, 1
	v_cndmask_b32_e32 v8, v8, v18, vcc
	v_cmp_lt_u64_e32 vcc, s[56:57], v[10:11]
	v_cndmask_b32_e32 v8, 0, v8, vcc
	v_add_f32_e32 v9, v8, v9
	v_and_b32_e32 v28, 0x7f800000, v9
	v_cmp_ne_u64_e32 vcc, s[76:77], v[28:29]
                                        ; implicit-def: $vgpr8
	s_and_saveexec_b64 s[40:41], vcc
	s_xor_b64 s[36:37], exec, s[40:41]
	s_cbranch_execz .LBB2_7816
; %bb.7803:                             ;   in Loop: Header=BB2_7030 Depth=3
	v_and_b32_e32 v28, 0x7fffffff, v9
	v_cmp_gt_u64_e32 vcc, s[78:79], v[28:29]
	v_and_b32_sdwa v11, v9, s87 dst_sel:DWORD dst_unused:UNUSED_PAD src0_sel:BYTE_3 src1_sel:DWORD
                                        ; implicit-def: $vgpr8
	s_and_saveexec_b64 s[40:41], vcc
	s_xor_b64 s[38:39], exec, s[40:41]
	s_cbranch_execz .LBB2_7813
; %bb.7804:                             ;   in Loop: Header=BB2_7030 Depth=3
	v_mov_b32_e32 v8, 0
	v_cmp_ne_u32_e32 vcc, 0, v9
	s_and_saveexec_b64 s[48:49], vcc
	s_cbranch_execz .LBB2_7812
; %bb.7805:                             ;   in Loop: Header=BB2_7030 Depth=3
	v_bfe_u32 v18, v9, 23, 8
	v_and_b32_e32 v8, 0x7fffff, v9
	v_cmp_gt_u32_e64 s[40:41], s96, v18
	v_sub_u32_e32 v9, 0x79, v18
	v_cmp_eq_u32_e32 vcc, 0, v18
	v_cndmask_b32_e64 v9, 0, v9, s[40:41]
	v_or_b32_e32 v10, 0x800000, v8
	v_cndmask_b32_e32 v49, v9, v36, vcc
	v_cndmask_b32_e32 v28, v10, v8, vcc
	v_add_u32_e32 v8, 20, v49
	v_lshlrev_b64 v[8:9], v8, -1
	v_add_u32_e32 v10, 19, v49
	v_lshlrev_b64 v[53:54], v10, 1
	v_bfi_b32 v9, v9, 0, 0
	v_bfi_b32 v8, v8, 0, v28
	v_cmp_eq_u64_e64 s[40:41], v[8:9], v[53:54]
	v_lshrrev_b64 v[8:9], v49, v[28:29]
	v_mov_b32_e32 v10, v9
	v_mov_b32_e32 v9, v8
	s_and_saveexec_b64 s[50:51], s[40:41]
; %bb.7806:                             ;   in Loop: Header=BB2_7030 Depth=3
	v_bfe_u32 v9, v8, 20, 1
	v_add_co_u32_e64 v9, s[40:41], v8, v9
	v_add_co_u32_e64 v9, s[40:41], -1, v9
; %bb.7807:                             ;   in Loop: Header=BB2_7030 Depth=3
	s_or_b64 exec, exec, s[50:51]
	v_add_u32_e32 v10, 0xffffff81, v18
	v_cndmask_b32_e32 v10, v10, v37, vcc
	v_lshrrev_b32_e32 v18, 23, v8
	v_add3_u32 v49, v49, v10, v18
	v_add_u32_e32 v18, 6, v49
	v_and_b32_e32 v9, 0xfffff, v9
	v_add_u32_e32 v28, v9, v8
	v_cmp_ne_u32_e32 vcc, 0, v18
                                        ; implicit-def: $vgpr8_vgpr9
                                        ; implicit-def: $vgpr10
	s_and_saveexec_b64 s[40:41], vcc
	s_xor_b64 s[40:41], exec, s[40:41]
; %bb.7808:                             ;   in Loop: Header=BB2_7030 Depth=3
	v_cmp_lt_u64_e32 vcc, s[88:89], v[28:29]
	v_add_u32_e32 v8, 7, v49
	v_cndmask_b32_e32 v10, v18, v8, vcc
	v_cndmask_b32_e64 v8, 0, 1, vcc
	v_lshrrev_b64 v[8:9], v8, v[28:29]
; %bb.7809:                             ;   in Loop: Header=BB2_7030 Depth=3
	s_andn2_saveexec_b64 s[40:41], s[40:41]
; %bb.7810:                             ;   in Loop: Header=BB2_7030 Depth=3
	v_mov_b32_e32 v8, v28
	v_bfe_u32 v10, v28, 23, 1
	v_mov_b32_e32 v9, v29
; %bb.7811:                             ;   in Loop: Header=BB2_7030 Depth=3
	s_or_b64 exec, exec, s[40:41]
	v_lshrrev_b64 v[8:9], 20, v[8:9]
	v_cmp_gt_i32_e32 vcc, 16, v10
	v_cndmask_b32_e32 v9, 0, v9, vcc
	v_cndmask_b32_e32 v8, 7, v8, vcc
	v_cmp_eq_u64_e64 s[40:41], 0, v[8:9]
	v_min_i32_e32 v9, 15, v10
	v_lshlrev_b32_e32 v9, 3, v9
	v_cmp_eq_u32_e32 vcc, 0, v10
	v_and_b32_e32 v9, 0xf8, v9
	v_and_or_b32 v8, v8, 7, v9
	s_and_b64 s[40:41], vcc, s[40:41]
	v_cndmask_b32_e64 v8, v8, 0, s[40:41]
	v_or_b32_e32 v8, v8, v11
.LBB2_7812:                             ;   in Loop: Header=BB2_7030 Depth=3
	s_or_b64 exec, exec, s[48:49]
                                        ; implicit-def: $vgpr11
.LBB2_7813:                             ;   in Loop: Header=BB2_7030 Depth=3
	s_andn2_saveexec_b64 s[40:41], s[38:39]
; %bb.7814:                             ;   in Loop: Header=BB2_7030 Depth=3
	v_or_b32_e32 v8, 0x7e, v11
; %bb.7815:                             ;   in Loop: Header=BB2_7030 Depth=3
	s_or_b64 exec, exec, s[40:41]
                                        ; implicit-def: $vgpr9
.LBB2_7816:                             ;   in Loop: Header=BB2_7030 Depth=3
	s_andn2_saveexec_b64 s[40:41], s[36:37]
	s_cbranch_execz .LBB2_7029
; %bb.7817:                             ;   in Loop: Header=BB2_7030 Depth=3
	v_or_b32_sdwa v8, v9, s85 dst_sel:DWORD dst_unused:UNUSED_PAD src0_sel:BYTE_3 src1_sel:DWORD
	s_branch .LBB2_7029
.LBB2_7818:                             ;   in Loop: Header=BB2_7030 Depth=3
	s_or_saveexec_b64 vcc, vcc
	v_bfrev_b32_e32 v2, 1
	s_xor_b64 exec, exec, vcc
	s_cbranch_execz .LBB2_7400
.LBB2_7819:                             ;   in Loop: Header=BB2_7030 Depth=3
	v_cmp_ne_u16_sdwa s[36:37], v8, v29 src0_sel:BYTE_0 src1_sel:DWORD
	s_andn2_b64 s[40:41], s[40:41], exec
	s_and_b64 s[36:37], s[36:37], exec
	v_mov_b32_e32 v2, 0
	s_or_b64 s[40:41], s[40:41], s[36:37]
	s_or_b64 exec, exec, vcc
	s_and_saveexec_b64 s[36:37], s[40:41]
	s_cbranch_execnz .LBB2_7401
	s_branch .LBB2_7402
.LBB2_7820:                             ;   in Loop: Header=BB2_7030 Depth=3
	s_or_saveexec_b64 s[36:37], s[36:37]
	v_bfrev_b32_e32 v6, 1
	s_xor_b64 exec, exec, s[36:37]
	s_cbranch_execz .LBB2_7428
.LBB2_7821:                             ;   in Loop: Header=BB2_7030 Depth=3
	v_cmp_ne_u16_e32 vcc, 0, v46
	s_andn2_b64 s[40:41], s[40:41], exec
	s_and_b64 vcc, vcc, exec
	v_mov_b32_e32 v6, 0
	s_or_b64 s[40:41], s[40:41], vcc
	s_or_b64 exec, exec, s[36:37]
	s_and_saveexec_b64 s[36:37], s[40:41]
	s_cbranch_execnz .LBB2_7429
	s_branch .LBB2_7430
.LBB2_7822:                             ;   in Loop: Header=BB2_7030 Depth=3
	s_or_saveexec_b64 vcc, vcc
	v_bfrev_b32_e32 v18, 1
	s_xor_b64 exec, exec, vcc
	s_cbranch_execz .LBB2_7456
.LBB2_7823:                             ;   in Loop: Header=BB2_7030 Depth=3
	v_cmp_ne_u16_sdwa s[36:37], v30, v29 src0_sel:BYTE_0 src1_sel:DWORD
	s_andn2_b64 s[40:41], s[40:41], exec
	s_and_b64 s[36:37], s[36:37], exec
	v_mov_b32_e32 v18, 0
	s_or_b64 s[40:41], s[40:41], s[36:37]
	s_or_b64 exec, exec, vcc
	s_and_saveexec_b64 s[36:37], s[40:41]
	s_cbranch_execnz .LBB2_7457
	s_branch .LBB2_7458
.LBB2_7824:                             ;   in Loop: Header=BB2_7030 Depth=3
	s_or_saveexec_b64 s[36:37], s[36:37]
	v_bfrev_b32_e32 v18, 1
	s_xor_b64 exec, exec, s[36:37]
	s_cbranch_execz .LBB2_7536
.LBB2_7825:                             ;   in Loop: Header=BB2_7030 Depth=3
	v_cmp_ne_u16_e32 vcc, 0, v46
	s_andn2_b64 s[40:41], s[40:41], exec
	s_and_b64 vcc, vcc, exec
	v_mov_b32_e32 v18, 0
	s_or_b64 s[40:41], s[40:41], vcc
	s_or_b64 exec, exec, s[36:37]
	s_and_saveexec_b64 s[36:37], s[40:41]
	s_cbranch_execnz .LBB2_7537
	s_branch .LBB2_7538
.LBB2_7826:                             ;   in Loop: Header=BB2_7030 Depth=3
	s_or_saveexec_b64 vcc, vcc
	v_bfrev_b32_e32 v51, 1
	s_xor_b64 exec, exec, vcc
	s_cbranch_execz .LBB2_7564
.LBB2_7827:                             ;   in Loop: Header=BB2_7030 Depth=3
	v_cmp_ne_u16_sdwa s[36:37], v30, v29 src0_sel:BYTE_0 src1_sel:DWORD
	s_andn2_b64 s[40:41], s[40:41], exec
	s_and_b64 s[36:37], s[36:37], exec
	v_mov_b32_e32 v51, 0
	s_or_b64 s[40:41], s[40:41], s[36:37]
	s_or_b64 exec, exec, vcc
	s_and_saveexec_b64 s[36:37], s[40:41]
	s_cbranch_execnz .LBB2_7565
	s_branch .LBB2_7566
.LBB2_7828:                             ;   in Loop: Header=BB2_7030 Depth=3
	s_or_saveexec_b64 vcc, vcc
	v_bfrev_b32_e32 v7, 1
	s_xor_b64 exec, exec, vcc
	s_cbranch_execz .LBB2_7614
.LBB2_7829:                             ;   in Loop: Header=BB2_7030 Depth=3
	v_cmp_ne_u16_sdwa s[36:37], v10, v29 src0_sel:BYTE_0 src1_sel:DWORD
	s_andn2_b64 s[40:41], s[40:41], exec
	s_and_b64 s[36:37], s[36:37], exec
	v_mov_b32_e32 v7, 0
	s_or_b64 s[40:41], s[40:41], s[36:37]
	s_or_b64 exec, exec, vcc
	s_and_saveexec_b64 s[36:37], s[40:41]
	s_cbranch_execnz .LBB2_7615
	s_branch .LBB2_7616
.LBB2_7830:                             ;   in Loop: Header=BB2_7030 Depth=3
	s_or_saveexec_b64 s[36:37], s[36:37]
	v_bfrev_b32_e32 v9, 1
	s_xor_b64 exec, exec, s[36:37]
	s_cbranch_execz .LBB2_7642
.LBB2_7831:                             ;   in Loop: Header=BB2_7030 Depth=3
	v_cmp_ne_u16_e32 vcc, 0, v8
	s_andn2_b64 s[40:41], s[40:41], exec
	s_and_b64 vcc, vcc, exec
	v_mov_b32_e32 v9, 0
	s_or_b64 s[40:41], s[40:41], vcc
	s_or_b64 exec, exec, s[36:37]
	s_and_saveexec_b64 s[36:37], s[40:41]
	s_cbranch_execnz .LBB2_7643
	s_branch .LBB2_7644
.LBB2_7832:                             ;   in Loop: Header=BB2_7030 Depth=3
	s_or_saveexec_b64 vcc, vcc
	v_bfrev_b32_e32 v18, 1
	s_xor_b64 exec, exec, vcc
	s_cbranch_execz .LBB2_7670
.LBB2_7833:                             ;   in Loop: Header=BB2_7030 Depth=3
	v_cmp_ne_u16_sdwa s[36:37], v8, v29 src0_sel:BYTE_0 src1_sel:DWORD
	s_andn2_b64 s[40:41], s[40:41], exec
	s_and_b64 s[36:37], s[36:37], exec
	v_mov_b32_e32 v18, 0
	s_or_b64 s[40:41], s[40:41], s[36:37]
	s_or_b64 exec, exec, vcc
	s_and_saveexec_b64 s[36:37], s[40:41]
	s_cbranch_execnz .LBB2_7671
	s_branch .LBB2_7672
.LBB2_7834:                             ;   in Loop: Header=BB2_7030 Depth=3
	s_or_saveexec_b64 s[36:37], s[36:37]
	v_bfrev_b32_e32 v5, 1
	s_xor_b64 exec, exec, s[36:37]
	s_cbranch_execz .LBB2_7750
.LBB2_7835:                             ;   in Loop: Header=BB2_7030 Depth=3
	v_cmp_ne_u16_e32 vcc, 0, v8
	s_andn2_b64 s[40:41], s[40:41], exec
	s_and_b64 vcc, vcc, exec
	v_mov_b32_e32 v5, 0
	s_or_b64 s[40:41], s[40:41], vcc
	s_or_b64 exec, exec, s[36:37]
	s_and_saveexec_b64 s[36:37], s[40:41]
	s_cbranch_execnz .LBB2_7751
	s_branch .LBB2_7752
.LBB2_7836:                             ;   in Loop: Header=BB2_7030 Depth=3
	s_or_saveexec_b64 vcc, vcc
	v_bfrev_b32_e32 v16, 1
	s_xor_b64 exec, exec, vcc
	s_cbranch_execz .LBB2_7778
.LBB2_7837:                             ;   in Loop: Header=BB2_7030 Depth=3
	v_cmp_ne_u16_sdwa s[36:37], v8, v29 src0_sel:BYTE_0 src1_sel:DWORD
	s_andn2_b64 s[40:41], s[40:41], exec
	s_and_b64 s[36:37], s[36:37], exec
	v_mov_b32_e32 v16, 0
	s_or_b64 s[40:41], s[40:41], s[36:37]
	s_or_b64 exec, exec, vcc
	s_and_saveexec_b64 s[36:37], s[40:41]
	s_cbranch_execnz .LBB2_7779
	s_branch .LBB2_7780
.LBB2_7838:                             ;   in Loop: Header=BB2_3957 Depth=2
	s_or_b64 exec, exec, s[34:35]
	buffer_load_dword v5, off, s[0:3], s33 offset:172 ; 4-byte Folded Reload
	buffer_load_dword v6, off, s[0:3], s33 offset:196 ; 4-byte Folded Reload
	;; [unrolled: 1-line block ×3, first 2 shown]
.LBB2_7839:                             ;   in Loop: Header=BB2_3957 Depth=2
	s_or_b64 exec, exec, s[30:31]
	v_and_b32_e32 v0, 15, v31
	v_cmp_lt_i32_e32 vcc, 0, v1
	v_sub_u32_e32 v2, v35, v0
	v_cndmask_b32_e64 v24, v35, v0, s[28:29]
	v_cndmask_b32_e32 v0, 0, v14, vcc
	v_cndmask_b32_e64 v2, 0, v2, s[28:29]
	v_sub_u32_e32 v0, v0, v1
	v_cmp_ne_u32_e32 vcc, 0, v24
	s_waitcnt vmcnt(0)
	v_add3_u32 v19, v7, v5, v2
	v_lshl_add_u32 v1, v0, 6, v6
	s_and_b64 s[30:31], vcc, exec
.LBB2_7840:                             ;   in Loop: Header=BB2_3957 Depth=2
	s_or_b64 exec, exec, s[42:43]
	s_and_saveexec_b64 s[40:41], s[30:31]
	s_cbranch_execz .LBB2_8381
.LBB2_7841:                             ;   in Loop: Header=BB2_3957 Depth=2
	s_waitcnt vmcnt(0)
	v_ashrrev_i32_e32 v0, 31, v1
	v_ashrrev_i32_e32 v3, 31, v24
	v_lshrrev_b32_e32 v0, 26, v0
	v_lshrrev_b32_e32 v3, 23, v3
	v_add_u32_e32 v2, v1, v0
	v_add_u32_e32 v3, v24, v3
	v_ashrrev_i32_e32 v0, 6, v2
	v_ashrrev_i32_e32 v25, 9, v3
	v_sub_u32_e32 v18, v25, v0
	v_cmp_lt_i32_e32 vcc, 0, v18
	s_and_saveexec_b64 s[42:43], vcc
	s_cbranch_execz .LBB2_8314
; %bb.7842:                             ;   in Loop: Header=BB2_3957 Depth=2
	v_and_b32_e32 v2, 0xffffffc0, v2
	v_sub_u32_e32 v2, v1, v2
	v_lshlrev_b32_e32 v3, 9, v0
	v_add3_u32 v5, v19, v2, v3
	s_trap 2
	ds_read_b64 v[2:3], v0
	buffer_load_dword v8, off, s[0:3], s33 offset:156 ; 4-byte Folded Reload
	buffer_load_dword v9, off, s[0:3], s33 offset:160 ; 4-byte Folded Reload
	v_ashrrev_i32_e32 v6, 31, v5
	s_mov_b64 s[30:31], 0
	s_waitcnt vmcnt(0)
	v_add_co_u32_e32 v8, vcc, v5, v8
	v_addc_co_u32_e32 v9, vcc, v6, v9, vcc
	s_waitcnt lgkmcnt(0)
	v_add_co_u32_e32 v10, vcc, v2, v5
	v_addc_co_u32_e32 v11, vcc, v3, v6, vcc
	buffer_load_dword v2, off, s[0:3], s33 offset:140 ; 4-byte Folded Reload
	buffer_load_dword v3, off, s[0:3], s33 offset:144 ; 4-byte Folded Reload
	s_waitcnt vmcnt(1)
	v_add_co_u32_e32 v2, vcc, 0x1c0, v2
	s_waitcnt vmcnt(0)
	v_addc_co_u32_e32 v3, vcc, 0, v3, vcc
	v_add_co_u32_e32 v51, vcc, v2, v5
	v_addc_co_u32_e32 v52, vcc, v3, v6, vcc
	s_branch .LBB2_7844
.LBB2_7843:                             ;   in Loop: Header=BB2_7844 Depth=3
	s_or_b64 exec, exec, s[28:29]
	v_add_co_u32_e32 v33, vcc, 0xfffffe40, v51
	v_addc_co_u32_e32 v34, vcc, -1, v52, vcc
	flat_store_byte v[33:34], v5 glc slc
	v_add_co_u32_e32 v33, vcc, 0xfffffe80, v51
	v_addc_co_u32_e32 v34, vcc, -1, v52, vcc
	flat_store_byte v[33:34], v30 glc slc
	;; [unrolled: 3-line block ×6, first 2 shown]
	v_add_co_u32_e32 v22, vcc, s97, v51
	v_addc_co_u32_e32 v23, vcc, -1, v52, vcc
	v_add_co_u32_e32 v8, vcc, v8, v32
	v_addc_co_u32_e32 v9, vcc, 0, v9, vcc
	v_add_co_u32_e32 v10, vcc, v10, v32
	v_addc_co_u32_e32 v11, vcc, 0, v11, vcc
	v_sub_u32_e32 v18, v18, v14
	v_cmp_gt_i32_e32 vcc, 1, v18
	flat_store_byte v[22:23], v6 glc slc
	flat_store_byte v[51:52], v3 glc slc
	s_or_b64 s[30:31], vcc, s[30:31]
	v_add_co_u32_e32 v51, vcc, v51, v32
	v_addc_co_u32_e32 v52, vcc, 0, v52, vcc
	s_andn2_b64 exec, exec, s[30:31]
	s_cbranch_execz .LBB2_8313
.LBB2_7844:                             ;   Parent Loop BB2_47 Depth=1
                                        ;     Parent Loop BB2_3957 Depth=2
                                        ; =>    This Inner Loop Header: Depth=3
	s_trap 2
	ds_read_b64 v[53:54], v0
	s_waitcnt lgkmcnt(0)
	v_cmp_eq_u32_sdwa s[44:45], v53, v29 src0_sel:BYTE_0 src1_sel:DWORD
	v_readfirstlane_b32 s28, v53
	v_readfirstlane_b32 s29, v54
	s_and_b64 vcc, exec, s[44:45]
	s_cbranch_vccnz .LBB2_7848
; %bb.7845:                             ;   in Loop: Header=BB2_7844 Depth=3
	v_cmp_eq_u32_sdwa vcc, v53, s87 src0_sel:BYTE_0 src1_sel:DWORD
	s_brev_b32 s44, 1
	s_and_b64 vcc, exec, vcc
	s_cbranch_vccnz .LBB2_7849
; %bb.7846:                             ;   in Loop: Header=BB2_7844 Depth=3
	s_and_b32 s45, s28, 0x7f
	s_cmpk_eq_i32 s45, 0x7f
	s_mov_b32 s44, 0x7f800001
	s_cbranch_scc1 .LBB2_7849
; %bb.7847:                             ;   in Loop: Header=BB2_7844 Depth=3
	s_and_b32 s44, s28, 7
	s_flbit_i32_b32 s44, s44
	s_min_u32 s44, s44, 32
	s_lshr_b32 vcc_lo, s45, 3
	s_sub_i32 vcc_hi, s44, 28
	s_sub_i32 s44, 29, s44
	s_cmp_lt_u32 s45, 8
	s_cselect_b32 vcc_lo, s44, vcc_lo
	s_cselect_b32 s44, vcc_hi, 0
	s_lshl_b64 s[44:45], s[28:29], s44
	s_lshl_b32 s29, s44, 20
	s_lshl_b32 s28, s28, 24
	s_lshl_b32 s44, vcc_lo, 23
	s_and_b32 s28, s28, 0x80000000
	s_add_i32 s44, s44, 0x3c000000
	s_and_b32 s29, s29, 0x700000
	s_or_b32 s28, s28, s44
	s_or_b32 s44, s28, s29
	s_branch .LBB2_7849
.LBB2_7848:                             ;   in Loop: Header=BB2_7844 Depth=3
	s_mov_b32 s44, 0
.LBB2_7849:                             ;   in Loop: Header=BB2_7844 Depth=3
	flat_load_ubyte v2, v[8:9] glc slc
	v_mov_b32_e32 v3, 0
	s_waitcnt vmcnt(0) lgkmcnt(0)
	v_cmp_ne_u16_e32 vcc, 0, v2
	s_and_saveexec_b64 s[28:29], vcc
	s_cbranch_execz .LBB2_7855
; %bb.7850:                             ;   in Loop: Header=BB2_7844 Depth=3
	v_cmp_ne_u16_e32 vcc, s87, v2
	v_bfrev_b32_e32 v3, 1
	s_and_saveexec_b64 s[34:35], vcc
	s_cbranch_execz .LBB2_7854
; %bb.7851:                             ;   in Loop: Header=BB2_7844 Depth=3
	v_and_b32_e32 v28, 0xffff, v2
	v_and_b32_e32 v5, 0x7f, v28
	v_cmp_ne_u32_e32 vcc, s85, v5
	v_mov_b32_e32 v3, 0x7f800001
	s_and_saveexec_b64 s[36:37], vcc
	s_cbranch_execz .LBB2_7853
; %bb.7852:                             ;   in Loop: Header=BB2_7844 Depth=3
	v_and_b32_e32 v3, 7, v28
	v_lshrrev_b32_e32 v7, 3, v5
	v_cmp_gt_u32_e32 vcc, 8, v5
	v_ffbh_u32_e32 v5, v3
	v_min_u32_e32 v16, 32, v5
	v_subrev_u32_e32 v5, 28, v16
	v_lshlrev_b64 v[5:6], v5, v[28:29]
	v_sub_u32_e32 v6, 29, v16
	v_and_b32_e32 v5, 7, v5
	v_cndmask_b32_e32 v6, v7, v6, vcc
	v_cndmask_b32_e32 v3, v3, v5, vcc
	v_lshlrev_b32_e32 v2, 24, v2
	v_lshlrev_b32_e32 v3, 20, v3
	v_and_b32_e32 v2, 0x80000000, v2
	v_lshl_add_u32 v5, v6, 23, v17
	v_or3_b32 v3, v2, v5, v3
.LBB2_7853:                             ;   in Loop: Header=BB2_7844 Depth=3
	s_or_b64 exec, exec, s[36:37]
.LBB2_7854:                             ;   in Loop: Header=BB2_7844 Depth=3
	s_or_b64 exec, exec, s[34:35]
.LBB2_7855:                             ;   in Loop: Header=BB2_7844 Depth=3
	s_or_b64 exec, exec, s[28:29]
	v_mul_f32_e32 v3, s44, v3
	v_and_b32_e32 v28, 0x7f800000, v3
	v_cmp_ne_u64_e32 vcc, s[76:77], v[28:29]
                                        ; implicit-def: $vgpr5
	s_and_saveexec_b64 s[28:29], vcc
	s_xor_b64 s[34:35], exec, s[28:29]
	s_cbranch_execz .LBB2_7873
; %bb.7856:                             ;   in Loop: Header=BB2_7844 Depth=3
	v_and_b32_e32 v28, 0x7fffffff, v3
	v_cmp_gt_u64_e32 vcc, s[78:79], v[28:29]
	v_and_b32_sdwa v2, v3, s87 dst_sel:DWORD dst_unused:UNUSED_PAD src0_sel:BYTE_3 src1_sel:DWORD
                                        ; implicit-def: $vgpr5
	s_and_saveexec_b64 s[28:29], vcc
	s_xor_b64 s[36:37], exec, s[28:29]
	s_cbranch_execz .LBB2_7870
; %bb.7857:                             ;   in Loop: Header=BB2_7844 Depth=3
	v_cmp_ne_u32_e32 vcc, 0, v3
	v_mov_b32_e32 v5, 0
	s_and_saveexec_b64 s[38:39], vcc
	s_cbranch_execz .LBB2_7869
; %bb.7858:                             ;   in Loop: Header=BB2_7844 Depth=3
	v_and_b32_e32 v6, 0x7fffff, v3
	v_bfe_u32 v3, v3, 23, 8
	v_cmp_gt_u32_e64 s[28:29], s96, v3
	v_sub_u32_e32 v5, 0x79, v3
	v_cmp_eq_u32_e32 vcc, 0, v3
	v_cndmask_b32_e64 v5, 0, v5, s[28:29]
	v_or_b32_e32 v7, 0x800000, v6
	v_cndmask_b32_e32 v5, v5, v36, vcc
	v_cndmask_b32_e32 v28, v7, v6, vcc
	v_add_u32_e32 v6, 20, v5
	v_lshlrev_b64 v[6:7], v6, -1
	v_add_u32_e32 v16, 19, v5
	v_lshlrev_b64 v[22:23], v16, 1
	v_lshrrev_b64 v[53:54], v5, v[28:29]
	v_bfi_b32 v7, v7, 0, 0
	v_bfi_b32 v6, v6, 0, v28
	v_cmp_eq_u64_e64 s[28:29], v[6:7], v[22:23]
	v_mov_b32_e32 v55, v54
	v_mov_b32_e32 v54, v53
	s_and_saveexec_b64 s[48:49], s[28:29]
; %bb.7859:                             ;   in Loop: Header=BB2_7844 Depth=3
	v_bfe_u32 v6, v53, 20, 1
	v_add_co_u32_e64 v6, s[28:29], v53, v6
	v_add_co_u32_e64 v54, s[28:29], -1, v6
; %bb.7860:                             ;   in Loop: Header=BB2_7844 Depth=3
	s_or_b64 exec, exec, s[48:49]
	v_add_u32_e32 v3, 0xffffff81, v3
	v_cndmask_b32_e32 v3, v3, v37, vcc
	v_lshrrev_b32_e32 v6, 23, v53
	v_add3_u32 v6, v5, v3, v6
	v_add_u32_e32 v5, 6, v6
	v_and_b32_e32 v3, 0xfffff, v54
	v_add_u32_e32 v28, v3, v53
	v_cmp_ne_u32_e32 vcc, 0, v5
                                        ; implicit-def: $vgpr53_vgpr54
                                        ; implicit-def: $vgpr3
	s_and_saveexec_b64 s[28:29], vcc
	s_xor_b64 s[28:29], exec, s[28:29]
; %bb.7861:                             ;   in Loop: Header=BB2_7844 Depth=3
	v_cmp_lt_u64_e32 vcc, s[88:89], v[28:29]
	v_add_u32_e32 v3, 7, v6
	v_cndmask_b32_e32 v3, v5, v3, vcc
	v_cndmask_b32_e64 v5, 0, 1, vcc
	v_lshrrev_b64 v[53:54], v5, v[28:29]
; %bb.7862:                             ;   in Loop: Header=BB2_7844 Depth=3
	s_andn2_saveexec_b64 s[28:29], s[28:29]
; %bb.7863:                             ;   in Loop: Header=BB2_7844 Depth=3
	v_mov_b32_e32 v54, v29
	v_bfe_u32 v3, v28, 23, 1
	v_mov_b32_e32 v53, v28
; %bb.7864:                             ;   in Loop: Header=BB2_7844 Depth=3
	s_or_b64 exec, exec, s[28:29]
	v_lshrrev_b64 v[5:6], 20, v[53:54]
	v_cmp_gt_i32_e32 vcc, 16, v3
	v_cndmask_b32_e32 v54, 0, v6, vcc
	v_cndmask_b32_e32 v53, 7, v5, vcc
	v_cmp_ne_u64_e32 vcc, 0, v[53:54]
	v_cmp_ne_u32_e64 s[28:29], 0, v3
	s_or_b64 s[28:29], s[28:29], vcc
                                        ; implicit-def: $vgpr5
	s_and_saveexec_b64 vcc, s[28:29]
	s_xor_b64 s[28:29], exec, vcc
; %bb.7865:                             ;   in Loop: Header=BB2_7844 Depth=3
	v_min_i32_e32 v3, 15, v3
	v_lshl_or_b32 v2, v3, 3, v2
	v_and_or_b32 v5, v53, 7, v2
                                        ; implicit-def: $vgpr2
; %bb.7866:                             ;   in Loop: Header=BB2_7844 Depth=3
	s_andn2_saveexec_b64 s[28:29], s[28:29]
; %bb.7867:                             ;   in Loop: Header=BB2_7844 Depth=3
	v_mov_b32_e32 v5, v2
; %bb.7868:                             ;   in Loop: Header=BB2_7844 Depth=3
	s_or_b64 exec, exec, s[28:29]
.LBB2_7869:                             ;   in Loop: Header=BB2_7844 Depth=3
	s_or_b64 exec, exec, s[38:39]
                                        ; implicit-def: $vgpr2
.LBB2_7870:                             ;   in Loop: Header=BB2_7844 Depth=3
	s_andn2_saveexec_b64 s[28:29], s[36:37]
; %bb.7871:                             ;   in Loop: Header=BB2_7844 Depth=3
	v_or_b32_e32 v5, 0x7e, v2
; %bb.7872:                             ;   in Loop: Header=BB2_7844 Depth=3
	s_or_b64 exec, exec, s[28:29]
                                        ; implicit-def: $vgpr3
.LBB2_7873:                             ;   in Loop: Header=BB2_7844 Depth=3
	s_andn2_saveexec_b64 s[28:29], s[34:35]
; %bb.7874:                             ;   in Loop: Header=BB2_7844 Depth=3
	v_or_b32_sdwa v5, v3, s85 dst_sel:DWORD dst_unused:UNUSED_PAD src0_sel:BYTE_3 src1_sel:DWORD
; %bb.7875:                             ;   in Loop: Header=BB2_7844 Depth=3
	s_or_b64 exec, exec, s[28:29]
	flat_load_ubyte v2, v[8:9] offset:64 glc slc
	v_mov_b32_e32 v3, 0
	s_waitcnt vmcnt(0) lgkmcnt(0)
	v_cmp_ne_u16_e32 vcc, 0, v2
	s_and_saveexec_b64 s[28:29], vcc
	s_cbranch_execz .LBB2_7881
; %bb.7876:                             ;   in Loop: Header=BB2_7844 Depth=3
	v_cmp_ne_u16_e32 vcc, s87, v2
	v_bfrev_b32_e32 v3, 1
	s_and_saveexec_b64 s[34:35], vcc
	s_cbranch_execz .LBB2_7880
; %bb.7877:                             ;   in Loop: Header=BB2_7844 Depth=3
	v_and_b32_e32 v28, 0xffff, v2
	v_and_b32_e32 v6, 0x7f, v28
	v_cmp_ne_u32_e32 vcc, s85, v6
	v_mov_b32_e32 v3, 0x7f800001
	s_and_saveexec_b64 s[36:37], vcc
	s_cbranch_execz .LBB2_7879
; %bb.7878:                             ;   in Loop: Header=BB2_7844 Depth=3
	v_and_b32_e32 v3, 7, v28
	v_lshrrev_b32_e32 v16, 3, v6
	v_cmp_gt_u32_e32 vcc, 8, v6
	v_ffbh_u32_e32 v6, v3
	v_min_u32_e32 v22, 32, v6
	v_subrev_u32_e32 v6, 28, v22
	v_lshlrev_b64 v[6:7], v6, v[28:29]
	v_sub_u32_e32 v7, 29, v22
	v_and_b32_e32 v6, 7, v6
	v_cndmask_b32_e32 v7, v16, v7, vcc
	v_cndmask_b32_e32 v3, v3, v6, vcc
	v_lshlrev_b32_e32 v2, 24, v2
	v_lshlrev_b32_e32 v3, 20, v3
	v_and_b32_e32 v2, 0x80000000, v2
	v_lshl_add_u32 v6, v7, 23, v17
	v_or3_b32 v3, v2, v6, v3
.LBB2_7879:                             ;   in Loop: Header=BB2_7844 Depth=3
	s_or_b64 exec, exec, s[36:37]
.LBB2_7880:                             ;   in Loop: Header=BB2_7844 Depth=3
	s_or_b64 exec, exec, s[34:35]
.LBB2_7881:                             ;   in Loop: Header=BB2_7844 Depth=3
	s_or_b64 exec, exec, s[28:29]
	v_mul_f32_e32 v3, s44, v3
	v_and_b32_e32 v28, 0x7f800000, v3
	v_cmp_ne_u64_e32 vcc, s[76:77], v[28:29]
                                        ; implicit-def: $vgpr30
	s_and_saveexec_b64 s[28:29], vcc
	s_xor_b64 s[34:35], exec, s[28:29]
	s_cbranch_execz .LBB2_7899
; %bb.7882:                             ;   in Loop: Header=BB2_7844 Depth=3
	v_and_b32_e32 v28, 0x7fffffff, v3
	v_cmp_gt_u64_e32 vcc, s[78:79], v[28:29]
	v_and_b32_sdwa v2, v3, s87 dst_sel:DWORD dst_unused:UNUSED_PAD src0_sel:BYTE_3 src1_sel:DWORD
                                        ; implicit-def: $vgpr30
	s_and_saveexec_b64 s[28:29], vcc
	s_xor_b64 s[36:37], exec, s[28:29]
	s_cbranch_execz .LBB2_7896
; %bb.7883:                             ;   in Loop: Header=BB2_7844 Depth=3
	v_cmp_ne_u32_e32 vcc, 0, v3
	v_mov_b32_e32 v30, 0
	s_and_saveexec_b64 s[38:39], vcc
	s_cbranch_execz .LBB2_7895
; %bb.7884:                             ;   in Loop: Header=BB2_7844 Depth=3
	v_and_b32_e32 v7, 0x7fffff, v3
	v_bfe_u32 v3, v3, 23, 8
	v_cmp_gt_u32_e64 s[28:29], s96, v3
	v_sub_u32_e32 v6, 0x79, v3
	v_cmp_eq_u32_e32 vcc, 0, v3
	v_cndmask_b32_e64 v6, 0, v6, s[28:29]
	v_or_b32_e32 v16, 0x800000, v7
	v_cndmask_b32_e32 v6, v6, v36, vcc
	v_cndmask_b32_e32 v28, v16, v7, vcc
	v_add_u32_e32 v7, 20, v6
	v_lshlrev_b64 v[22:23], v7, -1
	v_add_u32_e32 v7, 19, v6
	v_lshlrev_b64 v[30:31], v7, 1
	v_lshrrev_b64 v[53:54], v6, v[28:29]
	v_bfi_b32 v23, v23, 0, 0
	v_bfi_b32 v22, v22, 0, v28
	v_cmp_eq_u64_e64 s[28:29], v[22:23], v[30:31]
	v_mov_b32_e32 v55, v54
	v_mov_b32_e32 v54, v53
	s_and_saveexec_b64 s[48:49], s[28:29]
; %bb.7885:                             ;   in Loop: Header=BB2_7844 Depth=3
	v_bfe_u32 v7, v53, 20, 1
	v_add_co_u32_e64 v7, s[28:29], v53, v7
	v_add_co_u32_e64 v54, s[28:29], -1, v7
; %bb.7886:                             ;   in Loop: Header=BB2_7844 Depth=3
	s_or_b64 exec, exec, s[48:49]
	v_add_u32_e32 v3, 0xffffff81, v3
	v_cndmask_b32_e32 v3, v3, v37, vcc
	v_lshrrev_b32_e32 v7, 23, v53
	v_add3_u32 v7, v6, v3, v7
	v_add_u32_e32 v6, 6, v7
	v_and_b32_e32 v3, 0xfffff, v54
	v_add_u32_e32 v28, v3, v53
	v_cmp_ne_u32_e32 vcc, 0, v6
                                        ; implicit-def: $vgpr53_vgpr54
                                        ; implicit-def: $vgpr3
	s_and_saveexec_b64 s[28:29], vcc
	s_xor_b64 s[28:29], exec, s[28:29]
; %bb.7887:                             ;   in Loop: Header=BB2_7844 Depth=3
	v_cmp_lt_u64_e32 vcc, s[88:89], v[28:29]
	v_add_u32_e32 v3, 7, v7
	v_cndmask_b32_e32 v3, v6, v3, vcc
	v_cndmask_b32_e64 v6, 0, 1, vcc
	v_lshrrev_b64 v[53:54], v6, v[28:29]
; %bb.7888:                             ;   in Loop: Header=BB2_7844 Depth=3
	s_andn2_saveexec_b64 s[28:29], s[28:29]
; %bb.7889:                             ;   in Loop: Header=BB2_7844 Depth=3
	v_mov_b32_e32 v54, v29
	v_bfe_u32 v3, v28, 23, 1
	v_mov_b32_e32 v53, v28
; %bb.7890:                             ;   in Loop: Header=BB2_7844 Depth=3
	s_or_b64 exec, exec, s[28:29]
	v_lshrrev_b64 v[6:7], 20, v[53:54]
	v_cmp_gt_i32_e32 vcc, 16, v3
	v_cndmask_b32_e32 v54, 0, v7, vcc
	v_cndmask_b32_e32 v53, 7, v6, vcc
	v_cmp_ne_u64_e32 vcc, 0, v[53:54]
	v_cmp_ne_u32_e64 s[28:29], 0, v3
	s_or_b64 s[28:29], s[28:29], vcc
                                        ; implicit-def: $vgpr30
	s_and_saveexec_b64 vcc, s[28:29]
	s_xor_b64 s[28:29], exec, vcc
; %bb.7891:                             ;   in Loop: Header=BB2_7844 Depth=3
	v_min_i32_e32 v3, 15, v3
	v_lshl_or_b32 v2, v3, 3, v2
	v_and_or_b32 v30, v53, 7, v2
                                        ; implicit-def: $vgpr2
; %bb.7892:                             ;   in Loop: Header=BB2_7844 Depth=3
	s_andn2_saveexec_b64 s[28:29], s[28:29]
; %bb.7893:                             ;   in Loop: Header=BB2_7844 Depth=3
	v_mov_b32_e32 v30, v2
; %bb.7894:                             ;   in Loop: Header=BB2_7844 Depth=3
	s_or_b64 exec, exec, s[28:29]
.LBB2_7895:                             ;   in Loop: Header=BB2_7844 Depth=3
	s_or_b64 exec, exec, s[38:39]
                                        ; implicit-def: $vgpr2
.LBB2_7896:                             ;   in Loop: Header=BB2_7844 Depth=3
	s_andn2_saveexec_b64 s[28:29], s[36:37]
; %bb.7897:                             ;   in Loop: Header=BB2_7844 Depth=3
	v_or_b32_e32 v30, 0x7e, v2
; %bb.7898:                             ;   in Loop: Header=BB2_7844 Depth=3
	s_or_b64 exec, exec, s[28:29]
                                        ; implicit-def: $vgpr3
.LBB2_7899:                             ;   in Loop: Header=BB2_7844 Depth=3
	s_andn2_saveexec_b64 s[28:29], s[34:35]
; %bb.7900:                             ;   in Loop: Header=BB2_7844 Depth=3
	v_or_b32_sdwa v30, v3, s85 dst_sel:DWORD dst_unused:UNUSED_PAD src0_sel:BYTE_3 src1_sel:DWORD
; %bb.7901:                             ;   in Loop: Header=BB2_7844 Depth=3
	s_or_b64 exec, exec, s[28:29]
	flat_load_ubyte v2, v[8:9] offset:128 glc slc
	v_mov_b32_e32 v3, 0
	s_waitcnt vmcnt(0) lgkmcnt(0)
	v_cmp_ne_u16_e32 vcc, 0, v2
	s_and_saveexec_b64 s[28:29], vcc
	s_cbranch_execz .LBB2_7907
; %bb.7902:                             ;   in Loop: Header=BB2_7844 Depth=3
	v_cmp_ne_u16_e32 vcc, s87, v2
	v_bfrev_b32_e32 v3, 1
	s_and_saveexec_b64 s[34:35], vcc
	s_cbranch_execz .LBB2_7906
; %bb.7903:                             ;   in Loop: Header=BB2_7844 Depth=3
	v_and_b32_e32 v28, 0xffff, v2
	v_and_b32_e32 v6, 0x7f, v28
	v_cmp_ne_u32_e32 vcc, s85, v6
	v_mov_b32_e32 v3, 0x7f800001
	s_and_saveexec_b64 s[36:37], vcc
	s_cbranch_execz .LBB2_7905
; %bb.7904:                             ;   in Loop: Header=BB2_7844 Depth=3
	v_and_b32_e32 v3, 7, v28
	v_lshrrev_b32_e32 v16, 3, v6
	v_cmp_gt_u32_e32 vcc, 8, v6
	v_ffbh_u32_e32 v6, v3
	v_min_u32_e32 v22, 32, v6
	v_subrev_u32_e32 v6, 28, v22
	v_lshlrev_b64 v[6:7], v6, v[28:29]
	v_sub_u32_e32 v7, 29, v22
	v_and_b32_e32 v6, 7, v6
	v_cndmask_b32_e32 v7, v16, v7, vcc
	v_cndmask_b32_e32 v3, v3, v6, vcc
	v_lshlrev_b32_e32 v2, 24, v2
	v_lshlrev_b32_e32 v3, 20, v3
	v_and_b32_e32 v2, 0x80000000, v2
	v_lshl_add_u32 v6, v7, 23, v17
	v_or3_b32 v3, v2, v6, v3
.LBB2_7905:                             ;   in Loop: Header=BB2_7844 Depth=3
	s_or_b64 exec, exec, s[36:37]
.LBB2_7906:                             ;   in Loop: Header=BB2_7844 Depth=3
	s_or_b64 exec, exec, s[34:35]
.LBB2_7907:                             ;   in Loop: Header=BB2_7844 Depth=3
	s_or_b64 exec, exec, s[28:29]
	v_mul_f32_e32 v3, s44, v3
	v_and_b32_e32 v28, 0x7f800000, v3
	v_cmp_ne_u64_e32 vcc, s[76:77], v[28:29]
                                        ; implicit-def: $vgpr23
	s_and_saveexec_b64 s[28:29], vcc
	s_xor_b64 s[34:35], exec, s[28:29]
	s_cbranch_execz .LBB2_7925
; %bb.7908:                             ;   in Loop: Header=BB2_7844 Depth=3
	v_and_b32_e32 v28, 0x7fffffff, v3
	v_cmp_gt_u64_e32 vcc, s[78:79], v[28:29]
	v_and_b32_sdwa v2, v3, s87 dst_sel:DWORD dst_unused:UNUSED_PAD src0_sel:BYTE_3 src1_sel:DWORD
                                        ; implicit-def: $vgpr23
	s_and_saveexec_b64 s[28:29], vcc
	s_xor_b64 s[36:37], exec, s[28:29]
	s_cbranch_execz .LBB2_7922
; %bb.7909:                             ;   in Loop: Header=BB2_7844 Depth=3
	v_cmp_ne_u32_e32 vcc, 0, v3
	v_mov_b32_e32 v23, 0
	s_and_saveexec_b64 s[38:39], vcc
	s_cbranch_execz .LBB2_7921
; %bb.7910:                             ;   in Loop: Header=BB2_7844 Depth=3
	v_and_b32_e32 v7, 0x7fffff, v3
	v_bfe_u32 v3, v3, 23, 8
	v_cmp_gt_u32_e64 s[28:29], s96, v3
	v_sub_u32_e32 v6, 0x79, v3
	v_cmp_eq_u32_e32 vcc, 0, v3
	v_cndmask_b32_e64 v6, 0, v6, s[28:29]
	v_or_b32_e32 v16, 0x800000, v7
	v_cndmask_b32_e32 v6, v6, v36, vcc
	v_cndmask_b32_e32 v28, v16, v7, vcc
	v_add_u32_e32 v7, 20, v6
	v_lshlrev_b64 v[22:23], v7, -1
	v_add_u32_e32 v7, 19, v6
	v_lshlrev_b64 v[33:34], v7, 1
	v_lshrrev_b64 v[53:54], v6, v[28:29]
	v_bfi_b32 v23, v23, 0, 0
	v_bfi_b32 v22, v22, 0, v28
	v_cmp_eq_u64_e64 s[28:29], v[22:23], v[33:34]
	v_mov_b32_e32 v55, v54
	v_mov_b32_e32 v54, v53
	s_and_saveexec_b64 s[48:49], s[28:29]
; %bb.7911:                             ;   in Loop: Header=BB2_7844 Depth=3
	v_bfe_u32 v7, v53, 20, 1
	v_add_co_u32_e64 v7, s[28:29], v53, v7
	v_add_co_u32_e64 v54, s[28:29], -1, v7
; %bb.7912:                             ;   in Loop: Header=BB2_7844 Depth=3
	s_or_b64 exec, exec, s[48:49]
	v_add_u32_e32 v3, 0xffffff81, v3
	v_cndmask_b32_e32 v3, v3, v37, vcc
	v_lshrrev_b32_e32 v7, 23, v53
	v_add3_u32 v7, v6, v3, v7
	v_add_u32_e32 v6, 6, v7
	v_and_b32_e32 v3, 0xfffff, v54
	v_add_u32_e32 v28, v3, v53
	v_cmp_ne_u32_e32 vcc, 0, v6
                                        ; implicit-def: $vgpr53_vgpr54
                                        ; implicit-def: $vgpr3
	s_and_saveexec_b64 s[28:29], vcc
	s_xor_b64 s[28:29], exec, s[28:29]
; %bb.7913:                             ;   in Loop: Header=BB2_7844 Depth=3
	v_cmp_lt_u64_e32 vcc, s[88:89], v[28:29]
	v_add_u32_e32 v3, 7, v7
	v_cndmask_b32_e32 v3, v6, v3, vcc
	v_cndmask_b32_e64 v6, 0, 1, vcc
	v_lshrrev_b64 v[53:54], v6, v[28:29]
; %bb.7914:                             ;   in Loop: Header=BB2_7844 Depth=3
	s_andn2_saveexec_b64 s[28:29], s[28:29]
; %bb.7915:                             ;   in Loop: Header=BB2_7844 Depth=3
	v_mov_b32_e32 v54, v29
	v_bfe_u32 v3, v28, 23, 1
	v_mov_b32_e32 v53, v28
; %bb.7916:                             ;   in Loop: Header=BB2_7844 Depth=3
	s_or_b64 exec, exec, s[28:29]
	v_lshrrev_b64 v[6:7], 20, v[53:54]
	v_cmp_gt_i32_e32 vcc, 16, v3
	v_cndmask_b32_e32 v54, 0, v7, vcc
	v_cndmask_b32_e32 v53, 7, v6, vcc
	v_cmp_ne_u64_e32 vcc, 0, v[53:54]
	v_cmp_ne_u32_e64 s[28:29], 0, v3
	s_or_b64 s[28:29], s[28:29], vcc
                                        ; implicit-def: $vgpr23
	s_and_saveexec_b64 vcc, s[28:29]
	s_xor_b64 s[28:29], exec, vcc
; %bb.7917:                             ;   in Loop: Header=BB2_7844 Depth=3
	v_min_i32_e32 v3, 15, v3
	v_lshl_or_b32 v2, v3, 3, v2
	v_and_or_b32 v23, v53, 7, v2
                                        ; implicit-def: $vgpr2
; %bb.7918:                             ;   in Loop: Header=BB2_7844 Depth=3
	s_andn2_saveexec_b64 s[28:29], s[28:29]
; %bb.7919:                             ;   in Loop: Header=BB2_7844 Depth=3
	v_mov_b32_e32 v23, v2
; %bb.7920:                             ;   in Loop: Header=BB2_7844 Depth=3
	s_or_b64 exec, exec, s[28:29]
.LBB2_7921:                             ;   in Loop: Header=BB2_7844 Depth=3
	s_or_b64 exec, exec, s[38:39]
                                        ; implicit-def: $vgpr2
.LBB2_7922:                             ;   in Loop: Header=BB2_7844 Depth=3
	s_andn2_saveexec_b64 s[28:29], s[36:37]
; %bb.7923:                             ;   in Loop: Header=BB2_7844 Depth=3
	v_or_b32_e32 v23, 0x7e, v2
; %bb.7924:                             ;   in Loop: Header=BB2_7844 Depth=3
	s_or_b64 exec, exec, s[28:29]
                                        ; implicit-def: $vgpr3
.LBB2_7925:                             ;   in Loop: Header=BB2_7844 Depth=3
	s_andn2_saveexec_b64 s[28:29], s[34:35]
; %bb.7926:                             ;   in Loop: Header=BB2_7844 Depth=3
	v_or_b32_sdwa v23, v3, s85 dst_sel:DWORD dst_unused:UNUSED_PAD src0_sel:BYTE_3 src1_sel:DWORD
; %bb.7927:                             ;   in Loop: Header=BB2_7844 Depth=3
	s_or_b64 exec, exec, s[28:29]
	flat_load_ubyte v2, v[8:9] offset:192 glc slc
	v_mov_b32_e32 v3, 0
	s_waitcnt vmcnt(0) lgkmcnt(0)
	v_cmp_ne_u16_e32 vcc, 0, v2
	s_and_saveexec_b64 s[28:29], vcc
	s_cbranch_execz .LBB2_7933
; %bb.7928:                             ;   in Loop: Header=BB2_7844 Depth=3
	v_cmp_ne_u16_e32 vcc, s87, v2
	v_bfrev_b32_e32 v3, 1
	s_and_saveexec_b64 s[34:35], vcc
	s_cbranch_execz .LBB2_7932
; %bb.7929:                             ;   in Loop: Header=BB2_7844 Depth=3
	v_and_b32_e32 v28, 0xffff, v2
	v_and_b32_e32 v6, 0x7f, v28
	v_cmp_ne_u32_e32 vcc, s85, v6
	v_mov_b32_e32 v3, 0x7f800001
	s_and_saveexec_b64 s[36:37], vcc
	s_cbranch_execz .LBB2_7931
; %bb.7930:                             ;   in Loop: Header=BB2_7844 Depth=3
	v_and_b32_e32 v3, 7, v28
	v_lshrrev_b32_e32 v16, 3, v6
	v_cmp_gt_u32_e32 vcc, 8, v6
	v_ffbh_u32_e32 v6, v3
	v_min_u32_e32 v22, 32, v6
	v_subrev_u32_e32 v6, 28, v22
	v_lshlrev_b64 v[6:7], v6, v[28:29]
	v_sub_u32_e32 v7, 29, v22
	v_and_b32_e32 v6, 7, v6
	v_cndmask_b32_e32 v7, v16, v7, vcc
	v_cndmask_b32_e32 v3, v3, v6, vcc
	v_lshlrev_b32_e32 v2, 24, v2
	v_lshlrev_b32_e32 v3, 20, v3
	v_and_b32_e32 v2, 0x80000000, v2
	v_lshl_add_u32 v6, v7, 23, v17
	v_or3_b32 v3, v2, v6, v3
.LBB2_7931:                             ;   in Loop: Header=BB2_7844 Depth=3
	s_or_b64 exec, exec, s[36:37]
.LBB2_7932:                             ;   in Loop: Header=BB2_7844 Depth=3
	s_or_b64 exec, exec, s[34:35]
.LBB2_7933:                             ;   in Loop: Header=BB2_7844 Depth=3
	s_or_b64 exec, exec, s[28:29]
	v_mul_f32_e32 v3, s44, v3
	v_and_b32_e32 v28, 0x7f800000, v3
	v_cmp_ne_u64_e32 vcc, s[76:77], v[28:29]
                                        ; implicit-def: $vgpr22
	s_and_saveexec_b64 s[28:29], vcc
	s_xor_b64 s[34:35], exec, s[28:29]
	s_cbranch_execz .LBB2_7951
; %bb.7934:                             ;   in Loop: Header=BB2_7844 Depth=3
	v_and_b32_e32 v28, 0x7fffffff, v3
	v_cmp_gt_u64_e32 vcc, s[78:79], v[28:29]
	v_and_b32_sdwa v2, v3, s87 dst_sel:DWORD dst_unused:UNUSED_PAD src0_sel:BYTE_3 src1_sel:DWORD
                                        ; implicit-def: $vgpr22
	s_and_saveexec_b64 s[28:29], vcc
	s_xor_b64 s[36:37], exec, s[28:29]
	s_cbranch_execz .LBB2_7948
; %bb.7935:                             ;   in Loop: Header=BB2_7844 Depth=3
	v_cmp_ne_u32_e32 vcc, 0, v3
	v_mov_b32_e32 v22, 0
	s_and_saveexec_b64 s[38:39], vcc
	s_cbranch_execz .LBB2_7947
; %bb.7936:                             ;   in Loop: Header=BB2_7844 Depth=3
	v_and_b32_e32 v7, 0x7fffff, v3
	v_bfe_u32 v3, v3, 23, 8
	v_cmp_gt_u32_e64 s[28:29], s96, v3
	v_sub_u32_e32 v6, 0x79, v3
	v_cmp_eq_u32_e32 vcc, 0, v3
	v_cndmask_b32_e64 v6, 0, v6, s[28:29]
	v_or_b32_e32 v16, 0x800000, v7
	v_cndmask_b32_e32 v6, v6, v36, vcc
	v_cndmask_b32_e32 v28, v16, v7, vcc
	v_add_u32_e32 v7, 20, v6
	v_lshlrev_b64 v[33:34], v7, -1
	v_add_u32_e32 v7, 19, v6
	v_lshlrev_b64 v[48:49], v7, 1
	v_lshrrev_b64 v[53:54], v6, v[28:29]
	v_bfi_b32 v34, v34, 0, 0
	v_bfi_b32 v33, v33, 0, v28
	v_cmp_eq_u64_e64 s[28:29], v[33:34], v[48:49]
	v_mov_b32_e32 v55, v54
	v_mov_b32_e32 v54, v53
	s_and_saveexec_b64 s[48:49], s[28:29]
; %bb.7937:                             ;   in Loop: Header=BB2_7844 Depth=3
	v_bfe_u32 v7, v53, 20, 1
	v_add_co_u32_e64 v7, s[28:29], v53, v7
	v_add_co_u32_e64 v54, s[28:29], -1, v7
; %bb.7938:                             ;   in Loop: Header=BB2_7844 Depth=3
	s_or_b64 exec, exec, s[48:49]
	v_add_u32_e32 v3, 0xffffff81, v3
	v_cndmask_b32_e32 v3, v3, v37, vcc
	v_lshrrev_b32_e32 v7, 23, v53
	v_add3_u32 v7, v6, v3, v7
	v_add_u32_e32 v6, 6, v7
	v_and_b32_e32 v3, 0xfffff, v54
	v_add_u32_e32 v28, v3, v53
	v_cmp_ne_u32_e32 vcc, 0, v6
                                        ; implicit-def: $vgpr53_vgpr54
                                        ; implicit-def: $vgpr3
	s_and_saveexec_b64 s[28:29], vcc
	s_xor_b64 s[28:29], exec, s[28:29]
; %bb.7939:                             ;   in Loop: Header=BB2_7844 Depth=3
	v_cmp_lt_u64_e32 vcc, s[88:89], v[28:29]
	v_add_u32_e32 v3, 7, v7
	v_cndmask_b32_e32 v3, v6, v3, vcc
	v_cndmask_b32_e64 v6, 0, 1, vcc
	v_lshrrev_b64 v[53:54], v6, v[28:29]
; %bb.7940:                             ;   in Loop: Header=BB2_7844 Depth=3
	s_andn2_saveexec_b64 s[28:29], s[28:29]
; %bb.7941:                             ;   in Loop: Header=BB2_7844 Depth=3
	v_mov_b32_e32 v54, v29
	v_bfe_u32 v3, v28, 23, 1
	v_mov_b32_e32 v53, v28
; %bb.7942:                             ;   in Loop: Header=BB2_7844 Depth=3
	s_or_b64 exec, exec, s[28:29]
	v_lshrrev_b64 v[6:7], 20, v[53:54]
	v_cmp_gt_i32_e32 vcc, 16, v3
	v_cndmask_b32_e32 v54, 0, v7, vcc
	v_cndmask_b32_e32 v53, 7, v6, vcc
	v_cmp_ne_u64_e32 vcc, 0, v[53:54]
	v_cmp_ne_u32_e64 s[28:29], 0, v3
	s_or_b64 s[28:29], s[28:29], vcc
                                        ; implicit-def: $vgpr22
	s_and_saveexec_b64 vcc, s[28:29]
	s_xor_b64 s[28:29], exec, vcc
; %bb.7943:                             ;   in Loop: Header=BB2_7844 Depth=3
	v_min_i32_e32 v3, 15, v3
	v_lshl_or_b32 v2, v3, 3, v2
	v_and_or_b32 v22, v53, 7, v2
                                        ; implicit-def: $vgpr2
; %bb.7944:                             ;   in Loop: Header=BB2_7844 Depth=3
	s_andn2_saveexec_b64 s[28:29], s[28:29]
; %bb.7945:                             ;   in Loop: Header=BB2_7844 Depth=3
	v_mov_b32_e32 v22, v2
; %bb.7946:                             ;   in Loop: Header=BB2_7844 Depth=3
	s_or_b64 exec, exec, s[28:29]
.LBB2_7947:                             ;   in Loop: Header=BB2_7844 Depth=3
	s_or_b64 exec, exec, s[38:39]
                                        ; implicit-def: $vgpr2
.LBB2_7948:                             ;   in Loop: Header=BB2_7844 Depth=3
	s_andn2_saveexec_b64 s[28:29], s[36:37]
; %bb.7949:                             ;   in Loop: Header=BB2_7844 Depth=3
	v_or_b32_e32 v22, 0x7e, v2
; %bb.7950:                             ;   in Loop: Header=BB2_7844 Depth=3
	s_or_b64 exec, exec, s[28:29]
                                        ; implicit-def: $vgpr3
.LBB2_7951:                             ;   in Loop: Header=BB2_7844 Depth=3
	s_andn2_saveexec_b64 s[28:29], s[34:35]
; %bb.7952:                             ;   in Loop: Header=BB2_7844 Depth=3
	v_or_b32_sdwa v22, v3, s85 dst_sel:DWORD dst_unused:UNUSED_PAD src0_sel:BYTE_3 src1_sel:DWORD
; %bb.7953:                             ;   in Loop: Header=BB2_7844 Depth=3
	s_or_b64 exec, exec, s[28:29]
	flat_load_ubyte v2, v[8:9] offset:256 glc slc
	v_mov_b32_e32 v3, 0
	s_waitcnt vmcnt(0) lgkmcnt(0)
	v_cmp_ne_u16_e32 vcc, 0, v2
	s_and_saveexec_b64 s[28:29], vcc
	s_cbranch_execz .LBB2_7959
; %bb.7954:                             ;   in Loop: Header=BB2_7844 Depth=3
	v_cmp_ne_u16_e32 vcc, s87, v2
	v_bfrev_b32_e32 v3, 1
	s_and_saveexec_b64 s[34:35], vcc
	s_cbranch_execz .LBB2_7958
; %bb.7955:                             ;   in Loop: Header=BB2_7844 Depth=3
	v_and_b32_e32 v28, 0xffff, v2
	v_and_b32_e32 v6, 0x7f, v28
	v_cmp_ne_u32_e32 vcc, s85, v6
	v_mov_b32_e32 v3, 0x7f800001
	s_and_saveexec_b64 s[36:37], vcc
	s_cbranch_execz .LBB2_7957
; %bb.7956:                             ;   in Loop: Header=BB2_7844 Depth=3
	v_and_b32_e32 v3, 7, v28
	v_lshrrev_b32_e32 v16, 3, v6
	v_cmp_gt_u32_e32 vcc, 8, v6
	v_ffbh_u32_e32 v6, v3
	v_min_u32_e32 v31, 32, v6
	v_subrev_u32_e32 v6, 28, v31
	v_lshlrev_b64 v[6:7], v6, v[28:29]
	v_sub_u32_e32 v7, 29, v31
	v_and_b32_e32 v6, 7, v6
	v_cndmask_b32_e32 v7, v16, v7, vcc
	v_cndmask_b32_e32 v3, v3, v6, vcc
	v_lshlrev_b32_e32 v2, 24, v2
	v_lshlrev_b32_e32 v3, 20, v3
	v_and_b32_e32 v2, 0x80000000, v2
	v_lshl_add_u32 v6, v7, 23, v17
	v_or3_b32 v3, v2, v6, v3
.LBB2_7957:                             ;   in Loop: Header=BB2_7844 Depth=3
	s_or_b64 exec, exec, s[36:37]
.LBB2_7958:                             ;   in Loop: Header=BB2_7844 Depth=3
	s_or_b64 exec, exec, s[34:35]
.LBB2_7959:                             ;   in Loop: Header=BB2_7844 Depth=3
	s_or_b64 exec, exec, s[28:29]
	v_mul_f32_e32 v3, s44, v3
	v_and_b32_e32 v28, 0x7f800000, v3
	v_cmp_ne_u64_e32 vcc, s[76:77], v[28:29]
                                        ; implicit-def: $vgpr16
	s_and_saveexec_b64 s[28:29], vcc
	s_xor_b64 s[34:35], exec, s[28:29]
	s_cbranch_execz .LBB2_7977
; %bb.7960:                             ;   in Loop: Header=BB2_7844 Depth=3
	v_and_b32_e32 v28, 0x7fffffff, v3
	v_cmp_gt_u64_e32 vcc, s[78:79], v[28:29]
	v_and_b32_sdwa v2, v3, s87 dst_sel:DWORD dst_unused:UNUSED_PAD src0_sel:BYTE_3 src1_sel:DWORD
                                        ; implicit-def: $vgpr16
	s_and_saveexec_b64 s[28:29], vcc
	s_xor_b64 s[36:37], exec, s[28:29]
	s_cbranch_execz .LBB2_7974
; %bb.7961:                             ;   in Loop: Header=BB2_7844 Depth=3
	v_cmp_ne_u32_e32 vcc, 0, v3
	v_mov_b32_e32 v16, 0
	s_and_saveexec_b64 s[38:39], vcc
	s_cbranch_execz .LBB2_7973
; %bb.7962:                             ;   in Loop: Header=BB2_7844 Depth=3
	v_and_b32_e32 v7, 0x7fffff, v3
	v_bfe_u32 v3, v3, 23, 8
	v_cmp_gt_u32_e64 s[28:29], s96, v3
	v_sub_u32_e32 v6, 0x79, v3
	v_cmp_eq_u32_e32 vcc, 0, v3
	v_cndmask_b32_e64 v6, 0, v6, s[28:29]
	v_or_b32_e32 v16, 0x800000, v7
	v_cndmask_b32_e32 v6, v6, v36, vcc
	v_cndmask_b32_e32 v28, v16, v7, vcc
	v_add_u32_e32 v7, 20, v6
	v_lshlrev_b64 v[33:34], v7, -1
	v_add_u32_e32 v7, 19, v6
	v_lshlrev_b64 v[48:49], v7, 1
	v_lshrrev_b64 v[53:54], v6, v[28:29]
	v_bfi_b32 v34, v34, 0, 0
	v_bfi_b32 v33, v33, 0, v28
	v_cmp_eq_u64_e64 s[28:29], v[33:34], v[48:49]
	v_mov_b32_e32 v55, v54
	v_mov_b32_e32 v54, v53
	s_and_saveexec_b64 s[48:49], s[28:29]
; %bb.7963:                             ;   in Loop: Header=BB2_7844 Depth=3
	v_bfe_u32 v7, v53, 20, 1
	v_add_co_u32_e64 v7, s[28:29], v53, v7
	v_add_co_u32_e64 v54, s[28:29], -1, v7
; %bb.7964:                             ;   in Loop: Header=BB2_7844 Depth=3
	s_or_b64 exec, exec, s[48:49]
	v_add_u32_e32 v3, 0xffffff81, v3
	v_cndmask_b32_e32 v3, v3, v37, vcc
	v_lshrrev_b32_e32 v7, 23, v53
	v_add3_u32 v7, v6, v3, v7
	v_add_u32_e32 v6, 6, v7
	v_and_b32_e32 v3, 0xfffff, v54
	v_add_u32_e32 v28, v3, v53
	v_cmp_ne_u32_e32 vcc, 0, v6
                                        ; implicit-def: $vgpr53_vgpr54
                                        ; implicit-def: $vgpr3
	s_and_saveexec_b64 s[28:29], vcc
	s_xor_b64 s[28:29], exec, s[28:29]
; %bb.7965:                             ;   in Loop: Header=BB2_7844 Depth=3
	v_cmp_lt_u64_e32 vcc, s[88:89], v[28:29]
	v_add_u32_e32 v3, 7, v7
	v_cndmask_b32_e32 v3, v6, v3, vcc
	v_cndmask_b32_e64 v6, 0, 1, vcc
	v_lshrrev_b64 v[53:54], v6, v[28:29]
; %bb.7966:                             ;   in Loop: Header=BB2_7844 Depth=3
	s_andn2_saveexec_b64 s[28:29], s[28:29]
; %bb.7967:                             ;   in Loop: Header=BB2_7844 Depth=3
	v_mov_b32_e32 v54, v29
	v_bfe_u32 v3, v28, 23, 1
	v_mov_b32_e32 v53, v28
; %bb.7968:                             ;   in Loop: Header=BB2_7844 Depth=3
	s_or_b64 exec, exec, s[28:29]
	v_lshrrev_b64 v[6:7], 20, v[53:54]
	v_cmp_gt_i32_e32 vcc, 16, v3
	v_cndmask_b32_e32 v54, 0, v7, vcc
	v_cndmask_b32_e32 v53, 7, v6, vcc
	v_cmp_ne_u64_e32 vcc, 0, v[53:54]
	v_cmp_ne_u32_e64 s[28:29], 0, v3
	s_or_b64 s[28:29], s[28:29], vcc
                                        ; implicit-def: $vgpr16
	s_and_saveexec_b64 vcc, s[28:29]
	s_xor_b64 s[28:29], exec, vcc
; %bb.7969:                             ;   in Loop: Header=BB2_7844 Depth=3
	v_min_i32_e32 v3, 15, v3
	v_lshl_or_b32 v2, v3, 3, v2
	v_and_or_b32 v16, v53, 7, v2
                                        ; implicit-def: $vgpr2
; %bb.7970:                             ;   in Loop: Header=BB2_7844 Depth=3
	s_andn2_saveexec_b64 s[28:29], s[28:29]
; %bb.7971:                             ;   in Loop: Header=BB2_7844 Depth=3
	v_mov_b32_e32 v16, v2
; %bb.7972:                             ;   in Loop: Header=BB2_7844 Depth=3
	s_or_b64 exec, exec, s[28:29]
.LBB2_7973:                             ;   in Loop: Header=BB2_7844 Depth=3
	s_or_b64 exec, exec, s[38:39]
                                        ; implicit-def: $vgpr2
.LBB2_7974:                             ;   in Loop: Header=BB2_7844 Depth=3
	s_andn2_saveexec_b64 s[28:29], s[36:37]
; %bb.7975:                             ;   in Loop: Header=BB2_7844 Depth=3
	v_or_b32_e32 v16, 0x7e, v2
; %bb.7976:                             ;   in Loop: Header=BB2_7844 Depth=3
	s_or_b64 exec, exec, s[28:29]
                                        ; implicit-def: $vgpr3
.LBB2_7977:                             ;   in Loop: Header=BB2_7844 Depth=3
	s_andn2_saveexec_b64 s[28:29], s[34:35]
; %bb.7978:                             ;   in Loop: Header=BB2_7844 Depth=3
	v_or_b32_sdwa v16, v3, s85 dst_sel:DWORD dst_unused:UNUSED_PAD src0_sel:BYTE_3 src1_sel:DWORD
; %bb.7979:                             ;   in Loop: Header=BB2_7844 Depth=3
	s_or_b64 exec, exec, s[28:29]
	flat_load_ubyte v2, v[8:9] offset:320 glc slc
	v_mov_b32_e32 v3, 0
	s_waitcnt vmcnt(0) lgkmcnt(0)
	v_cmp_ne_u16_e32 vcc, 0, v2
	s_and_saveexec_b64 s[28:29], vcc
	s_cbranch_execz .LBB2_7985
; %bb.7980:                             ;   in Loop: Header=BB2_7844 Depth=3
	v_cmp_ne_u16_e32 vcc, s87, v2
	v_bfrev_b32_e32 v3, 1
	s_and_saveexec_b64 s[34:35], vcc
	s_cbranch_execz .LBB2_7984
; %bb.7981:                             ;   in Loop: Header=BB2_7844 Depth=3
	v_and_b32_e32 v28, 0xffff, v2
	v_and_b32_e32 v6, 0x7f, v28
	v_cmp_ne_u32_e32 vcc, s85, v6
	v_mov_b32_e32 v3, 0x7f800001
	s_and_saveexec_b64 s[36:37], vcc
	s_cbranch_execz .LBB2_7983
; %bb.7982:                             ;   in Loop: Header=BB2_7844 Depth=3
	v_and_b32_e32 v3, 7, v28
	v_lshrrev_b32_e32 v31, 3, v6
	v_cmp_gt_u32_e32 vcc, 8, v6
	v_ffbh_u32_e32 v6, v3
	v_min_u32_e32 v33, 32, v6
	v_subrev_u32_e32 v6, 28, v33
	v_lshlrev_b64 v[6:7], v6, v[28:29]
	v_sub_u32_e32 v7, 29, v33
	v_and_b32_e32 v6, 7, v6
	v_cndmask_b32_e32 v7, v31, v7, vcc
	v_cndmask_b32_e32 v3, v3, v6, vcc
	v_lshlrev_b32_e32 v2, 24, v2
	v_lshlrev_b32_e32 v3, 20, v3
	v_and_b32_e32 v2, 0x80000000, v2
	v_lshl_add_u32 v6, v7, 23, v17
	v_or3_b32 v3, v2, v6, v3
.LBB2_7983:                             ;   in Loop: Header=BB2_7844 Depth=3
	s_or_b64 exec, exec, s[36:37]
.LBB2_7984:                             ;   in Loop: Header=BB2_7844 Depth=3
	s_or_b64 exec, exec, s[34:35]
.LBB2_7985:                             ;   in Loop: Header=BB2_7844 Depth=3
	s_or_b64 exec, exec, s[28:29]
	v_mul_f32_e32 v3, s44, v3
	v_and_b32_e32 v28, 0x7f800000, v3
	v_cmp_ne_u64_e32 vcc, s[76:77], v[28:29]
                                        ; implicit-def: $vgpr7
	s_and_saveexec_b64 s[28:29], vcc
	s_xor_b64 s[34:35], exec, s[28:29]
	s_cbranch_execz .LBB2_8003
; %bb.7986:                             ;   in Loop: Header=BB2_7844 Depth=3
	v_and_b32_e32 v28, 0x7fffffff, v3
	v_cmp_gt_u64_e32 vcc, s[78:79], v[28:29]
	v_and_b32_sdwa v2, v3, s87 dst_sel:DWORD dst_unused:UNUSED_PAD src0_sel:BYTE_3 src1_sel:DWORD
                                        ; implicit-def: $vgpr7
	s_and_saveexec_b64 s[28:29], vcc
	s_xor_b64 s[36:37], exec, s[28:29]
	s_cbranch_execz .LBB2_8000
; %bb.7987:                             ;   in Loop: Header=BB2_7844 Depth=3
	v_cmp_ne_u32_e32 vcc, 0, v3
	v_mov_b32_e32 v7, 0
	s_and_saveexec_b64 s[38:39], vcc
	s_cbranch_execz .LBB2_7999
; %bb.7988:                             ;   in Loop: Header=BB2_7844 Depth=3
	v_and_b32_e32 v7, 0x7fffff, v3
	v_bfe_u32 v3, v3, 23, 8
	v_cmp_gt_u32_e64 s[28:29], s96, v3
	v_sub_u32_e32 v6, 0x79, v3
	v_cmp_eq_u32_e32 vcc, 0, v3
	v_cndmask_b32_e64 v6, 0, v6, s[28:29]
	v_or_b32_e32 v28, 0x800000, v7
	v_cndmask_b32_e32 v6, v6, v36, vcc
	v_cndmask_b32_e32 v28, v28, v7, vcc
	v_add_u32_e32 v7, 20, v6
	v_lshlrev_b64 v[33:34], v7, -1
	v_add_u32_e32 v7, 19, v6
	v_lshlrev_b64 v[48:49], v7, 1
	v_lshrrev_b64 v[53:54], v6, v[28:29]
	v_bfi_b32 v34, v34, 0, 0
	v_bfi_b32 v33, v33, 0, v28
	v_cmp_eq_u64_e64 s[28:29], v[33:34], v[48:49]
	v_mov_b32_e32 v55, v54
	v_mov_b32_e32 v54, v53
	s_and_saveexec_b64 s[48:49], s[28:29]
; %bb.7989:                             ;   in Loop: Header=BB2_7844 Depth=3
	v_bfe_u32 v7, v53, 20, 1
	v_add_co_u32_e64 v7, s[28:29], v53, v7
	v_add_co_u32_e64 v54, s[28:29], -1, v7
; %bb.7990:                             ;   in Loop: Header=BB2_7844 Depth=3
	s_or_b64 exec, exec, s[48:49]
	v_add_u32_e32 v3, 0xffffff81, v3
	v_cndmask_b32_e32 v3, v3, v37, vcc
	v_lshrrev_b32_e32 v7, 23, v53
	v_add3_u32 v7, v6, v3, v7
	v_add_u32_e32 v6, 6, v7
	v_and_b32_e32 v3, 0xfffff, v54
	v_add_u32_e32 v28, v3, v53
	v_cmp_ne_u32_e32 vcc, 0, v6
                                        ; implicit-def: $vgpr53_vgpr54
                                        ; implicit-def: $vgpr3
	s_and_saveexec_b64 s[28:29], vcc
	s_xor_b64 s[28:29], exec, s[28:29]
; %bb.7991:                             ;   in Loop: Header=BB2_7844 Depth=3
	v_cmp_lt_u64_e32 vcc, s[88:89], v[28:29]
	v_add_u32_e32 v3, 7, v7
	v_cndmask_b32_e32 v3, v6, v3, vcc
	v_cndmask_b32_e64 v6, 0, 1, vcc
	v_lshrrev_b64 v[53:54], v6, v[28:29]
; %bb.7992:                             ;   in Loop: Header=BB2_7844 Depth=3
	s_andn2_saveexec_b64 s[28:29], s[28:29]
; %bb.7993:                             ;   in Loop: Header=BB2_7844 Depth=3
	v_mov_b32_e32 v54, v29
	v_bfe_u32 v3, v28, 23, 1
	v_mov_b32_e32 v53, v28
; %bb.7994:                             ;   in Loop: Header=BB2_7844 Depth=3
	s_or_b64 exec, exec, s[28:29]
	v_lshrrev_b64 v[6:7], 20, v[53:54]
	v_cmp_gt_i32_e32 vcc, 16, v3
	v_cndmask_b32_e32 v54, 0, v7, vcc
	v_cndmask_b32_e32 v53, 7, v6, vcc
	v_cmp_ne_u64_e32 vcc, 0, v[53:54]
	v_cmp_ne_u32_e64 s[28:29], 0, v3
	s_or_b64 s[28:29], s[28:29], vcc
                                        ; implicit-def: $vgpr7
	s_and_saveexec_b64 vcc, s[28:29]
	s_xor_b64 s[28:29], exec, vcc
; %bb.7995:                             ;   in Loop: Header=BB2_7844 Depth=3
	v_min_i32_e32 v3, 15, v3
	v_lshl_or_b32 v2, v3, 3, v2
	v_and_or_b32 v7, v53, 7, v2
                                        ; implicit-def: $vgpr2
; %bb.7996:                             ;   in Loop: Header=BB2_7844 Depth=3
	s_andn2_saveexec_b64 s[28:29], s[28:29]
; %bb.7997:                             ;   in Loop: Header=BB2_7844 Depth=3
	v_mov_b32_e32 v7, v2
; %bb.7998:                             ;   in Loop: Header=BB2_7844 Depth=3
	s_or_b64 exec, exec, s[28:29]
.LBB2_7999:                             ;   in Loop: Header=BB2_7844 Depth=3
	s_or_b64 exec, exec, s[38:39]
                                        ; implicit-def: $vgpr2
.LBB2_8000:                             ;   in Loop: Header=BB2_7844 Depth=3
	s_andn2_saveexec_b64 s[28:29], s[36:37]
; %bb.8001:                             ;   in Loop: Header=BB2_7844 Depth=3
	v_or_b32_e32 v7, 0x7e, v2
; %bb.8002:                             ;   in Loop: Header=BB2_7844 Depth=3
	s_or_b64 exec, exec, s[28:29]
                                        ; implicit-def: $vgpr3
.LBB2_8003:                             ;   in Loop: Header=BB2_7844 Depth=3
	s_andn2_saveexec_b64 s[28:29], s[34:35]
; %bb.8004:                             ;   in Loop: Header=BB2_7844 Depth=3
	v_or_b32_sdwa v7, v3, s85 dst_sel:DWORD dst_unused:UNUSED_PAD src0_sel:BYTE_3 src1_sel:DWORD
; %bb.8005:                             ;   in Loop: Header=BB2_7844 Depth=3
	s_or_b64 exec, exec, s[28:29]
	flat_load_ubyte v2, v[8:9] offset:384 glc slc
	v_mov_b32_e32 v3, 0
	s_waitcnt vmcnt(0) lgkmcnt(0)
	v_cmp_ne_u16_e32 vcc, 0, v2
	s_and_saveexec_b64 s[28:29], vcc
	s_cbranch_execz .LBB2_8011
; %bb.8006:                             ;   in Loop: Header=BB2_7844 Depth=3
	v_cmp_ne_u16_e32 vcc, s87, v2
	v_bfrev_b32_e32 v3, 1
	s_and_saveexec_b64 s[34:35], vcc
	s_cbranch_execz .LBB2_8010
; %bb.8007:                             ;   in Loop: Header=BB2_7844 Depth=3
	v_and_b32_e32 v28, 0xffff, v2
	v_and_b32_e32 v6, 0x7f, v28
	v_cmp_ne_u32_e32 vcc, s85, v6
	v_mov_b32_e32 v3, 0x7f800001
	s_and_saveexec_b64 s[36:37], vcc
	s_cbranch_execz .LBB2_8009
; %bb.8008:                             ;   in Loop: Header=BB2_7844 Depth=3
	v_and_b32_e32 v3, 7, v28
	v_lshrrev_b32_e32 v31, 3, v6
	v_cmp_gt_u32_e32 vcc, 8, v6
	v_ffbh_u32_e32 v6, v3
	v_min_u32_e32 v6, 32, v6
	v_subrev_u32_e32 v33, 28, v6
	v_lshlrev_b64 v[33:34], v33, v[28:29]
	v_sub_u32_e32 v6, 29, v6
	v_and_b32_e32 v28, 7, v33
	v_cndmask_b32_e32 v6, v31, v6, vcc
	v_cndmask_b32_e32 v3, v3, v28, vcc
	v_lshlrev_b32_e32 v2, 24, v2
	v_lshlrev_b32_e32 v3, 20, v3
	v_and_b32_e32 v2, 0x80000000, v2
	v_lshl_add_u32 v6, v6, 23, v17
	v_or3_b32 v3, v2, v6, v3
.LBB2_8009:                             ;   in Loop: Header=BB2_7844 Depth=3
	s_or_b64 exec, exec, s[36:37]
.LBB2_8010:                             ;   in Loop: Header=BB2_7844 Depth=3
	s_or_b64 exec, exec, s[34:35]
.LBB2_8011:                             ;   in Loop: Header=BB2_7844 Depth=3
	s_or_b64 exec, exec, s[28:29]
	v_mul_f32_e32 v3, s44, v3
	v_and_b32_e32 v28, 0x7f800000, v3
	v_cmp_ne_u64_e32 vcc, s[76:77], v[28:29]
                                        ; implicit-def: $vgpr6
	s_and_saveexec_b64 s[28:29], vcc
	s_xor_b64 s[34:35], exec, s[28:29]
	s_cbranch_execz .LBB2_8029
; %bb.8012:                             ;   in Loop: Header=BB2_7844 Depth=3
	v_and_b32_e32 v28, 0x7fffffff, v3
	v_cmp_gt_u64_e32 vcc, s[78:79], v[28:29]
	v_and_b32_sdwa v2, v3, s87 dst_sel:DWORD dst_unused:UNUSED_PAD src0_sel:BYTE_3 src1_sel:DWORD
                                        ; implicit-def: $vgpr6
	s_and_saveexec_b64 s[28:29], vcc
	s_xor_b64 s[36:37], exec, s[28:29]
	s_cbranch_execz .LBB2_8026
; %bb.8013:                             ;   in Loop: Header=BB2_7844 Depth=3
	v_cmp_ne_u32_e32 vcc, 0, v3
	v_mov_b32_e32 v6, 0
	s_and_saveexec_b64 s[38:39], vcc
	s_cbranch_execz .LBB2_8025
; %bb.8014:                             ;   in Loop: Header=BB2_7844 Depth=3
	v_and_b32_e32 v28, 0x7fffff, v3
	v_bfe_u32 v3, v3, 23, 8
	v_cmp_gt_u32_e64 s[28:29], s96, v3
	v_sub_u32_e32 v6, 0x79, v3
	v_cmp_eq_u32_e32 vcc, 0, v3
	v_cndmask_b32_e64 v6, 0, v6, s[28:29]
	v_or_b32_e32 v31, 0x800000, v28
	v_cndmask_b32_e32 v6, v6, v36, vcc
	v_cndmask_b32_e32 v28, v31, v28, vcc
	v_add_u32_e32 v31, 20, v6
	v_lshlrev_b64 v[33:34], v31, -1
	v_add_u32_e32 v31, 19, v6
	v_lshlrev_b64 v[48:49], v31, 1
	v_lshrrev_b64 v[53:54], v6, v[28:29]
	v_bfi_b32 v34, v34, 0, 0
	v_bfi_b32 v33, v33, 0, v28
	v_cmp_eq_u64_e64 s[28:29], v[33:34], v[48:49]
	v_mov_b32_e32 v55, v54
	v_mov_b32_e32 v54, v53
	s_and_saveexec_b64 s[48:49], s[28:29]
; %bb.8015:                             ;   in Loop: Header=BB2_7844 Depth=3
	v_bfe_u32 v28, v53, 20, 1
	v_add_co_u32_e64 v28, s[28:29], v53, v28
	v_add_co_u32_e64 v54, s[28:29], -1, v28
; %bb.8016:                             ;   in Loop: Header=BB2_7844 Depth=3
	s_or_b64 exec, exec, s[48:49]
	v_add_u32_e32 v3, 0xffffff81, v3
	v_cndmask_b32_e32 v3, v3, v37, vcc
	v_lshrrev_b32_e32 v28, 23, v53
	v_add3_u32 v31, v6, v3, v28
	v_add_u32_e32 v6, 6, v31
	v_and_b32_e32 v3, 0xfffff, v54
	v_add_u32_e32 v28, v3, v53
	v_cmp_ne_u32_e32 vcc, 0, v6
                                        ; implicit-def: $vgpr53_vgpr54
                                        ; implicit-def: $vgpr3
	s_and_saveexec_b64 s[28:29], vcc
	s_xor_b64 s[28:29], exec, s[28:29]
; %bb.8017:                             ;   in Loop: Header=BB2_7844 Depth=3
	v_cmp_lt_u64_e32 vcc, s[88:89], v[28:29]
	v_add_u32_e32 v3, 7, v31
	v_cndmask_b32_e32 v3, v6, v3, vcc
	v_cndmask_b32_e64 v6, 0, 1, vcc
	v_lshrrev_b64 v[53:54], v6, v[28:29]
; %bb.8018:                             ;   in Loop: Header=BB2_7844 Depth=3
	s_andn2_saveexec_b64 s[28:29], s[28:29]
; %bb.8019:                             ;   in Loop: Header=BB2_7844 Depth=3
	v_mov_b32_e32 v54, v29
	v_bfe_u32 v3, v28, 23, 1
	v_mov_b32_e32 v53, v28
; %bb.8020:                             ;   in Loop: Header=BB2_7844 Depth=3
	s_or_b64 exec, exec, s[28:29]
	v_lshrrev_b64 v[33:34], 20, v[53:54]
	v_cmp_gt_i32_e32 vcc, 16, v3
	v_cndmask_b32_e32 v54, 0, v34, vcc
	v_cndmask_b32_e32 v53, 7, v33, vcc
	v_cmp_ne_u64_e32 vcc, 0, v[53:54]
	v_cmp_ne_u32_e64 s[28:29], 0, v3
	s_or_b64 s[28:29], s[28:29], vcc
                                        ; implicit-def: $vgpr6
	s_and_saveexec_b64 vcc, s[28:29]
	s_xor_b64 s[28:29], exec, vcc
; %bb.8021:                             ;   in Loop: Header=BB2_7844 Depth=3
	v_min_i32_e32 v3, 15, v3
	v_lshl_or_b32 v2, v3, 3, v2
	v_and_or_b32 v6, v53, 7, v2
                                        ; implicit-def: $vgpr2
; %bb.8022:                             ;   in Loop: Header=BB2_7844 Depth=3
	s_andn2_saveexec_b64 s[28:29], s[28:29]
; %bb.8023:                             ;   in Loop: Header=BB2_7844 Depth=3
	v_mov_b32_e32 v6, v2
; %bb.8024:                             ;   in Loop: Header=BB2_7844 Depth=3
	s_or_b64 exec, exec, s[28:29]
.LBB2_8025:                             ;   in Loop: Header=BB2_7844 Depth=3
	s_or_b64 exec, exec, s[38:39]
                                        ; implicit-def: $vgpr2
.LBB2_8026:                             ;   in Loop: Header=BB2_7844 Depth=3
	s_andn2_saveexec_b64 s[28:29], s[36:37]
; %bb.8027:                             ;   in Loop: Header=BB2_7844 Depth=3
	v_or_b32_e32 v6, 0x7e, v2
; %bb.8028:                             ;   in Loop: Header=BB2_7844 Depth=3
	s_or_b64 exec, exec, s[28:29]
                                        ; implicit-def: $vgpr3
.LBB2_8029:                             ;   in Loop: Header=BB2_7844 Depth=3
	s_andn2_saveexec_b64 s[28:29], s[34:35]
; %bb.8030:                             ;   in Loop: Header=BB2_7844 Depth=3
	v_or_b32_sdwa v6, v3, s85 dst_sel:DWORD dst_unused:UNUSED_PAD src0_sel:BYTE_3 src1_sel:DWORD
; %bb.8031:                             ;   in Loop: Header=BB2_7844 Depth=3
	s_or_b64 exec, exec, s[28:29]
	flat_load_ubyte v2, v[8:9] offset:448 glc slc
	v_mov_b32_e32 v3, 0
	s_waitcnt vmcnt(0) lgkmcnt(0)
	v_cmp_ne_u16_e32 vcc, 0, v2
	s_and_saveexec_b64 s[28:29], vcc
	s_cbranch_execz .LBB2_8037
; %bb.8032:                             ;   in Loop: Header=BB2_7844 Depth=3
	v_cmp_ne_u16_e32 vcc, s87, v2
	v_bfrev_b32_e32 v3, 1
	s_and_saveexec_b64 s[34:35], vcc
	s_cbranch_execz .LBB2_8036
; %bb.8033:                             ;   in Loop: Header=BB2_7844 Depth=3
	v_and_b32_e32 v28, 0xffff, v2
	v_and_b32_e32 v31, 0x7f, v28
	v_cmp_ne_u32_e32 vcc, s85, v31
	v_mov_b32_e32 v3, 0x7f800001
	s_and_saveexec_b64 s[36:37], vcc
	s_cbranch_execz .LBB2_8035
; %bb.8034:                             ;   in Loop: Header=BB2_7844 Depth=3
	v_and_b32_e32 v3, 7, v28
	v_lshrrev_b32_e32 v35, 3, v31
	v_cmp_gt_u32_e32 vcc, 8, v31
	v_ffbh_u32_e32 v31, v3
	v_min_u32_e32 v31, 32, v31
	v_subrev_u32_e32 v33, 28, v31
	v_lshlrev_b64 v[33:34], v33, v[28:29]
	v_sub_u32_e32 v28, 29, v31
	v_and_b32_e32 v31, 7, v33
	v_cndmask_b32_e32 v28, v35, v28, vcc
	v_cndmask_b32_e32 v3, v3, v31, vcc
	v_lshlrev_b32_e32 v2, 24, v2
	v_lshlrev_b32_e32 v3, 20, v3
	v_and_b32_e32 v2, 0x80000000, v2
	v_lshl_add_u32 v28, v28, 23, v17
	v_or3_b32 v3, v2, v28, v3
.LBB2_8035:                             ;   in Loop: Header=BB2_7844 Depth=3
	s_or_b64 exec, exec, s[36:37]
.LBB2_8036:                             ;   in Loop: Header=BB2_7844 Depth=3
	s_or_b64 exec, exec, s[34:35]
.LBB2_8037:                             ;   in Loop: Header=BB2_7844 Depth=3
	s_or_b64 exec, exec, s[28:29]
	v_mul_f32_e32 v31, s44, v3
	v_and_b32_e32 v28, 0x7f800000, v31
	v_cmp_ne_u64_e32 vcc, s[76:77], v[28:29]
                                        ; implicit-def: $vgpr2
	s_and_saveexec_b64 s[28:29], vcc
	s_xor_b64 s[34:35], exec, s[28:29]
	s_cbranch_execz .LBB2_8055
; %bb.8038:                             ;   in Loop: Header=BB2_7844 Depth=3
	v_and_b32_e32 v28, 0x7fffffff, v31
	v_cmp_gt_u64_e32 vcc, s[78:79], v[28:29]
	v_and_b32_sdwa v3, v31, s87 dst_sel:DWORD dst_unused:UNUSED_PAD src0_sel:BYTE_3 src1_sel:DWORD
                                        ; implicit-def: $vgpr2
	s_and_saveexec_b64 s[28:29], vcc
	s_xor_b64 s[36:37], exec, s[28:29]
	s_cbranch_execz .LBB2_8052
; %bb.8039:                             ;   in Loop: Header=BB2_7844 Depth=3
	v_cmp_ne_u32_e32 vcc, 0, v31
	v_mov_b32_e32 v2, 0
	s_and_saveexec_b64 s[38:39], vcc
	s_cbranch_execz .LBB2_8051
; %bb.8040:                             ;   in Loop: Header=BB2_7844 Depth=3
	v_bfe_u32 v2, v31, 23, 8
	v_and_b32_e32 v28, 0x7fffff, v31
	v_cmp_gt_u32_e64 s[28:29], s96, v2
	v_sub_u32_e32 v31, 0x79, v2
	v_cmp_eq_u32_e32 vcc, 0, v2
	v_cndmask_b32_e64 v31, 0, v31, s[28:29]
	v_or_b32_e32 v33, 0x800000, v28
	v_cndmask_b32_e32 v31, v31, v36, vcc
	v_cndmask_b32_e32 v28, v33, v28, vcc
	v_add_u32_e32 v33, 20, v31
	v_lshlrev_b64 v[33:34], v33, -1
	v_add_u32_e32 v35, 19, v31
	v_lshlrev_b64 v[48:49], v35, 1
	v_lshrrev_b64 v[53:54], v31, v[28:29]
	v_bfi_b32 v34, v34, 0, 0
	v_bfi_b32 v33, v33, 0, v28
	v_cmp_eq_u64_e64 s[28:29], v[33:34], v[48:49]
	v_mov_b32_e32 v55, v54
	v_mov_b32_e32 v54, v53
	s_and_saveexec_b64 s[48:49], s[28:29]
; %bb.8041:                             ;   in Loop: Header=BB2_7844 Depth=3
	v_bfe_u32 v28, v53, 20, 1
	v_add_co_u32_e64 v28, s[28:29], v53, v28
	v_add_co_u32_e64 v54, s[28:29], -1, v28
; %bb.8042:                             ;   in Loop: Header=BB2_7844 Depth=3
	s_or_b64 exec, exec, s[48:49]
	v_add_u32_e32 v2, 0xffffff81, v2
	v_cndmask_b32_e32 v2, v2, v37, vcc
	v_lshrrev_b32_e32 v28, 23, v53
	v_add3_u32 v33, v31, v2, v28
	v_add_u32_e32 v2, 6, v33
	v_and_b32_e32 v28, 0xfffff, v54
	v_add_u32_e32 v28, v28, v53
	v_cmp_ne_u32_e32 vcc, 0, v2
                                        ; implicit-def: $vgpr53_vgpr54
                                        ; implicit-def: $vgpr31
	s_and_saveexec_b64 s[28:29], vcc
	s_xor_b64 s[28:29], exec, s[28:29]
; %bb.8043:                             ;   in Loop: Header=BB2_7844 Depth=3
	v_cmp_lt_u64_e32 vcc, s[88:89], v[28:29]
	v_add_u32_e32 v31, 7, v33
	v_cndmask_b32_e32 v31, v2, v31, vcc
	v_cndmask_b32_e64 v2, 0, 1, vcc
	v_lshrrev_b64 v[53:54], v2, v[28:29]
; %bb.8044:                             ;   in Loop: Header=BB2_7844 Depth=3
	s_andn2_saveexec_b64 s[28:29], s[28:29]
; %bb.8045:                             ;   in Loop: Header=BB2_7844 Depth=3
	v_mov_b32_e32 v54, v29
	v_bfe_u32 v31, v28, 23, 1
	v_mov_b32_e32 v53, v28
; %bb.8046:                             ;   in Loop: Header=BB2_7844 Depth=3
	s_or_b64 exec, exec, s[28:29]
	v_lshrrev_b64 v[33:34], 20, v[53:54]
	v_cmp_gt_i32_e32 vcc, 16, v31
	v_cndmask_b32_e32 v54, 0, v34, vcc
	v_cndmask_b32_e32 v53, 7, v33, vcc
	v_cmp_ne_u64_e32 vcc, 0, v[53:54]
	v_cmp_ne_u32_e64 s[28:29], 0, v31
	s_or_b64 s[28:29], s[28:29], vcc
                                        ; implicit-def: $vgpr2
	s_and_saveexec_b64 s[44:45], s[28:29]
	s_xor_b64 s[28:29], exec, s[44:45]
; %bb.8047:                             ;   in Loop: Header=BB2_7844 Depth=3
	v_min_i32_e32 v2, 15, v31
	v_lshl_or_b32 v2, v2, 3, v3
	v_and_or_b32 v2, v53, 7, v2
                                        ; implicit-def: $vgpr3
; %bb.8048:                             ;   in Loop: Header=BB2_7844 Depth=3
	s_andn2_saveexec_b64 s[28:29], s[28:29]
; %bb.8049:                             ;   in Loop: Header=BB2_7844 Depth=3
	v_mov_b32_e32 v2, v3
; %bb.8050:                             ;   in Loop: Header=BB2_7844 Depth=3
	s_or_b64 exec, exec, s[28:29]
.LBB2_8051:                             ;   in Loop: Header=BB2_7844 Depth=3
	s_or_b64 exec, exec, s[38:39]
                                        ; implicit-def: $vgpr3
.LBB2_8052:                             ;   in Loop: Header=BB2_7844 Depth=3
	s_andn2_saveexec_b64 s[28:29], s[36:37]
; %bb.8053:                             ;   in Loop: Header=BB2_7844 Depth=3
	v_or_b32_e32 v2, 0x7e, v3
; %bb.8054:                             ;   in Loop: Header=BB2_7844 Depth=3
	s_or_b64 exec, exec, s[28:29]
                                        ; implicit-def: $vgpr31
.LBB2_8055:                             ;   in Loop: Header=BB2_7844 Depth=3
	s_andn2_saveexec_b64 s[28:29], s[34:35]
; %bb.8056:                             ;   in Loop: Header=BB2_7844 Depth=3
	v_or_b32_sdwa v2, v31, s85 dst_sel:DWORD dst_unused:UNUSED_PAD src0_sel:BYTE_3 src1_sel:DWORD
; %bb.8057:                             ;   in Loop: Header=BB2_7844 Depth=3
	s_or_b64 exec, exec, s[28:29]
	flat_load_ubyte v53, v[10:11] glc slc
	flat_load_ubyte v49, v[10:11] offset:64 glc slc
	flat_load_ubyte v48, v[10:11] offset:128 glc slc
	flat_load_ubyte v35, v[10:11] offset:192 glc slc
	flat_load_ubyte v34, v[10:11] offset:256 glc slc
	flat_load_ubyte v33, v[10:11] offset:320 glc slc
	flat_load_ubyte v31, v[10:11] offset:384 glc slc
	flat_load_ubyte v3, v[10:11] offset:448 glc slc
	v_and_b32_e32 v28, 0xff, v5
	v_cmp_ne_u16_e32 vcc, 0, v28
	v_mov_b32_e32 v54, 0
	v_mov_b32_e32 v55, 0
	s_and_saveexec_b64 s[28:29], vcc
	s_cbranch_execz .LBB2_8063
; %bb.8058:                             ;   in Loop: Header=BB2_7844 Depth=3
	v_cmp_ne_u16_e32 vcc, s87, v28
	v_bfrev_b32_e32 v55, 1
	s_and_saveexec_b64 s[34:35], vcc
	s_cbranch_execz .LBB2_8062
; %bb.8059:                             ;   in Loop: Header=BB2_7844 Depth=3
	v_and_b32_e32 v40, 0x7f, v5
	v_cmp_ne_u32_e32 vcc, s85, v40
	v_mov_b32_e32 v55, 0x7f800001
	s_and_saveexec_b64 s[36:37], vcc
	s_cbranch_execz .LBB2_8061
; %bb.8060:                             ;   in Loop: Header=BB2_7844 Depth=3
	v_and_b32_e32 v55, 7, v28
	v_lshrrev_b32_e32 v42, 3, v40
	v_cmp_gt_u32_e32 vcc, 8, v40
	v_ffbh_u32_e32 v40, v55
	v_min_u32_e32 v43, 32, v40
	v_subrev_u32_e32 v40, 28, v43
	v_lshlrev_b64 v[40:41], v40, v[28:29]
	v_sub_u32_e32 v28, 29, v43
	v_and_b32_e32 v40, 7, v40
	v_cndmask_b32_e32 v28, v42, v28, vcc
	v_cndmask_b32_e32 v55, v55, v40, vcc
	v_lshlrev_b32_e32 v5, 24, v5
	v_lshlrev_b32_e32 v55, 20, v55
	v_and_b32_e32 v5, 0x80000000, v5
	v_lshl_add_u32 v28, v28, 23, v17
	v_or3_b32 v55, v5, v28, v55
.LBB2_8061:                             ;   in Loop: Header=BB2_7844 Depth=3
	s_or_b64 exec, exec, s[36:37]
.LBB2_8062:                             ;   in Loop: Header=BB2_7844 Depth=3
	s_or_b64 exec, exec, s[34:35]
.LBB2_8063:                             ;   in Loop: Header=BB2_7844 Depth=3
	s_or_b64 exec, exec, s[28:29]
	s_waitcnt vmcnt(0) lgkmcnt(0)
	v_and_b32_e32 v28, 0xff, v53
	v_cmp_ne_u16_e32 vcc, 0, v28
	s_and_saveexec_b64 s[28:29], vcc
	s_cbranch_execz .LBB2_8069
; %bb.8064:                             ;   in Loop: Header=BB2_7844 Depth=3
	v_cmp_ne_u16_e32 vcc, s87, v28
	v_bfrev_b32_e32 v54, 1
	s_and_saveexec_b64 s[34:35], vcc
	s_cbranch_execz .LBB2_8068
; %bb.8065:                             ;   in Loop: Header=BB2_7844 Depth=3
	v_and_b32_e32 v5, 0x7f, v53
	v_cmp_ne_u32_e32 vcc, s85, v5
	v_mov_b32_e32 v54, 0x7f800001
	s_and_saveexec_b64 s[36:37], vcc
	s_cbranch_execz .LBB2_8067
; %bb.8066:                             ;   in Loop: Header=BB2_7844 Depth=3
	v_and_b32_e32 v54, 7, v28
	v_lshrrev_b32_e32 v42, 3, v5
	v_cmp_gt_u32_e32 vcc, 8, v5
	v_ffbh_u32_e32 v5, v54
	v_min_u32_e32 v5, 32, v5
	v_subrev_u32_e32 v40, 28, v5
	v_lshlrev_b64 v[40:41], v40, v[28:29]
	v_sub_u32_e32 v5, 29, v5
	v_and_b32_e32 v28, 7, v40
	v_cndmask_b32_e32 v5, v42, v5, vcc
	v_cndmask_b32_e32 v28, v54, v28, vcc
	v_lshlrev_b32_e32 v53, 24, v53
	v_lshlrev_b32_e32 v28, 20, v28
	v_and_b32_e32 v53, 0x80000000, v53
	v_lshl_add_u32 v5, v5, 23, v17
	v_or3_b32 v54, v53, v5, v28
.LBB2_8067:                             ;   in Loop: Header=BB2_7844 Depth=3
	s_or_b64 exec, exec, s[36:37]
.LBB2_8068:                             ;   in Loop: Header=BB2_7844 Depth=3
	s_or_b64 exec, exec, s[34:35]
.LBB2_8069:                             ;   in Loop: Header=BB2_7844 Depth=3
	s_or_b64 exec, exec, s[28:29]
	v_add_f32_e32 v53, v55, v54
	v_and_b32_e32 v28, 0x7f800000, v53
	v_cmp_ne_u64_e32 vcc, s[76:77], v[28:29]
                                        ; implicit-def: $vgpr5
	s_and_saveexec_b64 s[28:29], vcc
	s_xor_b64 s[34:35], exec, s[28:29]
	s_cbranch_execz .LBB2_8087
; %bb.8070:                             ;   in Loop: Header=BB2_7844 Depth=3
	v_and_b32_e32 v28, 0x7fffffff, v53
	v_cmp_gt_u64_e32 vcc, s[78:79], v[28:29]
	v_and_b32_sdwa v40, v53, s87 dst_sel:DWORD dst_unused:UNUSED_PAD src0_sel:BYTE_3 src1_sel:DWORD
                                        ; implicit-def: $vgpr5
	s_and_saveexec_b64 s[28:29], vcc
	s_xor_b64 s[36:37], exec, s[28:29]
	s_cbranch_execz .LBB2_8084
; %bb.8071:                             ;   in Loop: Header=BB2_7844 Depth=3
	v_cmp_ne_u32_e32 vcc, 0, v53
	v_mov_b32_e32 v5, 0
	s_and_saveexec_b64 s[38:39], vcc
	s_cbranch_execz .LBB2_8083
; %bb.8072:                             ;   in Loop: Header=BB2_7844 Depth=3
	v_bfe_u32 v5, v53, 23, 8
	v_and_b32_e32 v28, 0x7fffff, v53
	v_cmp_gt_u32_e64 s[28:29], s96, v5
	v_sub_u32_e32 v53, 0x79, v5
	v_cmp_eq_u32_e32 vcc, 0, v5
	v_cndmask_b32_e64 v53, 0, v53, s[28:29]
	v_cndmask_b32_e32 v41, v53, v36, vcc
	v_or_b32_e32 v54, 0x800000, v28
	v_add_u32_e32 v53, 20, v41
	v_cndmask_b32_e32 v28, v54, v28, vcc
	v_lshlrev_b64 v[53:54], v53, -1
	v_add_u32_e32 v55, 19, v41
	v_lshlrev_b64 v[42:43], v55, 1
	v_bfi_b32 v54, v54, 0, 0
	v_bfi_b32 v53, v53, 0, v28
	v_cmp_eq_u64_e64 s[28:29], v[53:54], v[42:43]
	v_lshrrev_b64 v[53:54], v41, v[28:29]
	v_mov_b32_e32 v55, v54
	v_mov_b32_e32 v54, v53
	s_and_saveexec_b64 s[48:49], s[28:29]
; %bb.8073:                             ;   in Loop: Header=BB2_7844 Depth=3
	v_bfe_u32 v28, v53, 20, 1
	v_add_co_u32_e64 v28, s[28:29], v53, v28
	v_add_co_u32_e64 v54, s[28:29], -1, v28
; %bb.8074:                             ;   in Loop: Header=BB2_7844 Depth=3
	s_or_b64 exec, exec, s[48:49]
	v_add_u32_e32 v5, 0xffffff81, v5
	v_cndmask_b32_e32 v5, v5, v37, vcc
	v_lshrrev_b32_e32 v28, 23, v53
	v_add3_u32 v41, v41, v5, v28
	v_add_u32_e32 v5, 6, v41
	v_and_b32_e32 v28, 0xfffff, v54
	v_add_u32_e32 v28, v28, v53
	v_cmp_ne_u32_e32 vcc, 0, v5
                                        ; implicit-def: $vgpr53_vgpr54
                                        ; implicit-def: $vgpr55
	s_and_saveexec_b64 s[28:29], vcc
	s_xor_b64 s[28:29], exec, s[28:29]
; %bb.8075:                             ;   in Loop: Header=BB2_7844 Depth=3
	v_cmp_lt_u64_e32 vcc, s[88:89], v[28:29]
	v_add_u32_e32 v53, 7, v41
	v_cndmask_b32_e32 v55, v5, v53, vcc
	v_cndmask_b32_e64 v5, 0, 1, vcc
	v_lshrrev_b64 v[53:54], v5, v[28:29]
; %bb.8076:                             ;   in Loop: Header=BB2_7844 Depth=3
	s_andn2_saveexec_b64 s[28:29], s[28:29]
; %bb.8077:                             ;   in Loop: Header=BB2_7844 Depth=3
	v_mov_b32_e32 v54, v29
	v_bfe_u32 v55, v28, 23, 1
	v_mov_b32_e32 v53, v28
; %bb.8078:                             ;   in Loop: Header=BB2_7844 Depth=3
	s_or_b64 exec, exec, s[28:29]
	v_lshrrev_b64 v[53:54], 20, v[53:54]
	v_cmp_gt_i32_e32 vcc, 16, v55
	v_cndmask_b32_e32 v54, 0, v54, vcc
	v_cndmask_b32_e32 v53, 7, v53, vcc
	v_cmp_ne_u64_e32 vcc, 0, v[53:54]
	v_cmp_ne_u32_e64 s[28:29], 0, v55
	s_or_b64 s[28:29], s[28:29], vcc
                                        ; implicit-def: $vgpr5
	s_and_saveexec_b64 s[44:45], s[28:29]
	s_xor_b64 s[28:29], exec, s[44:45]
; %bb.8079:                             ;   in Loop: Header=BB2_7844 Depth=3
	v_min_i32_e32 v5, 15, v55
	v_lshl_or_b32 v5, v5, 3, v40
	v_and_or_b32 v5, v53, 7, v5
                                        ; implicit-def: $vgpr40
; %bb.8080:                             ;   in Loop: Header=BB2_7844 Depth=3
	s_andn2_saveexec_b64 s[28:29], s[28:29]
; %bb.8081:                             ;   in Loop: Header=BB2_7844 Depth=3
	v_mov_b32_e32 v5, v40
; %bb.8082:                             ;   in Loop: Header=BB2_7844 Depth=3
	s_or_b64 exec, exec, s[28:29]
.LBB2_8083:                             ;   in Loop: Header=BB2_7844 Depth=3
	s_or_b64 exec, exec, s[38:39]
                                        ; implicit-def: $vgpr40
.LBB2_8084:                             ;   in Loop: Header=BB2_7844 Depth=3
	s_andn2_saveexec_b64 s[28:29], s[36:37]
; %bb.8085:                             ;   in Loop: Header=BB2_7844 Depth=3
	v_or_b32_e32 v5, 0x7e, v40
; %bb.8086:                             ;   in Loop: Header=BB2_7844 Depth=3
	s_or_b64 exec, exec, s[28:29]
                                        ; implicit-def: $vgpr53
.LBB2_8087:                             ;   in Loop: Header=BB2_7844 Depth=3
	s_andn2_saveexec_b64 s[28:29], s[34:35]
; %bb.8088:                             ;   in Loop: Header=BB2_7844 Depth=3
	v_or_b32_sdwa v5, v53, s85 dst_sel:DWORD dst_unused:UNUSED_PAD src0_sel:BYTE_3 src1_sel:DWORD
; %bb.8089:                             ;   in Loop: Header=BB2_7844 Depth=3
	s_or_b64 exec, exec, s[28:29]
	v_and_b32_e32 v28, 0xff, v30
	v_cmp_ne_u16_e32 vcc, 0, v28
	v_mov_b32_e32 v53, 0
	v_mov_b32_e32 v54, 0
	s_and_saveexec_b64 s[28:29], vcc
	s_cbranch_execz .LBB2_8095
; %bb.8090:                             ;   in Loop: Header=BB2_7844 Depth=3
	v_cmp_ne_u16_e32 vcc, s87, v28
	v_bfrev_b32_e32 v54, 1
	s_and_saveexec_b64 s[34:35], vcc
	s_cbranch_execz .LBB2_8094
; %bb.8091:                             ;   in Loop: Header=BB2_7844 Depth=3
	v_and_b32_e32 v55, 0x7f, v30
	v_cmp_ne_u32_e32 vcc, s85, v55
	v_mov_b32_e32 v54, 0x7f800001
	s_and_saveexec_b64 s[36:37], vcc
	s_cbranch_execz .LBB2_8093
; %bb.8092:                             ;   in Loop: Header=BB2_7844 Depth=3
	v_and_b32_e32 v40, 7, v28
	v_ffbh_u32_e32 v54, v40
	v_min_u32_e32 v42, 32, v54
	v_subrev_u32_e32 v54, 28, v42
	v_lshrrev_b32_e32 v41, 3, v55
	v_cmp_gt_u32_e32 vcc, 8, v55
	v_lshlrev_b64 v[54:55], v54, v[28:29]
	v_sub_u32_e32 v28, 29, v42
	v_and_b32_e32 v54, 7, v54
	v_cndmask_b32_e32 v28, v41, v28, vcc
	v_cndmask_b32_e32 v54, v40, v54, vcc
	v_lshlrev_b32_e32 v30, 24, v30
	v_lshlrev_b32_e32 v54, 20, v54
	v_and_b32_e32 v30, 0x80000000, v30
	v_lshl_add_u32 v28, v28, 23, v17
	v_or3_b32 v54, v30, v28, v54
.LBB2_8093:                             ;   in Loop: Header=BB2_7844 Depth=3
	s_or_b64 exec, exec, s[36:37]
.LBB2_8094:                             ;   in Loop: Header=BB2_7844 Depth=3
	s_or_b64 exec, exec, s[34:35]
.LBB2_8095:                             ;   in Loop: Header=BB2_7844 Depth=3
	s_or_b64 exec, exec, s[28:29]
	v_and_b32_e32 v28, 0xff, v49
	v_cmp_ne_u16_e32 vcc, 0, v28
	s_and_saveexec_b64 s[28:29], vcc
	s_cbranch_execz .LBB2_8101
; %bb.8096:                             ;   in Loop: Header=BB2_7844 Depth=3
	v_cmp_ne_u16_e32 vcc, s87, v28
	v_bfrev_b32_e32 v53, 1
	s_and_saveexec_b64 s[34:35], vcc
	s_cbranch_execz .LBB2_8100
; %bb.8097:                             ;   in Loop: Header=BB2_7844 Depth=3
	v_and_b32_e32 v30, 0x7f, v49
	v_cmp_ne_u32_e32 vcc, s85, v30
	v_mov_b32_e32 v53, 0x7f800001
	s_and_saveexec_b64 s[36:37], vcc
	s_cbranch_execz .LBB2_8099
; %bb.8098:                             ;   in Loop: Header=BB2_7844 Depth=3
	v_and_b32_e32 v53, 7, v28
	v_lshrrev_b32_e32 v55, 3, v30
	v_cmp_gt_u32_e32 vcc, 8, v30
	v_ffbh_u32_e32 v30, v53
	v_min_u32_e32 v30, 32, v30
	v_subrev_u32_e32 v40, 28, v30
	v_lshlrev_b64 v[40:41], v40, v[28:29]
	v_sub_u32_e32 v28, 29, v30
	v_and_b32_e32 v30, 7, v40
	v_cndmask_b32_e32 v28, v55, v28, vcc
	v_cndmask_b32_e32 v30, v53, v30, vcc
	v_lshlrev_b32_e32 v49, 24, v49
	v_lshlrev_b32_e32 v30, 20, v30
	v_and_b32_e32 v49, 0x80000000, v49
	v_lshl_add_u32 v28, v28, 23, v17
	v_or3_b32 v53, v49, v28, v30
.LBB2_8099:                             ;   in Loop: Header=BB2_7844 Depth=3
	s_or_b64 exec, exec, s[36:37]
.LBB2_8100:                             ;   in Loop: Header=BB2_7844 Depth=3
	s_or_b64 exec, exec, s[34:35]
.LBB2_8101:                             ;   in Loop: Header=BB2_7844 Depth=3
	s_or_b64 exec, exec, s[28:29]
	v_add_f32_e32 v53, v54, v53
	v_and_b32_e32 v28, 0x7f800000, v53
	v_cmp_ne_u64_e32 vcc, s[76:77], v[28:29]
                                        ; implicit-def: $vgpr30
	s_and_saveexec_b64 s[28:29], vcc
	s_xor_b64 s[34:35], exec, s[28:29]
	s_cbranch_execz .LBB2_8119
; %bb.8102:                             ;   in Loop: Header=BB2_7844 Depth=3
	v_and_b32_e32 v28, 0x7fffffff, v53
	v_cmp_gt_u64_e32 vcc, s[78:79], v[28:29]
	v_and_b32_sdwa v49, v53, s87 dst_sel:DWORD dst_unused:UNUSED_PAD src0_sel:BYTE_3 src1_sel:DWORD
                                        ; implicit-def: $vgpr30
	s_and_saveexec_b64 s[28:29], vcc
	s_xor_b64 s[36:37], exec, s[28:29]
	s_cbranch_execz .LBB2_8116
; %bb.8103:                             ;   in Loop: Header=BB2_7844 Depth=3
	v_cmp_ne_u32_e32 vcc, 0, v53
	v_mov_b32_e32 v30, 0
	s_and_saveexec_b64 s[38:39], vcc
	s_cbranch_execz .LBB2_8115
; %bb.8104:                             ;   in Loop: Header=BB2_7844 Depth=3
	v_bfe_u32 v30, v53, 23, 8
	v_and_b32_e32 v28, 0x7fffff, v53
	v_cmp_gt_u32_e64 s[28:29], s96, v30
	v_sub_u32_e32 v53, 0x79, v30
	v_cmp_eq_u32_e32 vcc, 0, v30
	v_cndmask_b32_e64 v53, 0, v53, s[28:29]
	v_cndmask_b32_e32 v40, v53, v36, vcc
	v_or_b32_e32 v54, 0x800000, v28
	v_add_u32_e32 v53, 20, v40
	v_cndmask_b32_e32 v28, v54, v28, vcc
	v_lshlrev_b64 v[53:54], v53, -1
	v_add_u32_e32 v55, 19, v40
	v_lshlrev_b64 v[41:42], v55, 1
	v_bfi_b32 v54, v54, 0, 0
	v_bfi_b32 v53, v53, 0, v28
	v_cmp_eq_u64_e64 s[28:29], v[53:54], v[41:42]
	v_lshrrev_b64 v[53:54], v40, v[28:29]
	v_mov_b32_e32 v55, v54
	v_mov_b32_e32 v54, v53
	s_and_saveexec_b64 s[48:49], s[28:29]
; %bb.8105:                             ;   in Loop: Header=BB2_7844 Depth=3
	v_bfe_u32 v28, v53, 20, 1
	v_add_co_u32_e64 v28, s[28:29], v53, v28
	v_add_co_u32_e64 v54, s[28:29], -1, v28
; %bb.8106:                             ;   in Loop: Header=BB2_7844 Depth=3
	s_or_b64 exec, exec, s[48:49]
	v_add_u32_e32 v28, 0xffffff81, v30
	v_cndmask_b32_e32 v28, v28, v37, vcc
	v_lshrrev_b32_e32 v30, 23, v53
	v_add3_u32 v40, v40, v28, v30
	v_add_u32_e32 v30, 6, v40
	v_and_b32_e32 v28, 0xfffff, v54
	v_add_u32_e32 v28, v28, v53
	v_cmp_ne_u32_e32 vcc, 0, v30
                                        ; implicit-def: $vgpr53_vgpr54
                                        ; implicit-def: $vgpr55
	s_and_saveexec_b64 s[28:29], vcc
	s_xor_b64 s[28:29], exec, s[28:29]
; %bb.8107:                             ;   in Loop: Header=BB2_7844 Depth=3
	v_cmp_lt_u64_e32 vcc, s[88:89], v[28:29]
	v_add_u32_e32 v53, 7, v40
	v_cndmask_b32_e32 v55, v30, v53, vcc
	v_cndmask_b32_e64 v30, 0, 1, vcc
	v_lshrrev_b64 v[53:54], v30, v[28:29]
; %bb.8108:                             ;   in Loop: Header=BB2_7844 Depth=3
	s_andn2_saveexec_b64 s[28:29], s[28:29]
; %bb.8109:                             ;   in Loop: Header=BB2_7844 Depth=3
	v_mov_b32_e32 v54, v29
	v_bfe_u32 v55, v28, 23, 1
	v_mov_b32_e32 v53, v28
; %bb.8110:                             ;   in Loop: Header=BB2_7844 Depth=3
	s_or_b64 exec, exec, s[28:29]
	v_lshrrev_b64 v[53:54], 20, v[53:54]
	v_cmp_gt_i32_e32 vcc, 16, v55
	v_cndmask_b32_e32 v54, 0, v54, vcc
	v_cndmask_b32_e32 v53, 7, v53, vcc
	v_cmp_ne_u64_e32 vcc, 0, v[53:54]
	v_cmp_ne_u32_e64 s[28:29], 0, v55
	s_or_b64 s[28:29], s[28:29], vcc
                                        ; implicit-def: $vgpr30
	s_and_saveexec_b64 s[44:45], s[28:29]
	s_xor_b64 s[28:29], exec, s[44:45]
; %bb.8111:                             ;   in Loop: Header=BB2_7844 Depth=3
	v_min_i32_e32 v28, 15, v55
	v_lshl_or_b32 v28, v28, 3, v49
	v_and_or_b32 v30, v53, 7, v28
                                        ; implicit-def: $vgpr49
; %bb.8112:                             ;   in Loop: Header=BB2_7844 Depth=3
	s_andn2_saveexec_b64 s[28:29], s[28:29]
; %bb.8113:                             ;   in Loop: Header=BB2_7844 Depth=3
	v_mov_b32_e32 v30, v49
; %bb.8114:                             ;   in Loop: Header=BB2_7844 Depth=3
	s_or_b64 exec, exec, s[28:29]
.LBB2_8115:                             ;   in Loop: Header=BB2_7844 Depth=3
	s_or_b64 exec, exec, s[38:39]
                                        ; implicit-def: $vgpr49
.LBB2_8116:                             ;   in Loop: Header=BB2_7844 Depth=3
	s_andn2_saveexec_b64 s[28:29], s[36:37]
; %bb.8117:                             ;   in Loop: Header=BB2_7844 Depth=3
	v_or_b32_e32 v30, 0x7e, v49
; %bb.8118:                             ;   in Loop: Header=BB2_7844 Depth=3
	s_or_b64 exec, exec, s[28:29]
                                        ; implicit-def: $vgpr53
.LBB2_8119:                             ;   in Loop: Header=BB2_7844 Depth=3
	s_andn2_saveexec_b64 s[28:29], s[34:35]
; %bb.8120:                             ;   in Loop: Header=BB2_7844 Depth=3
	v_or_b32_sdwa v30, v53, s85 dst_sel:DWORD dst_unused:UNUSED_PAD src0_sel:BYTE_3 src1_sel:DWORD
; %bb.8121:                             ;   in Loop: Header=BB2_7844 Depth=3
	s_or_b64 exec, exec, s[28:29]
	v_and_b32_e32 v28, 0xff, v23
	v_cmp_ne_u16_e32 vcc, 0, v28
	v_mov_b32_e32 v49, 0
	v_mov_b32_e32 v53, 0
	s_and_saveexec_b64 s[28:29], vcc
	s_cbranch_execz .LBB2_8127
; %bb.8122:                             ;   in Loop: Header=BB2_7844 Depth=3
	v_cmp_ne_u16_e32 vcc, s87, v28
	v_bfrev_b32_e32 v53, 1
	s_and_saveexec_b64 s[34:35], vcc
	s_cbranch_execz .LBB2_8126
; %bb.8123:                             ;   in Loop: Header=BB2_7844 Depth=3
	v_and_b32_e32 v54, 0x7f, v23
	v_cmp_ne_u32_e32 vcc, s85, v54
	v_mov_b32_e32 v53, 0x7f800001
	s_and_saveexec_b64 s[36:37], vcc
	s_cbranch_execz .LBB2_8125
; %bb.8124:                             ;   in Loop: Header=BB2_7844 Depth=3
	v_and_b32_e32 v55, 7, v28
	v_ffbh_u32_e32 v53, v55
	v_min_u32_e32 v41, 32, v53
	v_subrev_u32_e32 v53, 28, v41
	v_lshrrev_b32_e32 v40, 3, v54
	v_cmp_gt_u32_e32 vcc, 8, v54
	v_lshlrev_b64 v[53:54], v53, v[28:29]
	v_sub_u32_e32 v28, 29, v41
	v_and_b32_e32 v53, 7, v53
	v_cndmask_b32_e32 v28, v40, v28, vcc
	v_cndmask_b32_e32 v53, v55, v53, vcc
	v_lshlrev_b32_e32 v23, 24, v23
	v_lshlrev_b32_e32 v53, 20, v53
	v_and_b32_e32 v23, 0x80000000, v23
	v_lshl_add_u32 v28, v28, 23, v17
	v_or3_b32 v53, v23, v28, v53
.LBB2_8125:                             ;   in Loop: Header=BB2_7844 Depth=3
	s_or_b64 exec, exec, s[36:37]
.LBB2_8126:                             ;   in Loop: Header=BB2_7844 Depth=3
	s_or_b64 exec, exec, s[34:35]
.LBB2_8127:                             ;   in Loop: Header=BB2_7844 Depth=3
	s_or_b64 exec, exec, s[28:29]
	v_and_b32_e32 v28, 0xff, v48
	v_cmp_ne_u16_e32 vcc, 0, v28
	s_and_saveexec_b64 s[28:29], vcc
	s_cbranch_execz .LBB2_8133
; %bb.8128:                             ;   in Loop: Header=BB2_7844 Depth=3
	v_cmp_ne_u16_e32 vcc, s87, v28
	v_bfrev_b32_e32 v49, 1
	s_and_saveexec_b64 s[34:35], vcc
	s_cbranch_execz .LBB2_8132
; %bb.8129:                             ;   in Loop: Header=BB2_7844 Depth=3
	v_and_b32_e32 v23, 0x7f, v48
	v_cmp_ne_u32_e32 vcc, s85, v23
	v_mov_b32_e32 v49, 0x7f800001
	s_and_saveexec_b64 s[36:37], vcc
	s_cbranch_execz .LBB2_8131
; %bb.8130:                             ;   in Loop: Header=BB2_7844 Depth=3
	v_and_b32_e32 v49, 7, v28
	v_lshrrev_b32_e32 v40, 3, v23
	v_cmp_gt_u32_e32 vcc, 8, v23
	v_ffbh_u32_e32 v23, v49
	v_min_u32_e32 v23, 32, v23
	v_subrev_u32_e32 v54, 28, v23
	v_lshlrev_b64 v[54:55], v54, v[28:29]
	v_sub_u32_e32 v23, 29, v23
	v_and_b32_e32 v28, 7, v54
	v_cndmask_b32_e32 v23, v40, v23, vcc
	v_cndmask_b32_e32 v28, v49, v28, vcc
	v_lshlrev_b32_e32 v48, 24, v48
	v_lshlrev_b32_e32 v28, 20, v28
	v_and_b32_e32 v48, 0x80000000, v48
	v_lshl_add_u32 v23, v23, 23, v17
	v_or3_b32 v49, v48, v23, v28
.LBB2_8131:                             ;   in Loop: Header=BB2_7844 Depth=3
	s_or_b64 exec, exec, s[36:37]
.LBB2_8132:                             ;   in Loop: Header=BB2_7844 Depth=3
	s_or_b64 exec, exec, s[34:35]
.LBB2_8133:                             ;   in Loop: Header=BB2_7844 Depth=3
	s_or_b64 exec, exec, s[28:29]
	v_add_f32_e32 v49, v53, v49
	v_and_b32_e32 v28, 0x7f800000, v49
	v_cmp_ne_u64_e32 vcc, s[76:77], v[28:29]
                                        ; implicit-def: $vgpr23
	s_and_saveexec_b64 s[28:29], vcc
	s_xor_b64 s[34:35], exec, s[28:29]
	s_cbranch_execz .LBB2_8151
; %bb.8134:                             ;   in Loop: Header=BB2_7844 Depth=3
	v_and_b32_e32 v28, 0x7fffffff, v49
	v_cmp_gt_u64_e32 vcc, s[78:79], v[28:29]
	v_and_b32_sdwa v48, v49, s87 dst_sel:DWORD dst_unused:UNUSED_PAD src0_sel:BYTE_3 src1_sel:DWORD
                                        ; implicit-def: $vgpr23
	s_and_saveexec_b64 s[28:29], vcc
	s_xor_b64 s[36:37], exec, s[28:29]
	s_cbranch_execz .LBB2_8148
; %bb.8135:                             ;   in Loop: Header=BB2_7844 Depth=3
	v_cmp_ne_u32_e32 vcc, 0, v49
	v_mov_b32_e32 v23, 0
	s_and_saveexec_b64 s[38:39], vcc
	s_cbranch_execz .LBB2_8147
; %bb.8136:                             ;   in Loop: Header=BB2_7844 Depth=3
	v_bfe_u32 v23, v49, 23, 8
	v_and_b32_e32 v28, 0x7fffff, v49
	v_cmp_gt_u32_e64 s[28:29], s96, v23
	v_sub_u32_e32 v49, 0x79, v23
	v_cmp_eq_u32_e32 vcc, 0, v23
	v_cndmask_b32_e64 v49, 0, v49, s[28:29]
	v_or_b32_e32 v53, 0x800000, v28
	v_cndmask_b32_e32 v49, v49, v36, vcc
	v_cndmask_b32_e32 v28, v53, v28, vcc
	v_add_u32_e32 v53, 20, v49
	v_lshlrev_b64 v[53:54], v53, -1
	v_add_u32_e32 v55, 19, v49
	v_lshlrev_b64 v[40:41], v55, 1
	v_bfi_b32 v54, v54, 0, 0
	v_bfi_b32 v53, v53, 0, v28
	v_cmp_eq_u64_e64 s[28:29], v[53:54], v[40:41]
	v_lshrrev_b64 v[53:54], v49, v[28:29]
	v_mov_b32_e32 v55, v54
	v_mov_b32_e32 v54, v53
	s_and_saveexec_b64 s[48:49], s[28:29]
; %bb.8137:                             ;   in Loop: Header=BB2_7844 Depth=3
	v_bfe_u32 v28, v53, 20, 1
	v_add_co_u32_e64 v28, s[28:29], v53, v28
	v_add_co_u32_e64 v54, s[28:29], -1, v28
; %bb.8138:                             ;   in Loop: Header=BB2_7844 Depth=3
	s_or_b64 exec, exec, s[48:49]
	v_add_u32_e32 v23, 0xffffff81, v23
	v_cndmask_b32_e32 v23, v23, v37, vcc
	v_lshrrev_b32_e32 v28, 23, v53
	v_add3_u32 v55, v49, v23, v28
	v_add_u32_e32 v23, 6, v55
	v_and_b32_e32 v28, 0xfffff, v54
	v_add_u32_e32 v28, v28, v53
	v_cmp_ne_u32_e32 vcc, 0, v23
                                        ; implicit-def: $vgpr53_vgpr54
                                        ; implicit-def: $vgpr49
	s_and_saveexec_b64 s[28:29], vcc
	s_xor_b64 s[28:29], exec, s[28:29]
; %bb.8139:                             ;   in Loop: Header=BB2_7844 Depth=3
	v_cmp_lt_u64_e32 vcc, s[88:89], v[28:29]
	v_add_u32_e32 v49, 7, v55
	v_cndmask_b32_e32 v49, v23, v49, vcc
	v_cndmask_b32_e64 v23, 0, 1, vcc
	v_lshrrev_b64 v[53:54], v23, v[28:29]
; %bb.8140:                             ;   in Loop: Header=BB2_7844 Depth=3
	s_andn2_saveexec_b64 s[28:29], s[28:29]
; %bb.8141:                             ;   in Loop: Header=BB2_7844 Depth=3
	v_mov_b32_e32 v54, v29
	v_bfe_u32 v49, v28, 23, 1
	v_mov_b32_e32 v53, v28
; %bb.8142:                             ;   in Loop: Header=BB2_7844 Depth=3
	s_or_b64 exec, exec, s[28:29]
	v_lshrrev_b64 v[53:54], 20, v[53:54]
	v_cmp_gt_i32_e32 vcc, 16, v49
	v_cndmask_b32_e32 v54, 0, v54, vcc
	v_cndmask_b32_e32 v53, 7, v53, vcc
	v_cmp_ne_u64_e32 vcc, 0, v[53:54]
	v_cmp_ne_u32_e64 s[28:29], 0, v49
	s_or_b64 s[28:29], s[28:29], vcc
                                        ; implicit-def: $vgpr23
	s_and_saveexec_b64 s[44:45], s[28:29]
	s_xor_b64 s[28:29], exec, s[44:45]
; %bb.8143:                             ;   in Loop: Header=BB2_7844 Depth=3
	v_min_i32_e32 v23, 15, v49
	v_lshl_or_b32 v23, v23, 3, v48
	v_and_or_b32 v23, v53, 7, v23
                                        ; implicit-def: $vgpr48
; %bb.8144:                             ;   in Loop: Header=BB2_7844 Depth=3
	s_andn2_saveexec_b64 s[28:29], s[28:29]
; %bb.8145:                             ;   in Loop: Header=BB2_7844 Depth=3
	v_mov_b32_e32 v23, v48
; %bb.8146:                             ;   in Loop: Header=BB2_7844 Depth=3
	s_or_b64 exec, exec, s[28:29]
.LBB2_8147:                             ;   in Loop: Header=BB2_7844 Depth=3
	s_or_b64 exec, exec, s[38:39]
                                        ; implicit-def: $vgpr48
.LBB2_8148:                             ;   in Loop: Header=BB2_7844 Depth=3
	s_andn2_saveexec_b64 s[28:29], s[36:37]
; %bb.8149:                             ;   in Loop: Header=BB2_7844 Depth=3
	v_or_b32_e32 v23, 0x7e, v48
; %bb.8150:                             ;   in Loop: Header=BB2_7844 Depth=3
	s_or_b64 exec, exec, s[28:29]
                                        ; implicit-def: $vgpr49
.LBB2_8151:                             ;   in Loop: Header=BB2_7844 Depth=3
	s_andn2_saveexec_b64 s[28:29], s[34:35]
; %bb.8152:                             ;   in Loop: Header=BB2_7844 Depth=3
	v_or_b32_sdwa v23, v49, s85 dst_sel:DWORD dst_unused:UNUSED_PAD src0_sel:BYTE_3 src1_sel:DWORD
; %bb.8153:                             ;   in Loop: Header=BB2_7844 Depth=3
	s_or_b64 exec, exec, s[28:29]
	v_and_b32_e32 v28, 0xff, v22
	v_cmp_ne_u16_e32 vcc, 0, v28
	v_mov_b32_e32 v48, 0
	v_mov_b32_e32 v49, 0
	s_and_saveexec_b64 s[28:29], vcc
	s_cbranch_execz .LBB2_8159
; %bb.8154:                             ;   in Loop: Header=BB2_7844 Depth=3
	v_cmp_ne_u16_e32 vcc, s87, v28
	v_bfrev_b32_e32 v49, 1
	s_and_saveexec_b64 s[34:35], vcc
	s_cbranch_execz .LBB2_8158
; %bb.8155:                             ;   in Loop: Header=BB2_7844 Depth=3
	v_and_b32_e32 v53, 0x7f, v22
	v_cmp_ne_u32_e32 vcc, s85, v53
	v_mov_b32_e32 v49, 0x7f800001
	s_and_saveexec_b64 s[36:37], vcc
	s_cbranch_execz .LBB2_8157
; %bb.8156:                             ;   in Loop: Header=BB2_7844 Depth=3
	v_and_b32_e32 v49, 7, v28
	v_lshrrev_b32_e32 v55, 3, v53
	v_cmp_gt_u32_e32 vcc, 8, v53
	v_ffbh_u32_e32 v53, v49
	v_min_u32_e32 v40, 32, v53
	v_subrev_u32_e32 v53, 28, v40
	v_lshlrev_b64 v[53:54], v53, v[28:29]
	v_sub_u32_e32 v28, 29, v40
	v_and_b32_e32 v53, 7, v53
	v_cndmask_b32_e32 v28, v55, v28, vcc
	v_cndmask_b32_e32 v49, v49, v53, vcc
	v_lshlrev_b32_e32 v22, 24, v22
	v_lshlrev_b32_e32 v49, 20, v49
	v_and_b32_e32 v22, 0x80000000, v22
	v_lshl_add_u32 v28, v28, 23, v17
	v_or3_b32 v49, v22, v28, v49
.LBB2_8157:                             ;   in Loop: Header=BB2_7844 Depth=3
	s_or_b64 exec, exec, s[36:37]
.LBB2_8158:                             ;   in Loop: Header=BB2_7844 Depth=3
	s_or_b64 exec, exec, s[34:35]
.LBB2_8159:                             ;   in Loop: Header=BB2_7844 Depth=3
	s_or_b64 exec, exec, s[28:29]
	v_and_b32_e32 v28, 0xff, v35
	v_cmp_ne_u16_e32 vcc, 0, v28
	s_and_saveexec_b64 s[28:29], vcc
	s_cbranch_execz .LBB2_8165
; %bb.8160:                             ;   in Loop: Header=BB2_7844 Depth=3
	v_cmp_ne_u16_e32 vcc, s87, v28
	v_bfrev_b32_e32 v48, 1
	s_and_saveexec_b64 s[34:35], vcc
	s_cbranch_execz .LBB2_8164
; %bb.8161:                             ;   in Loop: Header=BB2_7844 Depth=3
	v_and_b32_e32 v22, 0x7f, v35
	v_cmp_ne_u32_e32 vcc, s85, v22
	v_mov_b32_e32 v48, 0x7f800001
	s_and_saveexec_b64 s[36:37], vcc
	s_cbranch_execz .LBB2_8163
; %bb.8162:                             ;   in Loop: Header=BB2_7844 Depth=3
	v_and_b32_e32 v48, 7, v28
	v_lshrrev_b32_e32 v55, 3, v22
	v_cmp_gt_u32_e32 vcc, 8, v22
	v_ffbh_u32_e32 v22, v48
	v_min_u32_e32 v22, 32, v22
	v_subrev_u32_e32 v53, 28, v22
	v_lshlrev_b64 v[53:54], v53, v[28:29]
	v_sub_u32_e32 v22, 29, v22
	v_and_b32_e32 v28, 7, v53
	v_cndmask_b32_e32 v22, v55, v22, vcc
	v_cndmask_b32_e32 v28, v48, v28, vcc
	v_lshlrev_b32_e32 v35, 24, v35
	v_lshlrev_b32_e32 v28, 20, v28
	v_and_b32_e32 v35, 0x80000000, v35
	v_lshl_add_u32 v22, v22, 23, v17
	v_or3_b32 v48, v35, v22, v28
.LBB2_8163:                             ;   in Loop: Header=BB2_7844 Depth=3
	s_or_b64 exec, exec, s[36:37]
.LBB2_8164:                             ;   in Loop: Header=BB2_7844 Depth=3
	s_or_b64 exec, exec, s[34:35]
.LBB2_8165:                             ;   in Loop: Header=BB2_7844 Depth=3
	s_or_b64 exec, exec, s[28:29]
	v_add_f32_e32 v48, v49, v48
	v_and_b32_e32 v28, 0x7f800000, v48
	v_cmp_ne_u64_e32 vcc, s[76:77], v[28:29]
                                        ; implicit-def: $vgpr22
	s_and_saveexec_b64 s[28:29], vcc
	s_xor_b64 s[34:35], exec, s[28:29]
	s_cbranch_execz .LBB2_8183
; %bb.8166:                             ;   in Loop: Header=BB2_7844 Depth=3
	v_and_b32_e32 v28, 0x7fffffff, v48
	v_cmp_gt_u64_e32 vcc, s[78:79], v[28:29]
	v_and_b32_sdwa v35, v48, s87 dst_sel:DWORD dst_unused:UNUSED_PAD src0_sel:BYTE_3 src1_sel:DWORD
                                        ; implicit-def: $vgpr22
	s_and_saveexec_b64 s[28:29], vcc
	s_xor_b64 s[36:37], exec, s[28:29]
	s_cbranch_execz .LBB2_8180
; %bb.8167:                             ;   in Loop: Header=BB2_7844 Depth=3
	v_cmp_ne_u32_e32 vcc, 0, v48
	v_mov_b32_e32 v22, 0
	s_and_saveexec_b64 s[38:39], vcc
	s_cbranch_execz .LBB2_8179
; %bb.8168:                             ;   in Loop: Header=BB2_7844 Depth=3
	v_bfe_u32 v22, v48, 23, 8
	v_and_b32_e32 v28, 0x7fffff, v48
	v_cmp_gt_u32_e64 s[28:29], s96, v22
	v_sub_u32_e32 v48, 0x79, v22
	v_cmp_eq_u32_e32 vcc, 0, v22
	v_cndmask_b32_e64 v48, 0, v48, s[28:29]
	v_or_b32_e32 v49, 0x800000, v28
	v_cndmask_b32_e32 v48, v48, v36, vcc
	v_cndmask_b32_e32 v28, v49, v28, vcc
	v_add_u32_e32 v49, 20, v48
	v_lshlrev_b64 v[53:54], v49, -1
	v_add_u32_e32 v49, 19, v48
	v_lshlrev_b64 v[40:41], v49, 1
	v_bfi_b32 v54, v54, 0, 0
	v_bfi_b32 v53, v53, 0, v28
	v_cmp_eq_u64_e64 s[28:29], v[53:54], v[40:41]
	v_lshrrev_b64 v[53:54], v48, v[28:29]
	v_mov_b32_e32 v55, v54
	v_mov_b32_e32 v54, v53
	s_and_saveexec_b64 s[48:49], s[28:29]
; %bb.8169:                             ;   in Loop: Header=BB2_7844 Depth=3
	v_bfe_u32 v28, v53, 20, 1
	v_add_co_u32_e64 v28, s[28:29], v53, v28
	v_add_co_u32_e64 v54, s[28:29], -1, v28
; %bb.8170:                             ;   in Loop: Header=BB2_7844 Depth=3
	s_or_b64 exec, exec, s[48:49]
	v_add_u32_e32 v22, 0xffffff81, v22
	v_cndmask_b32_e32 v22, v22, v37, vcc
	v_lshrrev_b32_e32 v28, 23, v53
	v_add3_u32 v49, v48, v22, v28
	v_add_u32_e32 v22, 6, v49
	v_and_b32_e32 v28, 0xfffff, v54
	v_add_u32_e32 v28, v28, v53
	v_cmp_ne_u32_e32 vcc, 0, v22
                                        ; implicit-def: $vgpr53_vgpr54
                                        ; implicit-def: $vgpr48
	s_and_saveexec_b64 s[28:29], vcc
	s_xor_b64 s[28:29], exec, s[28:29]
; %bb.8171:                             ;   in Loop: Header=BB2_7844 Depth=3
	v_cmp_lt_u64_e32 vcc, s[88:89], v[28:29]
	v_add_u32_e32 v48, 7, v49
	v_cndmask_b32_e32 v48, v22, v48, vcc
	v_cndmask_b32_e64 v22, 0, 1, vcc
	v_lshrrev_b64 v[53:54], v22, v[28:29]
; %bb.8172:                             ;   in Loop: Header=BB2_7844 Depth=3
	s_andn2_saveexec_b64 s[28:29], s[28:29]
; %bb.8173:                             ;   in Loop: Header=BB2_7844 Depth=3
	v_mov_b32_e32 v54, v29
	v_bfe_u32 v48, v28, 23, 1
	v_mov_b32_e32 v53, v28
; %bb.8174:                             ;   in Loop: Header=BB2_7844 Depth=3
	s_or_b64 exec, exec, s[28:29]
	v_lshrrev_b64 v[53:54], 20, v[53:54]
	v_cmp_gt_i32_e32 vcc, 16, v48
	v_cndmask_b32_e32 v54, 0, v54, vcc
	v_cndmask_b32_e32 v53, 7, v53, vcc
	v_cmp_ne_u64_e32 vcc, 0, v[53:54]
	v_cmp_ne_u32_e64 s[28:29], 0, v48
	s_or_b64 s[28:29], s[28:29], vcc
                                        ; implicit-def: $vgpr22
	s_and_saveexec_b64 s[44:45], s[28:29]
	s_xor_b64 s[28:29], exec, s[44:45]
; %bb.8175:                             ;   in Loop: Header=BB2_7844 Depth=3
	v_min_i32_e32 v22, 15, v48
	v_lshl_or_b32 v22, v22, 3, v35
	v_and_or_b32 v22, v53, 7, v22
                                        ; implicit-def: $vgpr35
; %bb.8176:                             ;   in Loop: Header=BB2_7844 Depth=3
	s_andn2_saveexec_b64 s[28:29], s[28:29]
; %bb.8177:                             ;   in Loop: Header=BB2_7844 Depth=3
	v_mov_b32_e32 v22, v35
; %bb.8178:                             ;   in Loop: Header=BB2_7844 Depth=3
	s_or_b64 exec, exec, s[28:29]
.LBB2_8179:                             ;   in Loop: Header=BB2_7844 Depth=3
	s_or_b64 exec, exec, s[38:39]
                                        ; implicit-def: $vgpr35
.LBB2_8180:                             ;   in Loop: Header=BB2_7844 Depth=3
	s_andn2_saveexec_b64 s[28:29], s[36:37]
; %bb.8181:                             ;   in Loop: Header=BB2_7844 Depth=3
	v_or_b32_e32 v22, 0x7e, v35
; %bb.8182:                             ;   in Loop: Header=BB2_7844 Depth=3
	s_or_b64 exec, exec, s[28:29]
                                        ; implicit-def: $vgpr48
.LBB2_8183:                             ;   in Loop: Header=BB2_7844 Depth=3
	s_andn2_saveexec_b64 s[28:29], s[34:35]
; %bb.8184:                             ;   in Loop: Header=BB2_7844 Depth=3
	v_or_b32_sdwa v22, v48, s85 dst_sel:DWORD dst_unused:UNUSED_PAD src0_sel:BYTE_3 src1_sel:DWORD
; %bb.8185:                             ;   in Loop: Header=BB2_7844 Depth=3
	s_or_b64 exec, exec, s[28:29]
	v_and_b32_e32 v28, 0xff, v16
	v_cmp_ne_u16_e32 vcc, 0, v28
	v_mov_b32_e32 v35, 0
	v_mov_b32_e32 v48, 0
	s_and_saveexec_b64 s[28:29], vcc
	s_cbranch_execz .LBB2_8191
; %bb.8186:                             ;   in Loop: Header=BB2_7844 Depth=3
	v_cmp_ne_u16_e32 vcc, s87, v28
	v_bfrev_b32_e32 v48, 1
	s_and_saveexec_b64 s[34:35], vcc
	s_cbranch_execz .LBB2_8190
; %bb.8187:                             ;   in Loop: Header=BB2_7844 Depth=3
	v_and_b32_e32 v49, 0x7f, v16
	v_cmp_ne_u32_e32 vcc, s85, v49
	v_mov_b32_e32 v48, 0x7f800001
	s_and_saveexec_b64 s[36:37], vcc
	s_cbranch_execz .LBB2_8189
; %bb.8188:                             ;   in Loop: Header=BB2_7844 Depth=3
	v_and_b32_e32 v53, 7, v28
	v_ffbh_u32_e32 v48, v53
	v_min_u32_e32 v55, 32, v48
	v_subrev_u32_e32 v48, 28, v55
	v_lshrrev_b32_e32 v54, 3, v49
	v_cmp_gt_u32_e32 vcc, 8, v49
	v_lshlrev_b64 v[48:49], v48, v[28:29]
	v_sub_u32_e32 v28, 29, v55
	v_and_b32_e32 v48, 7, v48
	v_cndmask_b32_e32 v28, v54, v28, vcc
	v_cndmask_b32_e32 v48, v53, v48, vcc
	v_lshlrev_b32_e32 v16, 24, v16
	v_lshlrev_b32_e32 v48, 20, v48
	v_and_b32_e32 v16, 0x80000000, v16
	v_lshl_add_u32 v28, v28, 23, v17
	v_or3_b32 v48, v16, v28, v48
.LBB2_8189:                             ;   in Loop: Header=BB2_7844 Depth=3
	s_or_b64 exec, exec, s[36:37]
.LBB2_8190:                             ;   in Loop: Header=BB2_7844 Depth=3
	s_or_b64 exec, exec, s[34:35]
.LBB2_8191:                             ;   in Loop: Header=BB2_7844 Depth=3
	s_or_b64 exec, exec, s[28:29]
	v_and_b32_e32 v28, 0xff, v34
	v_cmp_ne_u16_e32 vcc, 0, v28
	s_and_saveexec_b64 s[28:29], vcc
	s_cbranch_execz .LBB2_8197
; %bb.8192:                             ;   in Loop: Header=BB2_7844 Depth=3
	v_cmp_ne_u16_e32 vcc, s87, v28
	v_bfrev_b32_e32 v35, 1
	s_and_saveexec_b64 s[34:35], vcc
	s_cbranch_execz .LBB2_8196
; %bb.8193:                             ;   in Loop: Header=BB2_7844 Depth=3
	v_and_b32_e32 v16, 0x7f, v34
	v_cmp_ne_u32_e32 vcc, s85, v16
	v_mov_b32_e32 v35, 0x7f800001
	s_and_saveexec_b64 s[36:37], vcc
	s_cbranch_execz .LBB2_8195
; %bb.8194:                             ;   in Loop: Header=BB2_7844 Depth=3
	v_and_b32_e32 v35, 7, v28
	v_lshrrev_b32_e32 v49, 3, v16
	v_cmp_gt_u32_e32 vcc, 8, v16
	v_ffbh_u32_e32 v16, v35
	v_min_u32_e32 v16, 32, v16
	v_subrev_u32_e32 v53, 28, v16
	v_lshlrev_b64 v[53:54], v53, v[28:29]
	v_sub_u32_e32 v16, 29, v16
	v_and_b32_e32 v28, 7, v53
	v_cndmask_b32_e32 v16, v49, v16, vcc
	v_cndmask_b32_e32 v28, v35, v28, vcc
	v_lshlrev_b32_e32 v34, 24, v34
	v_lshlrev_b32_e32 v28, 20, v28
	v_and_b32_e32 v34, 0x80000000, v34
	v_lshl_add_u32 v16, v16, 23, v17
	v_or3_b32 v35, v34, v16, v28
.LBB2_8195:                             ;   in Loop: Header=BB2_7844 Depth=3
	s_or_b64 exec, exec, s[36:37]
.LBB2_8196:                             ;   in Loop: Header=BB2_7844 Depth=3
	s_or_b64 exec, exec, s[34:35]
.LBB2_8197:                             ;   in Loop: Header=BB2_7844 Depth=3
	s_or_b64 exec, exec, s[28:29]
	v_add_f32_e32 v35, v48, v35
	v_and_b32_e32 v28, 0x7f800000, v35
	v_cmp_ne_u64_e32 vcc, s[76:77], v[28:29]
                                        ; implicit-def: $vgpr16
	s_and_saveexec_b64 s[28:29], vcc
	s_xor_b64 s[34:35], exec, s[28:29]
	s_cbranch_execz .LBB2_8215
; %bb.8198:                             ;   in Loop: Header=BB2_7844 Depth=3
	v_and_b32_e32 v28, 0x7fffffff, v35
	v_cmp_gt_u64_e32 vcc, s[78:79], v[28:29]
	v_and_b32_sdwa v34, v35, s87 dst_sel:DWORD dst_unused:UNUSED_PAD src0_sel:BYTE_3 src1_sel:DWORD
                                        ; implicit-def: $vgpr16
	s_and_saveexec_b64 s[28:29], vcc
	s_xor_b64 s[36:37], exec, s[28:29]
	s_cbranch_execz .LBB2_8212
; %bb.8199:                             ;   in Loop: Header=BB2_7844 Depth=3
	v_cmp_ne_u32_e32 vcc, 0, v35
	v_mov_b32_e32 v16, 0
	s_and_saveexec_b64 s[38:39], vcc
	s_cbranch_execz .LBB2_8211
; %bb.8200:                             ;   in Loop: Header=BB2_7844 Depth=3
	v_bfe_u32 v16, v35, 23, 8
	v_and_b32_e32 v28, 0x7fffff, v35
	v_cmp_gt_u32_e64 s[28:29], s96, v16
	v_sub_u32_e32 v35, 0x79, v16
	v_cmp_eq_u32_e32 vcc, 0, v16
	v_cndmask_b32_e64 v35, 0, v35, s[28:29]
	v_or_b32_e32 v48, 0x800000, v28
	v_cndmask_b32_e32 v35, v35, v36, vcc
	v_cndmask_b32_e32 v28, v48, v28, vcc
	v_add_u32_e32 v48, 20, v35
	v_lshlrev_b64 v[48:49], v48, -1
	v_add_u32_e32 v53, 19, v35
	v_lshlrev_b64 v[53:54], v53, 1
	v_bfi_b32 v49, v49, 0, 0
	v_bfi_b32 v48, v48, 0, v28
	v_cmp_eq_u64_e64 s[28:29], v[48:49], v[53:54]
	v_lshrrev_b64 v[53:54], v35, v[28:29]
	v_mov_b32_e32 v55, v54
	v_mov_b32_e32 v54, v53
	s_and_saveexec_b64 s[48:49], s[28:29]
; %bb.8201:                             ;   in Loop: Header=BB2_7844 Depth=3
	v_bfe_u32 v28, v53, 20, 1
	v_add_co_u32_e64 v28, s[28:29], v53, v28
	v_add_co_u32_e64 v54, s[28:29], -1, v28
; %bb.8202:                             ;   in Loop: Header=BB2_7844 Depth=3
	s_or_b64 exec, exec, s[48:49]
	v_add_u32_e32 v16, 0xffffff81, v16
	v_cndmask_b32_e32 v16, v16, v37, vcc
	v_lshrrev_b32_e32 v28, 23, v53
	v_add3_u32 v48, v35, v16, v28
	v_add_u32_e32 v16, 6, v48
	v_and_b32_e32 v28, 0xfffff, v54
	v_add_u32_e32 v28, v28, v53
	v_cmp_ne_u32_e32 vcc, 0, v16
                                        ; implicit-def: $vgpr53_vgpr54
                                        ; implicit-def: $vgpr35
	s_and_saveexec_b64 s[28:29], vcc
	s_xor_b64 s[28:29], exec, s[28:29]
; %bb.8203:                             ;   in Loop: Header=BB2_7844 Depth=3
	v_cmp_lt_u64_e32 vcc, s[88:89], v[28:29]
	v_add_u32_e32 v35, 7, v48
	v_cndmask_b32_e32 v35, v16, v35, vcc
	v_cndmask_b32_e64 v16, 0, 1, vcc
	v_lshrrev_b64 v[53:54], v16, v[28:29]
; %bb.8204:                             ;   in Loop: Header=BB2_7844 Depth=3
	s_andn2_saveexec_b64 s[28:29], s[28:29]
; %bb.8205:                             ;   in Loop: Header=BB2_7844 Depth=3
	v_mov_b32_e32 v54, v29
	v_bfe_u32 v35, v28, 23, 1
	v_mov_b32_e32 v53, v28
; %bb.8206:                             ;   in Loop: Header=BB2_7844 Depth=3
	s_or_b64 exec, exec, s[28:29]
	v_lshrrev_b64 v[48:49], 20, v[53:54]
	v_cmp_gt_i32_e32 vcc, 16, v35
	v_cndmask_b32_e32 v54, 0, v49, vcc
	v_cndmask_b32_e32 v53, 7, v48, vcc
	v_cmp_ne_u64_e32 vcc, 0, v[53:54]
	v_cmp_ne_u32_e64 s[28:29], 0, v35
	s_or_b64 s[28:29], s[28:29], vcc
                                        ; implicit-def: $vgpr16
	s_and_saveexec_b64 s[44:45], s[28:29]
	s_xor_b64 s[28:29], exec, s[44:45]
; %bb.8207:                             ;   in Loop: Header=BB2_7844 Depth=3
	v_min_i32_e32 v16, 15, v35
	v_lshl_or_b32 v16, v16, 3, v34
	v_and_or_b32 v16, v53, 7, v16
                                        ; implicit-def: $vgpr34
; %bb.8208:                             ;   in Loop: Header=BB2_7844 Depth=3
	s_andn2_saveexec_b64 s[28:29], s[28:29]
; %bb.8209:                             ;   in Loop: Header=BB2_7844 Depth=3
	v_mov_b32_e32 v16, v34
; %bb.8210:                             ;   in Loop: Header=BB2_7844 Depth=3
	s_or_b64 exec, exec, s[28:29]
.LBB2_8211:                             ;   in Loop: Header=BB2_7844 Depth=3
	s_or_b64 exec, exec, s[38:39]
                                        ; implicit-def: $vgpr34
.LBB2_8212:                             ;   in Loop: Header=BB2_7844 Depth=3
	s_andn2_saveexec_b64 s[28:29], s[36:37]
; %bb.8213:                             ;   in Loop: Header=BB2_7844 Depth=3
	v_or_b32_e32 v16, 0x7e, v34
; %bb.8214:                             ;   in Loop: Header=BB2_7844 Depth=3
	s_or_b64 exec, exec, s[28:29]
                                        ; implicit-def: $vgpr35
.LBB2_8215:                             ;   in Loop: Header=BB2_7844 Depth=3
	s_andn2_saveexec_b64 s[28:29], s[34:35]
; %bb.8216:                             ;   in Loop: Header=BB2_7844 Depth=3
	v_or_b32_sdwa v16, v35, s85 dst_sel:DWORD dst_unused:UNUSED_PAD src0_sel:BYTE_3 src1_sel:DWORD
; %bb.8217:                             ;   in Loop: Header=BB2_7844 Depth=3
	s_or_b64 exec, exec, s[28:29]
	v_and_b32_e32 v28, 0xff, v7
	v_cmp_ne_u16_e32 vcc, 0, v28
	v_mov_b32_e32 v34, 0
	v_mov_b32_e32 v35, 0
	s_and_saveexec_b64 s[28:29], vcc
	s_cbranch_execz .LBB2_8223
; %bb.8218:                             ;   in Loop: Header=BB2_7844 Depth=3
	v_cmp_ne_u16_e32 vcc, s87, v28
	v_bfrev_b32_e32 v35, 1
	s_and_saveexec_b64 s[34:35], vcc
	s_cbranch_execz .LBB2_8222
; %bb.8219:                             ;   in Loop: Header=BB2_7844 Depth=3
	v_and_b32_e32 v48, 0x7f, v7
	v_cmp_ne_u32_e32 vcc, s85, v48
	v_mov_b32_e32 v35, 0x7f800001
	s_and_saveexec_b64 s[36:37], vcc
	s_cbranch_execz .LBB2_8221
; %bb.8220:                             ;   in Loop: Header=BB2_7844 Depth=3
	v_and_b32_e32 v35, 7, v28
	v_lshrrev_b32_e32 v53, 3, v48
	v_cmp_gt_u32_e32 vcc, 8, v48
	v_ffbh_u32_e32 v48, v35
	v_min_u32_e32 v54, 32, v48
	v_subrev_u32_e32 v48, 28, v54
	v_lshlrev_b64 v[48:49], v48, v[28:29]
	v_sub_u32_e32 v28, 29, v54
	v_and_b32_e32 v48, 7, v48
	v_cndmask_b32_e32 v28, v53, v28, vcc
	v_cndmask_b32_e32 v35, v35, v48, vcc
	v_lshlrev_b32_e32 v7, 24, v7
	v_lshlrev_b32_e32 v35, 20, v35
	v_and_b32_e32 v7, 0x80000000, v7
	v_lshl_add_u32 v28, v28, 23, v17
	v_or3_b32 v35, v7, v28, v35
.LBB2_8221:                             ;   in Loop: Header=BB2_7844 Depth=3
	s_or_b64 exec, exec, s[36:37]
.LBB2_8222:                             ;   in Loop: Header=BB2_7844 Depth=3
	s_or_b64 exec, exec, s[34:35]
.LBB2_8223:                             ;   in Loop: Header=BB2_7844 Depth=3
	s_or_b64 exec, exec, s[28:29]
	v_and_b32_e32 v28, 0xff, v33
	v_cmp_ne_u16_e32 vcc, 0, v28
	s_and_saveexec_b64 s[28:29], vcc
	s_cbranch_execz .LBB2_8229
; %bb.8224:                             ;   in Loop: Header=BB2_7844 Depth=3
	v_cmp_ne_u16_e32 vcc, s87, v28
	v_bfrev_b32_e32 v34, 1
	s_and_saveexec_b64 s[34:35], vcc
	s_cbranch_execz .LBB2_8228
; %bb.8225:                             ;   in Loop: Header=BB2_7844 Depth=3
	v_and_b32_e32 v7, 0x7f, v33
	v_cmp_ne_u32_e32 vcc, s85, v7
	v_mov_b32_e32 v34, 0x7f800001
	s_and_saveexec_b64 s[36:37], vcc
	s_cbranch_execz .LBB2_8227
; %bb.8226:                             ;   in Loop: Header=BB2_7844 Depth=3
	v_and_b32_e32 v34, 7, v28
	v_lshrrev_b32_e32 v53, 3, v7
	v_cmp_gt_u32_e32 vcc, 8, v7
	v_ffbh_u32_e32 v7, v34
	v_min_u32_e32 v7, 32, v7
	v_subrev_u32_e32 v48, 28, v7
	v_lshlrev_b64 v[48:49], v48, v[28:29]
	v_sub_u32_e32 v7, 29, v7
	v_and_b32_e32 v28, 7, v48
	v_cndmask_b32_e32 v7, v53, v7, vcc
	v_cndmask_b32_e32 v28, v34, v28, vcc
	v_lshlrev_b32_e32 v33, 24, v33
	v_lshlrev_b32_e32 v28, 20, v28
	v_and_b32_e32 v33, 0x80000000, v33
	v_lshl_add_u32 v7, v7, 23, v17
	v_or3_b32 v34, v33, v7, v28
.LBB2_8227:                             ;   in Loop: Header=BB2_7844 Depth=3
	s_or_b64 exec, exec, s[36:37]
.LBB2_8228:                             ;   in Loop: Header=BB2_7844 Depth=3
	s_or_b64 exec, exec, s[34:35]
.LBB2_8229:                             ;   in Loop: Header=BB2_7844 Depth=3
	s_or_b64 exec, exec, s[28:29]
	v_add_f32_e32 v34, v35, v34
	v_and_b32_e32 v28, 0x7f800000, v34
	v_cmp_ne_u64_e32 vcc, s[76:77], v[28:29]
                                        ; implicit-def: $vgpr7
	s_and_saveexec_b64 s[28:29], vcc
	s_xor_b64 s[34:35], exec, s[28:29]
	s_cbranch_execz .LBB2_8247
; %bb.8230:                             ;   in Loop: Header=BB2_7844 Depth=3
	v_and_b32_e32 v28, 0x7fffffff, v34
	v_cmp_gt_u64_e32 vcc, s[78:79], v[28:29]
	v_and_b32_sdwa v33, v34, s87 dst_sel:DWORD dst_unused:UNUSED_PAD src0_sel:BYTE_3 src1_sel:DWORD
                                        ; implicit-def: $vgpr7
	s_and_saveexec_b64 s[28:29], vcc
	s_xor_b64 s[36:37], exec, s[28:29]
	s_cbranch_execz .LBB2_8244
; %bb.8231:                             ;   in Loop: Header=BB2_7844 Depth=3
	v_cmp_ne_u32_e32 vcc, 0, v34
	v_mov_b32_e32 v7, 0
	s_and_saveexec_b64 s[38:39], vcc
	s_cbranch_execz .LBB2_8243
; %bb.8232:                             ;   in Loop: Header=BB2_7844 Depth=3
	v_bfe_u32 v7, v34, 23, 8
	v_and_b32_e32 v28, 0x7fffff, v34
	v_cmp_gt_u32_e64 s[28:29], s96, v7
	v_sub_u32_e32 v34, 0x79, v7
	v_cmp_eq_u32_e32 vcc, 0, v7
	v_cndmask_b32_e64 v34, 0, v34, s[28:29]
	v_or_b32_e32 v35, 0x800000, v28
	v_cndmask_b32_e32 v34, v34, v36, vcc
	v_cndmask_b32_e32 v28, v35, v28, vcc
	v_add_u32_e32 v35, 20, v34
	v_lshlrev_b64 v[48:49], v35, -1
	v_add_u32_e32 v35, 19, v34
	v_lshlrev_b64 v[53:54], v35, 1
	v_bfi_b32 v49, v49, 0, 0
	v_bfi_b32 v48, v48, 0, v28
	v_cmp_eq_u64_e64 s[28:29], v[48:49], v[53:54]
	v_lshrrev_b64 v[53:54], v34, v[28:29]
	v_mov_b32_e32 v55, v54
	v_mov_b32_e32 v54, v53
	s_and_saveexec_b64 s[48:49], s[28:29]
; %bb.8233:                             ;   in Loop: Header=BB2_7844 Depth=3
	v_bfe_u32 v28, v53, 20, 1
	v_add_co_u32_e64 v28, s[28:29], v53, v28
	v_add_co_u32_e64 v54, s[28:29], -1, v28
; %bb.8234:                             ;   in Loop: Header=BB2_7844 Depth=3
	s_or_b64 exec, exec, s[48:49]
	v_add_u32_e32 v7, 0xffffff81, v7
	v_cndmask_b32_e32 v7, v7, v37, vcc
	v_lshrrev_b32_e32 v28, 23, v53
	v_add3_u32 v35, v34, v7, v28
	v_add_u32_e32 v7, 6, v35
	v_and_b32_e32 v28, 0xfffff, v54
	v_add_u32_e32 v28, v28, v53
	v_cmp_ne_u32_e32 vcc, 0, v7
                                        ; implicit-def: $vgpr53_vgpr54
                                        ; implicit-def: $vgpr34
	s_and_saveexec_b64 s[28:29], vcc
	s_xor_b64 s[28:29], exec, s[28:29]
; %bb.8235:                             ;   in Loop: Header=BB2_7844 Depth=3
	v_cmp_lt_u64_e32 vcc, s[88:89], v[28:29]
	v_add_u32_e32 v34, 7, v35
	v_cndmask_b32_e32 v34, v7, v34, vcc
	v_cndmask_b32_e64 v7, 0, 1, vcc
	v_lshrrev_b64 v[53:54], v7, v[28:29]
; %bb.8236:                             ;   in Loop: Header=BB2_7844 Depth=3
	s_andn2_saveexec_b64 s[28:29], s[28:29]
; %bb.8237:                             ;   in Loop: Header=BB2_7844 Depth=3
	v_mov_b32_e32 v54, v29
	v_bfe_u32 v34, v28, 23, 1
	v_mov_b32_e32 v53, v28
; %bb.8238:                             ;   in Loop: Header=BB2_7844 Depth=3
	s_or_b64 exec, exec, s[28:29]
	v_lshrrev_b64 v[48:49], 20, v[53:54]
	v_cmp_gt_i32_e32 vcc, 16, v34
	v_cndmask_b32_e32 v54, 0, v49, vcc
	v_cndmask_b32_e32 v53, 7, v48, vcc
	v_cmp_ne_u64_e32 vcc, 0, v[53:54]
	v_cmp_ne_u32_e64 s[28:29], 0, v34
	s_or_b64 s[28:29], s[28:29], vcc
                                        ; implicit-def: $vgpr7
	s_and_saveexec_b64 s[44:45], s[28:29]
	s_xor_b64 s[28:29], exec, s[44:45]
; %bb.8239:                             ;   in Loop: Header=BB2_7844 Depth=3
	v_min_i32_e32 v7, 15, v34
	v_lshl_or_b32 v7, v7, 3, v33
	v_and_or_b32 v7, v53, 7, v7
                                        ; implicit-def: $vgpr33
; %bb.8240:                             ;   in Loop: Header=BB2_7844 Depth=3
	s_andn2_saveexec_b64 s[28:29], s[28:29]
; %bb.8241:                             ;   in Loop: Header=BB2_7844 Depth=3
	v_mov_b32_e32 v7, v33
; %bb.8242:                             ;   in Loop: Header=BB2_7844 Depth=3
	s_or_b64 exec, exec, s[28:29]
.LBB2_8243:                             ;   in Loop: Header=BB2_7844 Depth=3
	s_or_b64 exec, exec, s[38:39]
                                        ; implicit-def: $vgpr33
.LBB2_8244:                             ;   in Loop: Header=BB2_7844 Depth=3
	s_andn2_saveexec_b64 s[28:29], s[36:37]
; %bb.8245:                             ;   in Loop: Header=BB2_7844 Depth=3
	v_or_b32_e32 v7, 0x7e, v33
; %bb.8246:                             ;   in Loop: Header=BB2_7844 Depth=3
	s_or_b64 exec, exec, s[28:29]
                                        ; implicit-def: $vgpr34
.LBB2_8247:                             ;   in Loop: Header=BB2_7844 Depth=3
	s_andn2_saveexec_b64 s[28:29], s[34:35]
; %bb.8248:                             ;   in Loop: Header=BB2_7844 Depth=3
	v_or_b32_sdwa v7, v34, s85 dst_sel:DWORD dst_unused:UNUSED_PAD src0_sel:BYTE_3 src1_sel:DWORD
; %bb.8249:                             ;   in Loop: Header=BB2_7844 Depth=3
	s_or_b64 exec, exec, s[28:29]
	v_and_b32_e32 v28, 0xff, v6
	v_cmp_ne_u16_e32 vcc, 0, v28
	v_mov_b32_e32 v33, 0
	v_mov_b32_e32 v34, 0
	s_and_saveexec_b64 s[28:29], vcc
	s_cbranch_execz .LBB2_8255
; %bb.8250:                             ;   in Loop: Header=BB2_7844 Depth=3
	v_cmp_ne_u16_e32 vcc, s87, v28
	v_bfrev_b32_e32 v34, 1
	s_and_saveexec_b64 s[34:35], vcc
	s_cbranch_execz .LBB2_8254
; %bb.8251:                             ;   in Loop: Header=BB2_7844 Depth=3
	v_and_b32_e32 v35, 0x7f, v6
	v_cmp_ne_u32_e32 vcc, s85, v35
	v_mov_b32_e32 v34, 0x7f800001
	s_and_saveexec_b64 s[36:37], vcc
	s_cbranch_execz .LBB2_8253
; %bb.8252:                             ;   in Loop: Header=BB2_7844 Depth=3
	v_and_b32_e32 v48, 7, v28
	v_ffbh_u32_e32 v34, v48
	v_min_u32_e32 v53, 32, v34
	v_subrev_u32_e32 v34, 28, v53
	v_lshrrev_b32_e32 v49, 3, v35
	v_cmp_gt_u32_e32 vcc, 8, v35
	v_lshlrev_b64 v[34:35], v34, v[28:29]
	v_sub_u32_e32 v28, 29, v53
	v_and_b32_e32 v34, 7, v34
	v_cndmask_b32_e32 v28, v49, v28, vcc
	v_cndmask_b32_e32 v34, v48, v34, vcc
	v_lshlrev_b32_e32 v6, 24, v6
	v_lshlrev_b32_e32 v34, 20, v34
	v_and_b32_e32 v6, 0x80000000, v6
	v_lshl_add_u32 v28, v28, 23, v17
	v_or3_b32 v34, v6, v28, v34
.LBB2_8253:                             ;   in Loop: Header=BB2_7844 Depth=3
	s_or_b64 exec, exec, s[36:37]
.LBB2_8254:                             ;   in Loop: Header=BB2_7844 Depth=3
	s_or_b64 exec, exec, s[34:35]
.LBB2_8255:                             ;   in Loop: Header=BB2_7844 Depth=3
	s_or_b64 exec, exec, s[28:29]
	v_and_b32_e32 v28, 0xff, v31
	v_cmp_ne_u16_e32 vcc, 0, v28
	s_and_saveexec_b64 s[28:29], vcc
	s_cbranch_execz .LBB2_8261
; %bb.8256:                             ;   in Loop: Header=BB2_7844 Depth=3
	v_cmp_ne_u16_e32 vcc, s87, v28
	v_bfrev_b32_e32 v33, 1
	s_and_saveexec_b64 s[34:35], vcc
	s_cbranch_execz .LBB2_8260
; %bb.8257:                             ;   in Loop: Header=BB2_7844 Depth=3
	v_and_b32_e32 v6, 0x7f, v31
	v_cmp_ne_u32_e32 vcc, s85, v6
	v_mov_b32_e32 v33, 0x7f800001
	s_and_saveexec_b64 s[36:37], vcc
	s_cbranch_execz .LBB2_8259
; %bb.8258:                             ;   in Loop: Header=BB2_7844 Depth=3
	v_and_b32_e32 v33, 7, v28
	v_lshrrev_b32_e32 v35, 3, v6
	v_cmp_gt_u32_e32 vcc, 8, v6
	v_ffbh_u32_e32 v6, v33
	v_min_u32_e32 v6, 32, v6
	v_subrev_u32_e32 v48, 28, v6
	v_lshlrev_b64 v[48:49], v48, v[28:29]
	v_sub_u32_e32 v6, 29, v6
	v_and_b32_e32 v28, 7, v48
	v_cndmask_b32_e32 v6, v35, v6, vcc
	v_cndmask_b32_e32 v28, v33, v28, vcc
	v_lshlrev_b32_e32 v31, 24, v31
	v_lshlrev_b32_e32 v28, 20, v28
	v_and_b32_e32 v31, 0x80000000, v31
	v_lshl_add_u32 v6, v6, 23, v17
	v_or3_b32 v33, v31, v6, v28
.LBB2_8259:                             ;   in Loop: Header=BB2_7844 Depth=3
	s_or_b64 exec, exec, s[36:37]
.LBB2_8260:                             ;   in Loop: Header=BB2_7844 Depth=3
	s_or_b64 exec, exec, s[34:35]
.LBB2_8261:                             ;   in Loop: Header=BB2_7844 Depth=3
	s_or_b64 exec, exec, s[28:29]
	v_add_f32_e32 v33, v34, v33
	v_and_b32_e32 v28, 0x7f800000, v33
	v_cmp_ne_u64_e32 vcc, s[76:77], v[28:29]
                                        ; implicit-def: $vgpr6
	s_and_saveexec_b64 s[28:29], vcc
	s_xor_b64 s[34:35], exec, s[28:29]
	s_cbranch_execz .LBB2_8279
; %bb.8262:                             ;   in Loop: Header=BB2_7844 Depth=3
	v_and_b32_e32 v28, 0x7fffffff, v33
	v_cmp_gt_u64_e32 vcc, s[78:79], v[28:29]
	v_and_b32_sdwa v31, v33, s87 dst_sel:DWORD dst_unused:UNUSED_PAD src0_sel:BYTE_3 src1_sel:DWORD
                                        ; implicit-def: $vgpr6
	s_and_saveexec_b64 s[28:29], vcc
	s_xor_b64 s[36:37], exec, s[28:29]
	s_cbranch_execz .LBB2_8276
; %bb.8263:                             ;   in Loop: Header=BB2_7844 Depth=3
	v_cmp_ne_u32_e32 vcc, 0, v33
	v_mov_b32_e32 v6, 0
	s_and_saveexec_b64 s[38:39], vcc
	s_cbranch_execz .LBB2_8275
; %bb.8264:                             ;   in Loop: Header=BB2_7844 Depth=3
	v_bfe_u32 v6, v33, 23, 8
	v_and_b32_e32 v28, 0x7fffff, v33
	v_cmp_gt_u32_e64 s[28:29], s96, v6
	v_sub_u32_e32 v33, 0x79, v6
	v_cmp_eq_u32_e32 vcc, 0, v6
	v_cndmask_b32_e64 v33, 0, v33, s[28:29]
	v_or_b32_e32 v34, 0x800000, v28
	v_cndmask_b32_e32 v33, v33, v36, vcc
	v_cndmask_b32_e32 v28, v34, v28, vcc
	v_add_u32_e32 v34, 20, v33
	v_lshlrev_b64 v[34:35], v34, -1
	v_add_u32_e32 v48, 19, v33
	v_lshlrev_b64 v[48:49], v48, 1
	v_lshrrev_b64 v[53:54], v33, v[28:29]
	v_bfi_b32 v35, v35, 0, 0
	v_bfi_b32 v34, v34, 0, v28
	v_cmp_eq_u64_e64 s[28:29], v[34:35], v[48:49]
	v_mov_b32_e32 v55, v54
	v_mov_b32_e32 v54, v53
	s_and_saveexec_b64 s[48:49], s[28:29]
; %bb.8265:                             ;   in Loop: Header=BB2_7844 Depth=3
	v_bfe_u32 v28, v53, 20, 1
	v_add_co_u32_e64 v28, s[28:29], v53, v28
	v_add_co_u32_e64 v54, s[28:29], -1, v28
; %bb.8266:                             ;   in Loop: Header=BB2_7844 Depth=3
	s_or_b64 exec, exec, s[48:49]
	v_add_u32_e32 v6, 0xffffff81, v6
	v_cndmask_b32_e32 v6, v6, v37, vcc
	v_lshrrev_b32_e32 v28, 23, v53
	v_add3_u32 v34, v33, v6, v28
	v_add_u32_e32 v6, 6, v34
	v_and_b32_e32 v28, 0xfffff, v54
	v_add_u32_e32 v28, v28, v53
	v_cmp_ne_u32_e32 vcc, 0, v6
                                        ; implicit-def: $vgpr53_vgpr54
                                        ; implicit-def: $vgpr33
	s_and_saveexec_b64 s[28:29], vcc
	s_xor_b64 s[28:29], exec, s[28:29]
; %bb.8267:                             ;   in Loop: Header=BB2_7844 Depth=3
	v_cmp_lt_u64_e32 vcc, s[88:89], v[28:29]
	v_add_u32_e32 v33, 7, v34
	v_cndmask_b32_e32 v33, v6, v33, vcc
	v_cndmask_b32_e64 v6, 0, 1, vcc
	v_lshrrev_b64 v[53:54], v6, v[28:29]
; %bb.8268:                             ;   in Loop: Header=BB2_7844 Depth=3
	s_andn2_saveexec_b64 s[28:29], s[28:29]
; %bb.8269:                             ;   in Loop: Header=BB2_7844 Depth=3
	v_mov_b32_e32 v54, v29
	v_bfe_u32 v33, v28, 23, 1
	v_mov_b32_e32 v53, v28
; %bb.8270:                             ;   in Loop: Header=BB2_7844 Depth=3
	s_or_b64 exec, exec, s[28:29]
	v_lshrrev_b64 v[34:35], 20, v[53:54]
	v_cmp_gt_i32_e32 vcc, 16, v33
	v_cndmask_b32_e32 v54, 0, v35, vcc
	v_cndmask_b32_e32 v53, 7, v34, vcc
	v_cmp_ne_u64_e32 vcc, 0, v[53:54]
	v_cmp_ne_u32_e64 s[28:29], 0, v33
	s_or_b64 s[28:29], s[28:29], vcc
                                        ; implicit-def: $vgpr6
	s_and_saveexec_b64 s[44:45], s[28:29]
	s_xor_b64 s[28:29], exec, s[44:45]
; %bb.8271:                             ;   in Loop: Header=BB2_7844 Depth=3
	v_min_i32_e32 v6, 15, v33
	v_lshl_or_b32 v6, v6, 3, v31
	v_and_or_b32 v6, v53, 7, v6
                                        ; implicit-def: $vgpr31
; %bb.8272:                             ;   in Loop: Header=BB2_7844 Depth=3
	s_andn2_saveexec_b64 s[28:29], s[28:29]
; %bb.8273:                             ;   in Loop: Header=BB2_7844 Depth=3
	v_mov_b32_e32 v6, v31
; %bb.8274:                             ;   in Loop: Header=BB2_7844 Depth=3
	s_or_b64 exec, exec, s[28:29]
.LBB2_8275:                             ;   in Loop: Header=BB2_7844 Depth=3
	s_or_b64 exec, exec, s[38:39]
                                        ; implicit-def: $vgpr31
.LBB2_8276:                             ;   in Loop: Header=BB2_7844 Depth=3
	s_andn2_saveexec_b64 s[28:29], s[36:37]
; %bb.8277:                             ;   in Loop: Header=BB2_7844 Depth=3
	v_or_b32_e32 v6, 0x7e, v31
; %bb.8278:                             ;   in Loop: Header=BB2_7844 Depth=3
	s_or_b64 exec, exec, s[28:29]
                                        ; implicit-def: $vgpr33
.LBB2_8279:                             ;   in Loop: Header=BB2_7844 Depth=3
	s_andn2_saveexec_b64 s[28:29], s[34:35]
; %bb.8280:                             ;   in Loop: Header=BB2_7844 Depth=3
	v_or_b32_sdwa v6, v33, s85 dst_sel:DWORD dst_unused:UNUSED_PAD src0_sel:BYTE_3 src1_sel:DWORD
; %bb.8281:                             ;   in Loop: Header=BB2_7844 Depth=3
	s_or_b64 exec, exec, s[28:29]
	v_and_b32_e32 v28, 0xff, v2
	v_cmp_ne_u16_e32 vcc, 0, v28
	v_mov_b32_e32 v31, 0
	v_mov_b32_e32 v33, 0
	s_and_saveexec_b64 s[28:29], vcc
	s_cbranch_execz .LBB2_8287
; %bb.8282:                             ;   in Loop: Header=BB2_7844 Depth=3
	v_cmp_ne_u16_e32 vcc, s87, v28
	v_bfrev_b32_e32 v33, 1
	s_and_saveexec_b64 s[34:35], vcc
	s_cbranch_execz .LBB2_8286
; %bb.8283:                             ;   in Loop: Header=BB2_7844 Depth=3
	v_and_b32_e32 v34, 0x7f, v2
	v_cmp_ne_u32_e32 vcc, s85, v34
	v_mov_b32_e32 v33, 0x7f800001
	s_and_saveexec_b64 s[36:37], vcc
	s_cbranch_execz .LBB2_8285
; %bb.8284:                             ;   in Loop: Header=BB2_7844 Depth=3
	v_and_b32_e32 v35, 7, v28
	v_ffbh_u32_e32 v33, v35
	v_min_u32_e32 v49, 32, v33
	v_subrev_u32_e32 v33, 28, v49
	v_lshrrev_b32_e32 v48, 3, v34
	v_cmp_gt_u32_e32 vcc, 8, v34
	v_lshlrev_b64 v[33:34], v33, v[28:29]
	v_sub_u32_e32 v28, 29, v49
	v_and_b32_e32 v33, 7, v33
	v_cndmask_b32_e32 v28, v48, v28, vcc
	v_cndmask_b32_e32 v33, v35, v33, vcc
	v_lshlrev_b32_e32 v2, 24, v2
	v_lshlrev_b32_e32 v33, 20, v33
	v_and_b32_e32 v2, 0x80000000, v2
	v_lshl_add_u32 v28, v28, 23, v17
	v_or3_b32 v33, v2, v28, v33
.LBB2_8285:                             ;   in Loop: Header=BB2_7844 Depth=3
	s_or_b64 exec, exec, s[36:37]
.LBB2_8286:                             ;   in Loop: Header=BB2_7844 Depth=3
	s_or_b64 exec, exec, s[34:35]
.LBB2_8287:                             ;   in Loop: Header=BB2_7844 Depth=3
	s_or_b64 exec, exec, s[28:29]
	v_and_b32_e32 v28, 0xff, v3
	v_cmp_ne_u16_e32 vcc, 0, v28
	s_and_saveexec_b64 s[28:29], vcc
	s_cbranch_execz .LBB2_8293
; %bb.8288:                             ;   in Loop: Header=BB2_7844 Depth=3
	v_cmp_ne_u16_e32 vcc, s87, v28
	v_bfrev_b32_e32 v31, 1
	s_and_saveexec_b64 s[34:35], vcc
	s_cbranch_execz .LBB2_8292
; %bb.8289:                             ;   in Loop: Header=BB2_7844 Depth=3
	v_and_b32_e32 v2, 0x7f, v3
	v_cmp_ne_u32_e32 vcc, s85, v2
	v_mov_b32_e32 v31, 0x7f800001
	s_and_saveexec_b64 s[36:37], vcc
	s_cbranch_execz .LBB2_8291
; %bb.8290:                             ;   in Loop: Header=BB2_7844 Depth=3
	v_and_b32_e32 v31, 7, v28
	v_lshrrev_b32_e32 v48, 3, v2
	v_cmp_gt_u32_e32 vcc, 8, v2
	v_ffbh_u32_e32 v2, v31
	v_min_u32_e32 v2, 32, v2
	v_subrev_u32_e32 v34, 28, v2
	v_lshlrev_b64 v[34:35], v34, v[28:29]
	v_sub_u32_e32 v2, 29, v2
	v_and_b32_e32 v28, 7, v34
	v_cndmask_b32_e32 v2, v48, v2, vcc
	v_cndmask_b32_e32 v28, v31, v28, vcc
	v_lshlrev_b32_e32 v3, 24, v3
	v_lshlrev_b32_e32 v28, 20, v28
	v_and_b32_e32 v3, 0x80000000, v3
	v_lshl_add_u32 v2, v2, 23, v17
	v_or3_b32 v31, v3, v2, v28
.LBB2_8291:                             ;   in Loop: Header=BB2_7844 Depth=3
	s_or_b64 exec, exec, s[36:37]
.LBB2_8292:                             ;   in Loop: Header=BB2_7844 Depth=3
	s_or_b64 exec, exec, s[34:35]
.LBB2_8293:                             ;   in Loop: Header=BB2_7844 Depth=3
	s_or_b64 exec, exec, s[28:29]
	v_add_f32_e32 v31, v33, v31
	v_and_b32_e32 v28, 0x7f800000, v31
	v_cmp_ne_u64_e32 vcc, s[76:77], v[28:29]
                                        ; implicit-def: $vgpr3
	s_and_saveexec_b64 s[28:29], vcc
	s_xor_b64 s[34:35], exec, s[28:29]
	s_cbranch_execz .LBB2_8311
; %bb.8294:                             ;   in Loop: Header=BB2_7844 Depth=3
	v_and_b32_e32 v28, 0x7fffffff, v31
	v_cmp_gt_u64_e32 vcc, s[78:79], v[28:29]
	v_and_b32_sdwa v2, v31, s87 dst_sel:DWORD dst_unused:UNUSED_PAD src0_sel:BYTE_3 src1_sel:DWORD
                                        ; implicit-def: $vgpr3
	s_and_saveexec_b64 s[28:29], vcc
	s_xor_b64 s[36:37], exec, s[28:29]
	s_cbranch_execz .LBB2_8308
; %bb.8295:                             ;   in Loop: Header=BB2_7844 Depth=3
	v_cmp_ne_u32_e32 vcc, 0, v31
	v_mov_b32_e32 v3, 0
	s_and_saveexec_b64 s[38:39], vcc
	s_cbranch_execz .LBB2_8307
; %bb.8296:                             ;   in Loop: Header=BB2_7844 Depth=3
	v_bfe_u32 v3, v31, 23, 8
	v_and_b32_e32 v28, 0x7fffff, v31
	v_cmp_gt_u32_e64 s[28:29], s96, v3
	v_sub_u32_e32 v31, 0x79, v3
	v_cmp_eq_u32_e32 vcc, 0, v3
	v_cndmask_b32_e64 v31, 0, v31, s[28:29]
	v_or_b32_e32 v33, 0x800000, v28
	v_cndmask_b32_e32 v31, v31, v36, vcc
	v_cndmask_b32_e32 v28, v33, v28, vcc
	v_add_u32_e32 v33, 20, v31
	v_lshlrev_b64 v[33:34], v33, -1
	v_add_u32_e32 v35, 19, v31
	v_lshlrev_b64 v[48:49], v35, 1
	v_lshrrev_b64 v[53:54], v31, v[28:29]
	v_bfi_b32 v34, v34, 0, 0
	v_bfi_b32 v33, v33, 0, v28
	v_cmp_eq_u64_e64 s[28:29], v[33:34], v[48:49]
	v_mov_b32_e32 v55, v54
	v_mov_b32_e32 v54, v53
	s_and_saveexec_b64 s[48:49], s[28:29]
; %bb.8297:                             ;   in Loop: Header=BB2_7844 Depth=3
	v_bfe_u32 v28, v53, 20, 1
	v_add_co_u32_e64 v28, s[28:29], v53, v28
	v_add_co_u32_e64 v54, s[28:29], -1, v28
; %bb.8298:                             ;   in Loop: Header=BB2_7844 Depth=3
	s_or_b64 exec, exec, s[48:49]
	v_add_u32_e32 v3, 0xffffff81, v3
	v_cndmask_b32_e32 v3, v3, v37, vcc
	v_lshrrev_b32_e32 v28, 23, v53
	v_add3_u32 v33, v31, v3, v28
	v_add_u32_e32 v3, 6, v33
	v_and_b32_e32 v28, 0xfffff, v54
	v_add_u32_e32 v28, v28, v53
	v_cmp_ne_u32_e32 vcc, 0, v3
                                        ; implicit-def: $vgpr53_vgpr54
                                        ; implicit-def: $vgpr31
	s_and_saveexec_b64 s[28:29], vcc
	s_xor_b64 s[28:29], exec, s[28:29]
; %bb.8299:                             ;   in Loop: Header=BB2_7844 Depth=3
	v_cmp_lt_u64_e32 vcc, s[88:89], v[28:29]
	v_add_u32_e32 v31, 7, v33
	v_cndmask_b32_e32 v31, v3, v31, vcc
	v_cndmask_b32_e64 v3, 0, 1, vcc
	v_lshrrev_b64 v[53:54], v3, v[28:29]
; %bb.8300:                             ;   in Loop: Header=BB2_7844 Depth=3
	s_andn2_saveexec_b64 s[28:29], s[28:29]
; %bb.8301:                             ;   in Loop: Header=BB2_7844 Depth=3
	v_mov_b32_e32 v54, v29
	v_bfe_u32 v31, v28, 23, 1
	v_mov_b32_e32 v53, v28
; %bb.8302:                             ;   in Loop: Header=BB2_7844 Depth=3
	s_or_b64 exec, exec, s[28:29]
	v_lshrrev_b64 v[33:34], 20, v[53:54]
	v_cmp_gt_i32_e32 vcc, 16, v31
	v_cndmask_b32_e32 v54, 0, v34, vcc
	v_cndmask_b32_e32 v53, 7, v33, vcc
	v_cmp_ne_u64_e32 vcc, 0, v[53:54]
	v_cmp_ne_u32_e64 s[28:29], 0, v31
	s_or_b64 s[28:29], s[28:29], vcc
                                        ; implicit-def: $vgpr3
	s_and_saveexec_b64 s[44:45], s[28:29]
	s_xor_b64 s[28:29], exec, s[44:45]
; %bb.8303:                             ;   in Loop: Header=BB2_7844 Depth=3
	v_min_i32_e32 v3, 15, v31
	v_lshl_or_b32 v2, v3, 3, v2
	v_and_or_b32 v3, v53, 7, v2
                                        ; implicit-def: $vgpr2
; %bb.8304:                             ;   in Loop: Header=BB2_7844 Depth=3
	s_andn2_saveexec_b64 s[28:29], s[28:29]
; %bb.8305:                             ;   in Loop: Header=BB2_7844 Depth=3
	v_mov_b32_e32 v3, v2
; %bb.8306:                             ;   in Loop: Header=BB2_7844 Depth=3
	s_or_b64 exec, exec, s[28:29]
.LBB2_8307:                             ;   in Loop: Header=BB2_7844 Depth=3
	s_or_b64 exec, exec, s[38:39]
                                        ; implicit-def: $vgpr2
.LBB2_8308:                             ;   in Loop: Header=BB2_7844 Depth=3
	s_andn2_saveexec_b64 s[28:29], s[36:37]
; %bb.8309:                             ;   in Loop: Header=BB2_7844 Depth=3
	v_or_b32_e32 v3, 0x7e, v2
; %bb.8310:                             ;   in Loop: Header=BB2_7844 Depth=3
	s_or_b64 exec, exec, s[28:29]
                                        ; implicit-def: $vgpr31
.LBB2_8311:                             ;   in Loop: Header=BB2_7844 Depth=3
	s_andn2_saveexec_b64 s[28:29], s[34:35]
	s_cbranch_execz .LBB2_7843
; %bb.8312:                             ;   in Loop: Header=BB2_7844 Depth=3
	v_or_b32_sdwa v3, v31, s85 dst_sel:DWORD dst_unused:UNUSED_PAD src0_sel:BYTE_3 src1_sel:DWORD
	s_branch .LBB2_7843
.LBB2_8313:                             ;   in Loop: Header=BB2_3957 Depth=2
	s_or_b64 exec, exec, s[30:31]
.LBB2_8314:                             ;   in Loop: Header=BB2_3957 Depth=2
	s_or_b64 exec, exec, s[42:43]
	v_lshlrev_b32_e32 v2, 9, v25
	v_cmp_ne_u32_e32 vcc, v24, v2
	s_and_b64 exec, exec, vcc
	s_cbranch_execz .LBB2_8381
; %bb.8315:                             ;   in Loop: Header=BB2_3957 Depth=2
	v_lshlrev_b32_e32 v0, 6, v0
	v_sub_u32_e32 v0, v1, v0
	v_lshlrev_b32_e32 v1, 6, v18
	v_sub_u32_e32 v0, v0, v1
	v_add_u32_e32 v1, v2, v0
	v_sub_u32_e32 v0, v24, v1
	v_cmp_lt_i32_e32 vcc, 0, v0
	s_and_b64 exec, exec, vcc
	s_cbranch_execz .LBB2_8381
; %bb.8316:                             ;   in Loop: Header=BB2_3957 Depth=2
	s_trap 2
	ds_read_b128 v[8:11], v0
	v_add_u32_e32 v3, v1, v19
	ds_read_b64 v[1:2], v0
	v_ashrrev_i32_e32 v5, 31, v3
	s_mov_b64 s[42:43], 0
	s_waitcnt lgkmcnt(0)
	v_add_co_u32_e32 v8, vcc, v8, v3
	v_addc_co_u32_e32 v9, vcc, v9, v5, vcc
	v_add_co_u32_e32 v10, vcc, v10, v3
	v_addc_co_u32_e32 v11, vcc, v11, v5, vcc
	;; [unrolled: 2-line block ×3, first 2 shown]
	s_branch .LBB2_8318
.LBB2_8317:                             ;   in Loop: Header=BB2_8318 Depth=3
	s_or_b64 exec, exec, s[28:29]
	buffer_load_dword v1, off, s[0:3], s33 offset:56 ; 4-byte Folded Reload
	s_waitcnt vmcnt(0)
	v_add_co_u32_e32 v8, vcc, v8, v1
	v_addc_co_u32_e32 v9, vcc, 0, v9, vcc
	v_add_co_u32_e32 v10, vcc, v10, v1
	v_addc_co_u32_e32 v11, vcc, 0, v11, vcc
	v_sub_u32_e32 v0, v0, v1
	v_cmp_gt_i32_e32 vcc, 1, v0
	flat_store_byte v[51:52], v2 glc slc
	s_or_b64 s[42:43], vcc, s[42:43]
	v_add_co_u32_e32 v51, vcc, v51, v1
	v_addc_co_u32_e32 v52, vcc, 0, v52, vcc
	s_andn2_b64 exec, exec, s[42:43]
	s_cbranch_execz .LBB2_8381
.LBB2_8318:                             ;   Parent Loop BB2_47 Depth=1
                                        ;     Parent Loop BB2_3957 Depth=2
                                        ; =>    This Inner Loop Header: Depth=3
	s_trap 2
	ds_read_b64 v[53:54], v0
	s_waitcnt lgkmcnt(0)
	v_cmp_eq_u32_sdwa s[44:45], v53, v29 src0_sel:BYTE_0 src1_sel:DWORD
	v_readfirstlane_b32 s28, v53
	v_readfirstlane_b32 s29, v54
	s_and_b64 vcc, exec, s[44:45]
	s_cbranch_vccnz .LBB2_8322
; %bb.8319:                             ;   in Loop: Header=BB2_8318 Depth=3
	v_cmp_eq_u32_sdwa vcc, v53, s87 src0_sel:BYTE_0 src1_sel:DWORD
	s_brev_b32 s44, 1
	s_and_b64 vcc, exec, vcc
	s_cbranch_vccnz .LBB2_8323
; %bb.8320:                             ;   in Loop: Header=BB2_8318 Depth=3
	s_and_b32 s45, s28, 0x7f
	s_cmpk_eq_i32 s45, 0x7f
	s_mov_b32 s44, 0x7f800001
	s_cbranch_scc1 .LBB2_8323
; %bb.8321:                             ;   in Loop: Header=BB2_8318 Depth=3
	s_and_b32 s44, s28, 7
	s_flbit_i32_b32 s44, s44
	s_min_u32 s44, s44, 32
	s_lshr_b32 vcc_lo, s45, 3
	s_sub_i32 vcc_hi, s44, 28
	s_sub_i32 s44, 29, s44
	s_cmp_lt_u32 s45, 8
	s_cselect_b32 vcc_lo, s44, vcc_lo
	s_cselect_b32 s44, vcc_hi, 0
	s_lshl_b64 s[44:45], s[28:29], s44
	s_lshl_b32 s29, s44, 20
	s_lshl_b32 s28, s28, 24
	s_lshl_b32 s44, vcc_lo, 23
	s_and_b32 s28, s28, 0x80000000
	s_add_i32 s44, s44, 0x3c000000
	s_and_b32 s29, s29, 0x700000
	s_or_b32 s28, s28, s44
	s_or_b32 s44, s28, s29
	s_branch .LBB2_8323
.LBB2_8322:                             ;   in Loop: Header=BB2_8318 Depth=3
	s_mov_b32 s44, 0
.LBB2_8323:                             ;   in Loop: Header=BB2_8318 Depth=3
	flat_load_ubyte v1, v[8:9] glc slc
	v_mov_b32_e32 v2, 0
	s_waitcnt vmcnt(0) lgkmcnt(0)
	v_cmp_ne_u16_e32 vcc, 0, v1
	s_and_saveexec_b64 s[28:29], vcc
	s_cbranch_execz .LBB2_8329
; %bb.8324:                             ;   in Loop: Header=BB2_8318 Depth=3
	v_cmp_ne_u16_e32 vcc, s87, v1
	v_bfrev_b32_e32 v2, 1
	s_and_saveexec_b64 s[30:31], vcc
	s_cbranch_execz .LBB2_8328
; %bb.8325:                             ;   in Loop: Header=BB2_8318 Depth=3
	v_and_b32_e32 v28, 0xffff, v1
	v_and_b32_e32 v3, 0x7f, v28
	v_cmp_ne_u32_e32 vcc, s85, v3
	v_mov_b32_e32 v2, 0x7f800001
	s_and_saveexec_b64 s[34:35], vcc
	s_cbranch_execz .LBB2_8327
; %bb.8326:                             ;   in Loop: Header=BB2_8318 Depth=3
	v_and_b32_e32 v5, 7, v28
	v_ffbh_u32_e32 v2, v5
	v_min_u32_e32 v7, 32, v2
	v_subrev_u32_e32 v2, 28, v7
	v_lshrrev_b32_e32 v6, 3, v3
	v_cmp_gt_u32_e32 vcc, 8, v3
	v_lshlrev_b64 v[2:3], v2, v[28:29]
	v_sub_u32_e32 v3, 29, v7
	v_and_b32_e32 v2, 7, v2
	v_cndmask_b32_e32 v3, v6, v3, vcc
	v_cndmask_b32_e32 v2, v5, v2, vcc
	v_lshlrev_b32_e32 v1, 24, v1
	v_lshlrev_b32_e32 v2, 20, v2
	v_and_b32_e32 v1, 0x80000000, v1
	v_lshl_add_u32 v3, v3, 23, v17
	v_or3_b32 v2, v1, v3, v2
.LBB2_8327:                             ;   in Loop: Header=BB2_8318 Depth=3
	s_or_b64 exec, exec, s[34:35]
.LBB2_8328:                             ;   in Loop: Header=BB2_8318 Depth=3
	s_or_b64 exec, exec, s[30:31]
.LBB2_8329:                             ;   in Loop: Header=BB2_8318 Depth=3
	s_or_b64 exec, exec, s[28:29]
	v_mul_f32_e32 v3, s44, v2
	v_and_b32_e32 v28, 0x7f800000, v3
	v_cmp_ne_u64_e32 vcc, s[76:77], v[28:29]
                                        ; implicit-def: $vgpr2
	s_and_saveexec_b64 s[28:29], vcc
	s_xor_b64 s[30:31], exec, s[28:29]
	s_cbranch_execz .LBB2_8347
; %bb.8330:                             ;   in Loop: Header=BB2_8318 Depth=3
	v_and_b32_e32 v28, 0x7fffffff, v3
	v_cmp_gt_u64_e32 vcc, s[78:79], v[28:29]
	v_and_b32_sdwa v1, v3, s87 dst_sel:DWORD dst_unused:UNUSED_PAD src0_sel:BYTE_3 src1_sel:DWORD
                                        ; implicit-def: $vgpr2
	s_and_saveexec_b64 s[28:29], vcc
	s_xor_b64 s[34:35], exec, s[28:29]
	s_cbranch_execz .LBB2_8344
; %bb.8331:                             ;   in Loop: Header=BB2_8318 Depth=3
	v_cmp_ne_u32_e32 vcc, 0, v3
	v_mov_b32_e32 v2, 0
	s_and_saveexec_b64 s[36:37], vcc
	s_cbranch_execz .LBB2_8343
; %bb.8332:                             ;   in Loop: Header=BB2_8318 Depth=3
	v_bfe_u32 v2, v3, 23, 8
	v_and_b32_e32 v5, 0x7fffff, v3
	v_cmp_gt_u32_e64 s[28:29], s96, v2
	v_sub_u32_e32 v3, 0x79, v2
	v_cmp_eq_u32_e32 vcc, 0, v2
	v_cndmask_b32_e64 v3, 0, v3, s[28:29]
	v_or_b32_e32 v6, 0x800000, v5
	v_cndmask_b32_e32 v3, v3, v36, vcc
	v_cndmask_b32_e32 v28, v6, v5, vcc
	v_add_u32_e32 v5, 20, v3
	v_lshlrev_b64 v[5:6], v5, -1
	v_add_u32_e32 v7, 19, v3
	v_lshlrev_b64 v[18:19], v7, 1
	v_lshrrev_b64 v[53:54], v3, v[28:29]
	v_bfi_b32 v6, v6, 0, 0
	v_bfi_b32 v5, v5, 0, v28
	v_cmp_eq_u64_e64 s[28:29], v[5:6], v[18:19]
	v_mov_b32_e32 v55, v54
	v_mov_b32_e32 v54, v53
	s_and_saveexec_b64 s[38:39], s[28:29]
; %bb.8333:                             ;   in Loop: Header=BB2_8318 Depth=3
	v_bfe_u32 v5, v53, 20, 1
	v_add_co_u32_e64 v5, s[28:29], v53, v5
	v_add_co_u32_e64 v54, s[28:29], -1, v5
; %bb.8334:                             ;   in Loop: Header=BB2_8318 Depth=3
	s_or_b64 exec, exec, s[38:39]
	v_add_u32_e32 v2, 0xffffff81, v2
	v_cndmask_b32_e32 v2, v2, v37, vcc
	v_lshrrev_b32_e32 v5, 23, v53
	v_add3_u32 v5, v3, v2, v5
	v_add_u32_e32 v2, 6, v5
	v_and_b32_e32 v3, 0xfffff, v54
	v_add_u32_e32 v28, v3, v53
	v_cmp_ne_u32_e32 vcc, 0, v2
                                        ; implicit-def: $vgpr53_vgpr54
                                        ; implicit-def: $vgpr3
	s_and_saveexec_b64 s[28:29], vcc
	s_xor_b64 s[28:29], exec, s[28:29]
; %bb.8335:                             ;   in Loop: Header=BB2_8318 Depth=3
	v_cmp_lt_u64_e32 vcc, s[88:89], v[28:29]
	v_add_u32_e32 v3, 7, v5
	v_cndmask_b32_e32 v3, v2, v3, vcc
	v_cndmask_b32_e64 v2, 0, 1, vcc
	v_lshrrev_b64 v[53:54], v2, v[28:29]
; %bb.8336:                             ;   in Loop: Header=BB2_8318 Depth=3
	s_andn2_saveexec_b64 s[28:29], s[28:29]
; %bb.8337:                             ;   in Loop: Header=BB2_8318 Depth=3
	v_mov_b32_e32 v54, v29
	v_bfe_u32 v3, v28, 23, 1
	v_mov_b32_e32 v53, v28
; %bb.8338:                             ;   in Loop: Header=BB2_8318 Depth=3
	s_or_b64 exec, exec, s[28:29]
	v_lshrrev_b64 v[5:6], 20, v[53:54]
	v_cmp_gt_i32_e32 vcc, 16, v3
	v_cndmask_b32_e32 v54, 0, v6, vcc
	v_cndmask_b32_e32 v53, 7, v5, vcc
	v_cmp_ne_u64_e32 vcc, 0, v[53:54]
	v_cmp_ne_u32_e64 s[28:29], 0, v3
	s_or_b64 s[28:29], s[28:29], vcc
                                        ; implicit-def: $vgpr2
	s_and_saveexec_b64 s[44:45], s[28:29]
	s_xor_b64 s[28:29], exec, s[44:45]
; %bb.8339:                             ;   in Loop: Header=BB2_8318 Depth=3
	v_min_i32_e32 v2, 15, v3
	v_lshl_or_b32 v1, v2, 3, v1
	v_and_or_b32 v2, v53, 7, v1
                                        ; implicit-def: $vgpr1
; %bb.8340:                             ;   in Loop: Header=BB2_8318 Depth=3
	s_andn2_saveexec_b64 s[28:29], s[28:29]
; %bb.8341:                             ;   in Loop: Header=BB2_8318 Depth=3
	v_mov_b32_e32 v2, v1
; %bb.8342:                             ;   in Loop: Header=BB2_8318 Depth=3
	s_or_b64 exec, exec, s[28:29]
.LBB2_8343:                             ;   in Loop: Header=BB2_8318 Depth=3
	s_or_b64 exec, exec, s[36:37]
                                        ; implicit-def: $vgpr1
.LBB2_8344:                             ;   in Loop: Header=BB2_8318 Depth=3
	s_andn2_saveexec_b64 s[28:29], s[34:35]
; %bb.8345:                             ;   in Loop: Header=BB2_8318 Depth=3
	v_or_b32_e32 v2, 0x7e, v1
; %bb.8346:                             ;   in Loop: Header=BB2_8318 Depth=3
	s_or_b64 exec, exec, s[28:29]
                                        ; implicit-def: $vgpr3
.LBB2_8347:                             ;   in Loop: Header=BB2_8318 Depth=3
	s_andn2_saveexec_b64 s[28:29], s[30:31]
; %bb.8348:                             ;   in Loop: Header=BB2_8318 Depth=3
	v_or_b32_sdwa v2, v3, s85 dst_sel:DWORD dst_unused:UNUSED_PAD src0_sel:BYTE_3 src1_sel:DWORD
; %bb.8349:                             ;   in Loop: Header=BB2_8318 Depth=3
	s_or_b64 exec, exec, s[28:29]
	flat_load_ubyte v3, v[10:11] glc slc
	v_and_b32_e32 v28, 0xff, v2
	v_cmp_ne_u16_e32 vcc, 0, v28
	v_mov_b32_e32 v1, 0
	v_mov_b32_e32 v5, 0
	s_and_saveexec_b64 s[28:29], vcc
	s_cbranch_execz .LBB2_8355
; %bb.8350:                             ;   in Loop: Header=BB2_8318 Depth=3
	v_cmp_ne_u16_e32 vcc, s87, v28
	v_bfrev_b32_e32 v5, 1
	s_and_saveexec_b64 s[30:31], vcc
	s_cbranch_execz .LBB2_8354
; %bb.8351:                             ;   in Loop: Header=BB2_8318 Depth=3
	v_and_b32_e32 v6, 0x7f, v2
	v_cmp_ne_u32_e32 vcc, s85, v6
	v_mov_b32_e32 v5, 0x7f800001
	s_and_saveexec_b64 s[34:35], vcc
	s_cbranch_execz .LBB2_8353
; %bb.8352:                             ;   in Loop: Header=BB2_8318 Depth=3
	v_and_b32_e32 v7, 7, v28
	v_ffbh_u32_e32 v5, v7
	v_min_u32_e32 v18, 32, v5
	v_subrev_u32_e32 v5, 28, v18
	v_lshrrev_b32_e32 v16, 3, v6
	v_cmp_gt_u32_e32 vcc, 8, v6
	v_lshlrev_b64 v[5:6], v5, v[28:29]
	v_sub_u32_e32 v6, 29, v18
	v_and_b32_e32 v5, 7, v5
	v_cndmask_b32_e32 v6, v16, v6, vcc
	v_cndmask_b32_e32 v5, v7, v5, vcc
	v_lshlrev_b32_e32 v2, 24, v2
	v_lshlrev_b32_e32 v5, 20, v5
	v_and_b32_e32 v2, 0x80000000, v2
	v_lshl_add_u32 v6, v6, 23, v17
	v_or3_b32 v5, v2, v6, v5
.LBB2_8353:                             ;   in Loop: Header=BB2_8318 Depth=3
	s_or_b64 exec, exec, s[34:35]
.LBB2_8354:                             ;   in Loop: Header=BB2_8318 Depth=3
	s_or_b64 exec, exec, s[30:31]
.LBB2_8355:                             ;   in Loop: Header=BB2_8318 Depth=3
	s_or_b64 exec, exec, s[28:29]
	s_waitcnt vmcnt(0) lgkmcnt(0)
	v_and_b32_e32 v28, 0xff, v3
	v_cmp_ne_u16_e32 vcc, 0, v28
	s_and_saveexec_b64 s[28:29], vcc
	s_cbranch_execz .LBB2_8361
; %bb.8356:                             ;   in Loop: Header=BB2_8318 Depth=3
	v_cmp_ne_u16_e32 vcc, s87, v28
	v_bfrev_b32_e32 v1, 1
	s_and_saveexec_b64 s[30:31], vcc
	s_cbranch_execz .LBB2_8360
; %bb.8357:                             ;   in Loop: Header=BB2_8318 Depth=3
	v_and_b32_e32 v2, 0x7f, v3
	v_cmp_ne_u32_e32 vcc, s85, v2
	v_mov_b32_e32 v1, 0x7f800001
	s_and_saveexec_b64 s[34:35], vcc
	s_cbranch_execz .LBB2_8359
; %bb.8358:                             ;   in Loop: Header=BB2_8318 Depth=3
	v_and_b32_e32 v6, 7, v28
	v_lshlrev_b32_e32 v1, 24, v3
	v_and_b32_e32 v3, 0x80000000, v1
	v_ffbh_u32_e32 v1, v6
	v_min_u32_e32 v16, 32, v1
	v_subrev_u32_e32 v1, 28, v16
	v_lshrrev_b32_e32 v7, 3, v2
	v_cmp_gt_u32_e32 vcc, 8, v2
	v_lshlrev_b64 v[1:2], v1, v[28:29]
	v_sub_u32_e32 v2, 29, v16
	v_and_b32_e32 v1, 7, v1
	v_cndmask_b32_e32 v2, v7, v2, vcc
	v_cndmask_b32_e32 v1, v6, v1, vcc
	v_lshlrev_b32_e32 v1, 20, v1
	v_lshl_add_u32 v2, v2, 23, v17
	v_or3_b32 v1, v3, v2, v1
.LBB2_8359:                             ;   in Loop: Header=BB2_8318 Depth=3
	s_or_b64 exec, exec, s[34:35]
.LBB2_8360:                             ;   in Loop: Header=BB2_8318 Depth=3
	s_or_b64 exec, exec, s[30:31]
.LBB2_8361:                             ;   in Loop: Header=BB2_8318 Depth=3
	s_or_b64 exec, exec, s[28:29]
	v_add_f32_e32 v3, v5, v1
	v_and_b32_e32 v28, 0x7f800000, v3
	v_cmp_ne_u64_e32 vcc, s[76:77], v[28:29]
                                        ; implicit-def: $vgpr2
	s_and_saveexec_b64 s[28:29], vcc
	s_xor_b64 s[30:31], exec, s[28:29]
	s_cbranch_execz .LBB2_8379
; %bb.8362:                             ;   in Loop: Header=BB2_8318 Depth=3
	v_and_b32_e32 v28, 0x7fffffff, v3
	v_cmp_gt_u64_e32 vcc, s[78:79], v[28:29]
	v_and_b32_sdwa v1, v3, s87 dst_sel:DWORD dst_unused:UNUSED_PAD src0_sel:BYTE_3 src1_sel:DWORD
                                        ; implicit-def: $vgpr2
	s_and_saveexec_b64 s[28:29], vcc
	s_xor_b64 s[34:35], exec, s[28:29]
	s_cbranch_execz .LBB2_8376
; %bb.8363:                             ;   in Loop: Header=BB2_8318 Depth=3
	v_cmp_ne_u32_e32 vcc, 0, v3
	v_mov_b32_e32 v2, 0
	s_and_saveexec_b64 s[36:37], vcc
	s_cbranch_execz .LBB2_8375
; %bb.8364:                             ;   in Loop: Header=BB2_8318 Depth=3
	v_bfe_u32 v2, v3, 23, 8
	v_and_b32_e32 v5, 0x7fffff, v3
	v_cmp_gt_u32_e64 s[28:29], s96, v2
	v_sub_u32_e32 v3, 0x79, v2
	v_cmp_eq_u32_e32 vcc, 0, v2
	v_cndmask_b32_e64 v3, 0, v3, s[28:29]
	v_or_b32_e32 v6, 0x800000, v5
	v_cndmask_b32_e32 v3, v3, v36, vcc
	v_cndmask_b32_e32 v28, v6, v5, vcc
	v_add_u32_e32 v5, 20, v3
	v_lshlrev_b64 v[5:6], v5, -1
	v_add_u32_e32 v7, 19, v3
	v_lshlrev_b64 v[18:19], v7, 1
	v_lshrrev_b64 v[53:54], v3, v[28:29]
	v_bfi_b32 v6, v6, 0, 0
	v_bfi_b32 v5, v5, 0, v28
	v_cmp_eq_u64_e64 s[28:29], v[5:6], v[18:19]
	v_mov_b32_e32 v55, v54
	v_mov_b32_e32 v54, v53
	s_and_saveexec_b64 s[38:39], s[28:29]
; %bb.8365:                             ;   in Loop: Header=BB2_8318 Depth=3
	v_bfe_u32 v5, v53, 20, 1
	v_add_co_u32_e64 v5, s[28:29], v53, v5
	v_add_co_u32_e64 v54, s[28:29], -1, v5
; %bb.8366:                             ;   in Loop: Header=BB2_8318 Depth=3
	s_or_b64 exec, exec, s[38:39]
	v_add_u32_e32 v2, 0xffffff81, v2
	v_cndmask_b32_e32 v2, v2, v37, vcc
	v_lshrrev_b32_e32 v5, 23, v53
	v_add3_u32 v5, v3, v2, v5
	v_add_u32_e32 v2, 6, v5
	v_and_b32_e32 v3, 0xfffff, v54
	v_add_u32_e32 v28, v3, v53
	v_cmp_ne_u32_e32 vcc, 0, v2
                                        ; implicit-def: $vgpr53_vgpr54
                                        ; implicit-def: $vgpr3
	s_and_saveexec_b64 s[28:29], vcc
	s_xor_b64 s[28:29], exec, s[28:29]
; %bb.8367:                             ;   in Loop: Header=BB2_8318 Depth=3
	v_cmp_lt_u64_e32 vcc, s[88:89], v[28:29]
	v_add_u32_e32 v3, 7, v5
	v_cndmask_b32_e32 v3, v2, v3, vcc
	v_cndmask_b32_e64 v2, 0, 1, vcc
	v_lshrrev_b64 v[53:54], v2, v[28:29]
; %bb.8368:                             ;   in Loop: Header=BB2_8318 Depth=3
	s_andn2_saveexec_b64 s[28:29], s[28:29]
; %bb.8369:                             ;   in Loop: Header=BB2_8318 Depth=3
	v_mov_b32_e32 v54, v29
	v_bfe_u32 v3, v28, 23, 1
	v_mov_b32_e32 v53, v28
; %bb.8370:                             ;   in Loop: Header=BB2_8318 Depth=3
	s_or_b64 exec, exec, s[28:29]
	v_lshrrev_b64 v[5:6], 20, v[53:54]
	v_cmp_gt_i32_e32 vcc, 16, v3
	v_cndmask_b32_e32 v54, 0, v6, vcc
	v_cndmask_b32_e32 v53, 7, v5, vcc
	v_cmp_ne_u64_e32 vcc, 0, v[53:54]
	v_cmp_ne_u32_e64 s[28:29], 0, v3
	s_or_b64 s[28:29], s[28:29], vcc
                                        ; implicit-def: $vgpr2
	s_and_saveexec_b64 s[44:45], s[28:29]
	s_xor_b64 s[28:29], exec, s[44:45]
; %bb.8371:                             ;   in Loop: Header=BB2_8318 Depth=3
	v_min_i32_e32 v2, 15, v3
	v_lshl_or_b32 v1, v2, 3, v1
	v_and_or_b32 v2, v53, 7, v1
                                        ; implicit-def: $vgpr1
; %bb.8372:                             ;   in Loop: Header=BB2_8318 Depth=3
	s_andn2_saveexec_b64 s[28:29], s[28:29]
; %bb.8373:                             ;   in Loop: Header=BB2_8318 Depth=3
	v_mov_b32_e32 v2, v1
; %bb.8374:                             ;   in Loop: Header=BB2_8318 Depth=3
	s_or_b64 exec, exec, s[28:29]
.LBB2_8375:                             ;   in Loop: Header=BB2_8318 Depth=3
	s_or_b64 exec, exec, s[36:37]
                                        ; implicit-def: $vgpr1
.LBB2_8376:                             ;   in Loop: Header=BB2_8318 Depth=3
	s_andn2_saveexec_b64 s[28:29], s[34:35]
; %bb.8377:                             ;   in Loop: Header=BB2_8318 Depth=3
	v_or_b32_e32 v2, 0x7e, v1
; %bb.8378:                             ;   in Loop: Header=BB2_8318 Depth=3
	s_or_b64 exec, exec, s[28:29]
                                        ; implicit-def: $vgpr3
.LBB2_8379:                             ;   in Loop: Header=BB2_8318 Depth=3
	s_andn2_saveexec_b64 s[28:29], s[30:31]
	s_cbranch_execz .LBB2_8317
; %bb.8380:                             ;   in Loop: Header=BB2_8318 Depth=3
	v_or_b32_sdwa v2, v3, s85 dst_sel:DWORD dst_unused:UNUSED_PAD src0_sel:BYTE_3 src1_sel:DWORD
	s_branch .LBB2_8317
.LBB2_8381:                             ;   in Loop: Header=BB2_3957 Depth=2
	s_or_b64 exec, exec, s[40:41]
.LBB2_8382:                             ;   in Loop: Header=BB2_3957 Depth=2
	v_cmp_lt_i32_e64 s[28:29], 0, v58
	s_and_saveexec_b64 s[40:41], s[12:13]
	s_cbranch_execz .LBB2_8401
.LBB2_8383:                             ;   in Loop: Header=BB2_3957 Depth=2
	s_and_saveexec_b64 s[42:43], s[58:59]
	s_xor_b64 s[42:43], exec, s[42:43]
	s_cbranch_execz .LBB2_8398
; %bb.8384:                             ;   in Loop: Header=BB2_3957 Depth=2
	s_and_saveexec_b64 s[30:31], s[6:7]
	s_cbranch_execz .LBB2_8397
; %bb.8385:                             ;   in Loop: Header=BB2_3957 Depth=2
	s_mov_b64 s[36:37], exec
	v_mbcnt_lo_u32_b32 v0, s36, 0
	v_mbcnt_hi_u32_b32 v0, s37, v0
	v_cmp_eq_u32_e32 vcc, 0, v0
	s_waitcnt vmcnt(0) lgkmcnt(0)
	buffer_wbinvl1_vol
	s_and_saveexec_b64 s[34:35], vcc
	s_cbranch_execz .LBB2_8387
; %bb.8386:                             ;   in Loop: Header=BB2_3957 Depth=2
	s_bcnt1_i32_b64 s44, s[36:37]
	v_mov_b32_e32 v0, s44
	v_mov_b32_e32 v1, v29
	ds_add_u64 v0, v[0:1]
	s_trap 2
.LBB2_8387:                             ;   in Loop: Header=BB2_3957 Depth=2
	s_or_b64 exec, exec, s[34:35]
	s_trap 2
	ds_read_b64 v[0:1], v0
	s_waitcnt lgkmcnt(0)
	v_add_co_u32_e32 v12, vcc, v12, v14
	v_addc_co_u32_e32 v13, vcc, 0, v13, vcc
	v_cmp_lt_u64_e32 vcc, v[0:1], v[12:13]
	s_and_saveexec_b64 s[34:35], vcc
	s_cbranch_execz .LBB2_8396
; %bb.8388:                             ;   in Loop: Header=BB2_3957 Depth=2
	s_mov_b32 s44, 0
	s_mov_b64 s[36:37], 0
                                        ; implicit-def: $sgpr38_sgpr39
                                        ; implicit-def: $sgpr48_sgpr49
	s_branch .LBB2_8390
.LBB2_8389:                             ;   in Loop: Header=BB2_8390 Depth=3
	s_or_b64 exec, exec, s[52:53]
	s_and_b64 vcc, exec, vcc
	s_or_b64 s[36:37], vcc, s[36:37]
	s_andn2_b64 vcc, s[38:39], exec
	s_and_b64 s[38:39], s[48:49], exec
	s_or_b64 s[38:39], vcc, s[38:39]
	s_andn2_b64 exec, exec, s[36:37]
	s_cbranch_execz .LBB2_8394
.LBB2_8390:                             ;   Parent Loop BB2_47 Depth=1
                                        ;     Parent Loop BB2_3957 Depth=2
                                        ; =>    This Inner Loop Header: Depth=3
	s_add_i32 s44, s44, 1
	s_cmpk_lg_i32 s44, 0x2710
	s_cselect_b64 s[50:51], -1, 0
	s_and_b64 vcc, exec, s[50:51]
	s_cbranch_vccz .LBB2_8392
; %bb.8391:                             ;   in Loop: Header=BB2_8390 Depth=3
	s_mov_b64 vcc, -1
	s_or_b64 s[48:49], s[48:49], exec
	s_and_saveexec_b64 s[52:53], s[50:51]
	s_cbranch_execz .LBB2_8389
	s_branch .LBB2_8393
.LBB2_8392:                             ;   in Loop: Header=BB2_8390 Depth=3
	s_trap 2
	ds_read_b64 v[0:1], v0
	s_andn2_b64 s[50:51], s[50:51], exec
	s_mov_b32 s44, 0
	s_waitcnt lgkmcnt(0)
	flat_load_dword v0, v[0:1] glc
	s_waitcnt vmcnt(0) lgkmcnt(0)
	buffer_wbinvl1_vol
	v_cmp_eq_u32_e32 vcc, 0, v0
	s_and_b64 vcc, vcc, exec
	s_or_b64 s[50:51], s[50:51], vcc
	s_mov_b64 vcc, -1
	s_or_b64 s[48:49], s[48:49], exec
	s_and_saveexec_b64 s[52:53], s[50:51]
	s_cbranch_execz .LBB2_8389
.LBB2_8393:                             ;   in Loop: Header=BB2_8390 Depth=3
	s_sleep 1
	s_trap 2
	ds_read_b64 v[0:1], v0
	s_waitcnt lgkmcnt(0)
	s_andn2_b64 s[48:49], s[48:49], exec
	v_cmp_ge_u64_e32 vcc, v[0:1], v[12:13]
	s_orn2_b64 vcc, vcc, exec
	s_branch .LBB2_8389
.LBB2_8394:                             ;   in Loop: Header=BB2_3957 Depth=2
	s_or_b64 exec, exec, s[36:37]
	s_and_saveexec_b64 s[44:45], s[38:39]
	s_xor_b64 s[44:45], exec, s[44:45]
	s_cbranch_execz .LBB2_8396
; %bb.8395:                             ;   in Loop: Header=BB2_3957 Depth=2
	v_mov_b32_e32 v0, 1
	ds_write_b32 v0, v0
	s_trap 2
.LBB2_8396:                             ;   in Loop: Header=BB2_3957 Depth=2
	s_or_b64 exec, exec, s[34:35]
	;;#ASMSTART
	s_wakeup
	;;#ASMEND
.LBB2_8397:                             ;   in Loop: Header=BB2_3957 Depth=2
	s_or_b64 exec, exec, s[30:31]
.LBB2_8398:                             ;   in Loop: Header=BB2_3957 Depth=2
	s_andn2_saveexec_b64 s[42:43], s[42:43]
	s_cbranch_execz .LBB2_8400
; %bb.8399:                             ;   in Loop: Header=BB2_3957 Depth=2
	s_waitcnt vmcnt(0) lgkmcnt(0)
	buffer_wbinvl1_vol
	s_barrier
.LBB2_8400:                             ;   in Loop: Header=BB2_3957 Depth=2
	s_or_b64 exec, exec, s[42:43]
.LBB2_8401:                             ;   in Loop: Header=BB2_3957 Depth=2
	s_or_b64 exec, exec, s[40:41]
	v_and_b32_e32 v0, 16, v61
	s_and_saveexec_b64 s[40:41], s[18:19]
	s_xor_b64 s[40:41], exec, s[40:41]
	s_cbranch_execz .LBB2_8405
; %bb.8402:                             ;   in Loop: Header=BB2_3957 Depth=2
	s_waitcnt vmcnt(0)
	v_and_b32_e32 v1, 16, v61
	v_cmp_ne_u32_e32 vcc, 0, v1
	v_and_b32_e32 v0, 16, v61
	s_and_b64 s[42:43], vcc, s[28:29]
	s_and_saveexec_b64 s[28:29], s[42:43]
	s_cbranch_execz .LBB2_8404
; %bb.8403:                             ;   in Loop: Header=BB2_3957 Depth=2
	v_mov_b32_e32 v0, 1
	s_waitcnt lgkmcnt(0)
	buffer_wbinvl1_vol
.LBB2_8404:                             ;   in Loop: Header=BB2_3957 Depth=2
	s_or_b64 exec, exec, s[28:29]
.LBB2_8405:                             ;   in Loop: Header=BB2_3957 Depth=2
	s_andn2_saveexec_b64 s[28:29], s[40:41]
	s_cbranch_execz .LBB2_8424
; %bb.8406:                             ;   in Loop: Header=BB2_3957 Depth=2
	s_and_saveexec_b64 s[40:41], s[58:59]
	s_xor_b64 s[40:41], exec, s[40:41]
	s_cbranch_execz .LBB2_8421
; %bb.8407:                             ;   in Loop: Header=BB2_3957 Depth=2
	s_and_saveexec_b64 s[42:43], s[6:7]
	s_cbranch_execz .LBB2_8420
; %bb.8408:                             ;   in Loop: Header=BB2_3957 Depth=2
	s_mov_b64 s[34:35], exec
	s_waitcnt vmcnt(0)
	v_mbcnt_lo_u32_b32 v1, s34, 0
	v_mbcnt_hi_u32_b32 v1, s35, v1
	v_cmp_eq_u32_e32 vcc, 0, v1
	;;#ASMSTART
	s_waitcnt lgkmcnt(0) vmcnt(0)
	;;#ASMEND
	s_and_saveexec_b64 s[30:31], vcc
	s_cbranch_execz .LBB2_8410
; %bb.8409:                             ;   in Loop: Header=BB2_3957 Depth=2
	s_bcnt1_i32_b64 s44, s[34:35]
	v_mov_b32_e32 v1, s44
	v_mov_b32_e32 v2, v29
	s_waitcnt lgkmcnt(0)
	ds_add_u64 v0, v[1:2]
	s_trap 2
.LBB2_8410:                             ;   in Loop: Header=BB2_3957 Depth=2
	s_or_b64 exec, exec, s[30:31]
	s_trap 2
	ds_read_b64 v[1:2], v0
	s_waitcnt lgkmcnt(0)
	v_add_co_u32_e32 v12, vcc, v12, v14
	v_addc_co_u32_e32 v13, vcc, 0, v13, vcc
	v_cmp_lt_u64_e32 vcc, v[1:2], v[12:13]
	s_and_saveexec_b64 s[30:31], vcc
	s_cbranch_execz .LBB2_8419
; %bb.8411:                             ;   in Loop: Header=BB2_3957 Depth=2
	s_mov_b32 s44, 0
	s_mov_b64 s[34:35], 0
                                        ; implicit-def: $sgpr36_sgpr37
                                        ; implicit-def: $sgpr38_sgpr39
	s_branch .LBB2_8413
.LBB2_8412:                             ;   in Loop: Header=BB2_8413 Depth=3
	s_or_b64 exec, exec, s[50:51]
	s_and_b64 vcc, exec, vcc
	s_or_b64 s[34:35], vcc, s[34:35]
	s_andn2_b64 vcc, s[36:37], exec
	s_and_b64 s[36:37], s[38:39], exec
	s_or_b64 s[36:37], vcc, s[36:37]
	s_andn2_b64 exec, exec, s[34:35]
	s_cbranch_execz .LBB2_8417
.LBB2_8413:                             ;   Parent Loop BB2_47 Depth=1
                                        ;     Parent Loop BB2_3957 Depth=2
                                        ; =>    This Inner Loop Header: Depth=3
	s_add_i32 s44, s44, 1
	s_cmpk_lg_i32 s44, 0x2710
	s_cselect_b64 s[48:49], -1, 0
	s_and_b64 vcc, exec, s[48:49]
	s_cbranch_vccz .LBB2_8415
; %bb.8414:                             ;   in Loop: Header=BB2_8413 Depth=3
	s_mov_b64 vcc, -1
	s_or_b64 s[38:39], s[38:39], exec
	s_and_saveexec_b64 s[50:51], s[48:49]
	s_cbranch_execz .LBB2_8412
	s_branch .LBB2_8416
.LBB2_8415:                             ;   in Loop: Header=BB2_8413 Depth=3
	s_trap 2
	ds_read_b64 v[1:2], v0
	s_andn2_b64 s[48:49], s[48:49], exec
	s_mov_b32 s44, 0
	s_waitcnt lgkmcnt(0)
	flat_load_dword v1, v[1:2] glc
	s_waitcnt vmcnt(0) lgkmcnt(0)
	buffer_wbinvl1_vol
	v_cmp_eq_u32_e32 vcc, 0, v1
	s_and_b64 vcc, vcc, exec
	s_or_b64 s[48:49], s[48:49], vcc
	s_mov_b64 vcc, -1
	s_or_b64 s[38:39], s[38:39], exec
	s_and_saveexec_b64 s[50:51], s[48:49]
	s_cbranch_execz .LBB2_8412
.LBB2_8416:                             ;   in Loop: Header=BB2_8413 Depth=3
	s_sleep 1
	s_trap 2
	ds_read_b64 v[1:2], v0
	s_waitcnt lgkmcnt(0)
	s_andn2_b64 s[38:39], s[38:39], exec
	v_cmp_ge_u64_e32 vcc, v[1:2], v[12:13]
	s_orn2_b64 vcc, vcc, exec
	s_branch .LBB2_8412
.LBB2_8417:                             ;   in Loop: Header=BB2_3957 Depth=2
	s_or_b64 exec, exec, s[34:35]
	s_and_saveexec_b64 s[44:45], s[36:37]
	s_xor_b64 s[44:45], exec, s[44:45]
	s_cbranch_execz .LBB2_8419
; %bb.8418:                             ;   in Loop: Header=BB2_3957 Depth=2
	v_mov_b32_e32 v1, 1
	ds_write_b32 v0, v1
	s_trap 2
.LBB2_8419:                             ;   in Loop: Header=BB2_3957 Depth=2
	s_or_b64 exec, exec, s[30:31]
	;;#ASMSTART
	s_wakeup
	;;#ASMEND
.LBB2_8420:                             ;   in Loop: Header=BB2_3957 Depth=2
	s_or_b64 exec, exec, s[42:43]
.LBB2_8421:                             ;   in Loop: Header=BB2_3957 Depth=2
	s_andn2_saveexec_b64 s[40:41], s[40:41]
	s_cbranch_execz .LBB2_8423
; %bb.8422:                             ;   in Loop: Header=BB2_3957 Depth=2
	;;#ASMSTART
	s_waitcnt lgkmcnt(0) vmcnt(0)
	;;#ASMEND
	s_waitcnt vmcnt(0) lgkmcnt(0)
	s_barrier
.LBB2_8423:                             ;   in Loop: Header=BB2_3957 Depth=2
	s_or_b64 exec, exec, s[40:41]
.LBB2_8424:                             ;   in Loop: Header=BB2_3957 Depth=2
	s_or_b64 exec, exec, s[28:29]
	v_cmp_ne_u32_e32 vcc, 0, v0
	s_xor_b64 s[28:29], s[20:21], -1
	s_and_b64 s[40:41], vcc, s[28:29]
	s_and_saveexec_b64 s[28:29], s[40:41]
	s_cbranch_execz .LBB2_8426
; %bb.8425:                             ;   in Loop: Header=BB2_3957 Depth=2
	buffer_load_dword v0, off, s[0:3], s33 offset:96 ; 4-byte Folded Reload
	buffer_load_dword v1, off, s[0:3], s33 offset:100 ; 4-byte Folded Reload
	v_mov_b32_e32 v2, 1
	s_waitcnt vmcnt(0)
	flat_store_dword v[0:1], v2
.LBB2_8426:                             ;   in Loop: Header=BB2_3957 Depth=2
	s_or_b64 exec, exec, s[28:29]
	v_and_b32_e32 v0, 48, v61
	v_cmp_ne_u32_e32 vcc, 0, v0
	s_and_saveexec_b64 s[28:29], vcc
	s_cbranch_execz .LBB2_3956
; %bb.8427:                             ;   in Loop: Header=BB2_3957 Depth=2
	v_add_co_u32_e32 v38, vcc, 2, v38
	v_addc_co_u32_e32 v39, vcc, 0, v39, vcc
	flat_store_dwordx2 v[20:21], v[38:39]
	s_branch .LBB2_3956
.LBB2_8428:                             ;   in Loop: Header=BB2_47 Depth=1
	s_or_b64 exec, exec, s[90:91]
	v_cmp_gt_i32_e32 vcc, 2, v0
	s_and_saveexec_b64 s[40:41], vcc
	s_cbranch_execz .LBB2_8504
.LBB2_8429:                             ;   in Loop: Header=BB2_47 Depth=1
	v_cmp_eq_u32_e64 s[90:91], 0, v0
	s_mov_b64 s[42:43], 0
	s_branch .LBB2_8431
.LBB2_8430:                             ;   in Loop: Header=BB2_8431 Depth=2
	s_or_b64 exec, exec, s[28:29]
	v_add_u32_e32 v59, v50, v59
	s_mov_b64 s[90:91], 0
	s_andn2_b64 exec, exec, s[42:43]
	s_cbranch_execz .LBB2_8505
.LBB2_8431:                             ;   Parent Loop BB2_47 Depth=1
                                        ; =>  This Loop Header: Depth=2
                                        ;       Child Loop BB2_8437 Depth 3
                                        ;       Child Loop BB2_8465 Depth 3
	;; [unrolled: 1-line block ×3, first 2 shown]
	v_sub_u32_e32 v0, v60, v59
	v_min_i32_e32 v50, v50, v0
	v_and_b32_e32 v0, 12, v61
	v_cmp_ne_u32_e32 vcc, 0, v0
	s_and_saveexec_b64 s[92:93], vcc
	s_cbranch_execz .LBB2_8457
; %bb.8432:                             ;   in Loop: Header=BB2_8431 Depth=2
	v_and_b32_e32 v0, 8, v61
	s_waitcnt vmcnt(0) lgkmcnt(0)
	v_add_co_u32_e32 v1, vcc, v26, v0
	v_addc_co_u32_e32 v2, vcc, 0, v27, vcc
	v_add_co_u32_e32 v8, vcc, 2, v38
	v_addc_co_u32_e32 v9, vcc, 0, v39, vcc
	v_cmp_lt_u64_e32 vcc, v[1:2], v[8:9]
	s_and_saveexec_b64 s[94:95], vcc
	s_cbranch_execz .LBB2_8444
; %bb.8433:                             ;   in Loop: Header=BB2_8431 Depth=2
	v_and_b32_e32 v1, 64, v61
	s_mov_b32 s44, 0
	v_cmp_eq_u32_e32 vcc, 0, v1
	s_mov_b64 s[30:31], 0
                                        ; implicit-def: $sgpr34_sgpr35
                                        ; implicit-def: $sgpr36_sgpr37
                                        ; implicit-def: $sgpr38_sgpr39
	s_branch .LBB2_8437
.LBB2_8434:                             ;   in Loop: Header=BB2_8437 Depth=3
	s_waitcnt vmcnt(0) lgkmcnt(0)
	v_add_co_u32_e64 v2, s[28:29], v26, v0
	v_addc_co_u32_e64 v3, s[28:29], 0, v27, s[28:29]
	v_cmp_ge_u64_e64 s[28:29], v[2:3], v[8:9]
	s_or_b64 s[52:53], s[52:53], exec
	s_orn2_b64 s[50:51], s[28:29], exec
.LBB2_8435:                             ;   in Loop: Header=BB2_8437 Depth=3
	s_or_b64 exec, exec, s[64:65]
	s_andn2_b64 s[28:29], s[38:39], exec
	s_and_b64 s[38:39], s[52:53], exec
	s_or_b64 s[38:39], s[28:29], s[38:39]
	s_andn2_b64 s[28:29], s[36:37], exec
	s_and_b64 s[36:37], s[50:51], exec
	s_or_b64 s[36:37], s[28:29], s[36:37]
.LBB2_8436:                             ;   in Loop: Header=BB2_8437 Depth=3
	s_or_b64 exec, exec, s[48:49]
	s_and_b64 s[28:29], exec, s[36:37]
	s_or_b64 s[30:31], s[28:29], s[30:31]
	s_andn2_b64 s[28:29], s[34:35], exec
	s_and_b64 s[34:35], s[38:39], exec
	s_or_b64 s[34:35], s[28:29], s[34:35]
	s_andn2_b64 exec, exec, s[30:31]
	s_cbranch_execz .LBB2_8441
.LBB2_8437:                             ;   Parent Loop BB2_47 Depth=1
                                        ;     Parent Loop BB2_8431 Depth=2
                                        ; =>    This Inner Loop Header: Depth=3
	s_sleep 1
	s_waitcnt vmcnt(0) lgkmcnt(0)
	flat_load_dwordx2 v[26:27], v[20:21] glc
	s_or_b64 s[38:39], s[38:39], exec
	s_or_b64 s[36:37], s[36:37], exec
                                        ; implicit-def: $vgpr1
	s_and_saveexec_b64 s[48:49], vcc
	s_cbranch_execz .LBB2_8436
; %bb.8438:                             ;   in Loop: Header=BB2_8437 Depth=3
	s_cmpk_lt_i32 s44, 0x270f
	s_cselect_b64 s[54:55], -1, 0
	s_cmpk_gt_i32 s44, 0x270e
	s_mov_b64 s[50:51], -1
	s_cbranch_scc0 .LBB2_8440
; %bb.8439:                             ;   in Loop: Header=BB2_8437 Depth=3
	s_trap 2
	ds_read_b64 v[1:2], v0
	s_andn2_b64 s[54:55], s[54:55], exec
	s_mov_b32 s44, 0
	s_mov_b64 s[52:53], 0
	s_waitcnt vmcnt(0) lgkmcnt(0)
	flat_load_dword v1, v[1:2] glc
	s_waitcnt vmcnt(0) lgkmcnt(0)
	buffer_wbinvl1_vol
	v_cmp_eq_u32_e64 s[28:29], 0, v1
	s_and_b64 s[28:29], s[28:29], exec
	s_or_b64 s[54:55], s[54:55], s[28:29]
	s_and_saveexec_b64 s[64:65], s[54:55]
	s_cbranch_execz .LBB2_8435
	s_branch .LBB2_8434
.LBB2_8440:                             ;   in Loop: Header=BB2_8437 Depth=3
	s_add_i32 s44, s44, 1
	s_mov_b64 s[52:53], -1
                                        ; implicit-def: $vgpr1
	s_and_saveexec_b64 s[64:65], s[54:55]
	s_cbranch_execz .LBB2_8435
	s_branch .LBB2_8434
.LBB2_8441:                             ;   in Loop: Header=BB2_8431 Depth=2
	s_or_b64 exec, exec, s[30:31]
	s_xor_b64 s[28:29], s[34:35], -1
	s_and_saveexec_b64 s[44:45], s[28:29]
	s_xor_b64 s[28:29], exec, s[44:45]
	s_cbranch_execz .LBB2_8443
; %bb.8442:                             ;   in Loop: Header=BB2_8431 Depth=2
	v_or_b32_e32 v61, 64, v61
	s_waitcnt lgkmcnt(0)
	ds_write_b32 v0, v1
	s_trap 2
.LBB2_8443:                             ;   in Loop: Header=BB2_8431 Depth=2
	s_or_b64 exec, exec, s[28:29]
.LBB2_8444:                             ;   in Loop: Header=BB2_8431 Depth=2
	s_or_b64 exec, exec, s[94:95]
	v_and_b32_e32 v1, 0x108, v61
	v_cmp_ne_u32_e32 vcc, s46, v1
	;;#ASMSTART
	s_wakeup
	;;#ASMEND
                                        ; implicit-def: $vgpr10_vgpr11
	s_and_saveexec_b64 s[28:29], vcc
	s_xor_b64 s[28:29], exec, s[28:29]
; %bb.8445:                             ;   in Loop: Header=BB2_8431 Depth=2
	v_and_b32_e32 v10, 7, v38
	v_mov_b32_e32 v11, v29
                                        ; implicit-def: $vgpr38_vgpr39
; %bb.8446:                             ;   in Loop: Header=BB2_8431 Depth=2
	s_andn2_saveexec_b64 s[28:29], s[28:29]
	s_cbranch_execz .LBB2_8448
; %bb.8447:                             ;   in Loop: Header=BB2_8431 Depth=2
	buffer_load_dword v22, off, s[0:3], s33 offset:80 ; 4-byte Folded Reload
	buffer_load_dword v23, off, s[0:3], s33 offset:84 ; 4-byte Folded Reload
	;; [unrolled: 1-line block ×4, first 2 shown]
	v_and_b32_e32 v10, 7, v38
	v_mov_b32_e32 v11, v29
	v_ashrrev_i32_e32 v51, 31, v50
	s_waitcnt vmcnt(0)
	v_mad_u64_u32 v[1:2], s[44:45], v10, 24, v[22:23]
	flat_store_dwordx2 v[1:2], v[50:51] offset:8
.LBB2_8448:                             ;   in Loop: Header=BB2_8431 Depth=2
	s_or_b64 exec, exec, s[28:29]
	v_and_b32_e32 v1, 0x100, v61
	v_cmp_ne_u32_e32 vcc, 0, v1
	s_mov_b64 s[28:29], -1
                                        ; implicit-def: $vgpr38_vgpr39
	s_and_saveexec_b64 s[94:95], vcc
	s_cbranch_execz .LBB2_8452
; %bb.8449:                             ;   in Loop: Header=BB2_8431 Depth=2
	buffer_load_dword v22, off, s[0:3], s33 offset:80 ; 4-byte Folded Reload
	buffer_load_dword v23, off, s[0:3], s33 offset:84 ; 4-byte Folded Reload
	;; [unrolled: 1-line block ×4, first 2 shown]
                                        ; implicit-def: $vgpr38_vgpr39
	s_waitcnt vmcnt(0)
	v_mad_u64_u32 v[51:52], s[28:29], v10, 24, v[22:23]
	v_mov_b32_e32 v1, v52
	v_mad_u64_u32 v[1:2], s[28:29], v11, 24, v[1:2]
	v_mov_b32_e32 v52, v1
	flat_load_dword v1, v[51:52]
	s_waitcnt vmcnt(0) lgkmcnt(0)
	v_cmp_ne_u32_e32 vcc, 1, v1
	v_cmp_eq_u32_e64 s[28:29], 1, v1
	s_and_saveexec_b64 s[30:31], s[28:29]
	s_cbranch_execz .LBB2_8451
; %bb.8450:                             ;   in Loop: Header=BB2_8431 Depth=2
	flat_load_dword v38, v[51:52] offset:4 glc
	s_waitcnt vmcnt(0) lgkmcnt(0)
	v_ashrrev_i32_e32 v39, 31, v38
.LBB2_8451:                             ;   in Loop: Header=BB2_8431 Depth=2
	s_or_b64 exec, exec, s[30:31]
	s_orn2_b64 s[28:29], vcc, exec
.LBB2_8452:                             ;   in Loop: Header=BB2_8431 Depth=2
	s_or_b64 exec, exec, s[94:95]
	s_and_saveexec_b64 s[94:95], s[28:29]
	s_cbranch_execz .LBB2_8454
; %bb.8453:                             ;   in Loop: Header=BB2_8431 Depth=2
	buffer_load_dword v3, off, s[0:3], s33 offset:104 ; 4-byte Folded Reload
	buffer_load_dword v2, off, s[0:3], s33 offset:124 ; 4-byte Folded Reload
	s_waitcnt vmcnt(0)
	v_mul_lo_u32 v1, v11, v3
	v_mul_lo_u32 v2, v10, v2
	v_mad_u64_u32 v[38:39], s[28:29], v10, v3, 0
	v_add3_u32 v39, v39, v2, v1
.LBB2_8454:                             ;   in Loop: Header=BB2_8431 Depth=2
	s_or_b64 exec, exec, s[94:95]
	v_cmp_eq_u32_e32 vcc, 0, v0
	v_mov_b32_e32 v0, 0x90
	v_mov_b32_e32 v1, 0xd0
	v_cndmask_b32_e32 v2, v1, v0, vcc
	buffer_load_dword v0, off, s[0:3], s33 offset:72 ; 4-byte Folded Reload
	buffer_load_dword v1, off, s[0:3], s33 offset:76 ; 4-byte Folded Reload
	s_waitcnt vmcnt(0)
	v_add_co_u32_e32 v0, vcc, v0, v38
	v_addc_co_u32_e32 v1, vcc, v1, v39, vcc
	v_add_u32_e32 v2, v0, v2
	ds_write_b64 v2, v[0:1] offset:584
	v_and_b32_e32 v0, 0x2000, v61
	v_cmp_ne_u32_e32 vcc, 0, v0
	s_and_saveexec_b64 s[28:29], vcc
	s_cbranch_execz .LBB2_8456
; %bb.8455:                             ;   in Loop: Header=BB2_8431 Depth=2
	ds_read_b64 v[0:1], v0 offset:872
	s_waitcnt lgkmcnt(0)
	v_add_co_u32_e32 v0, vcc, 1, v0
	v_addc_co_u32_e32 v1, vcc, 0, v1, vcc
	ds_write_b64 v0, v[0:1] offset:872
.LBB2_8456:                             ;   in Loop: Header=BB2_8431 Depth=2
	s_or_b64 exec, exec, s[28:29]
	v_mov_b32_e32 v39, v9
	v_mov_b32_e32 v38, v8
.LBB2_8457:                             ;   in Loop: Header=BB2_8431 Depth=2
	s_or_b64 exec, exec, s[92:93]
	s_xor_b64 s[28:29], s[90:91], -1
	s_and_b64 s[28:29], exec, s[28:29]
	s_or_b64 s[42:43], s[28:29], s[42:43]
	s_and_saveexec_b64 s[28:29], s[12:13]
	s_cbranch_execz .LBB2_8476
; %bb.8458:                             ;   in Loop: Header=BB2_8431 Depth=2
	s_and_saveexec_b64 s[44:45], s[58:59]
	s_xor_b64 s[90:91], exec, s[44:45]
	s_cbranch_execz .LBB2_8473
; %bb.8459:                             ;   in Loop: Header=BB2_8431 Depth=2
	s_and_saveexec_b64 s[92:93], s[6:7]
	s_cbranch_execz .LBB2_8472
; %bb.8460:                             ;   in Loop: Header=BB2_8431 Depth=2
	s_mov_b64 s[30:31], exec
	v_mbcnt_lo_u32_b32 v0, s30, 0
	v_mbcnt_hi_u32_b32 v0, s31, v0
	v_cmp_eq_u32_e32 vcc, 0, v0
	s_waitcnt vmcnt(0) lgkmcnt(0)
	buffer_wbinvl1_vol
	s_and_saveexec_b64 s[94:95], vcc
	s_cbranch_execz .LBB2_8462
; %bb.8461:                             ;   in Loop: Header=BB2_8431 Depth=2
	s_bcnt1_i32_b64 s44, s[30:31]
	v_mov_b32_e32 v0, s44
	v_mov_b32_e32 v1, v29
	ds_add_u64 v0, v[0:1]
	s_trap 2
.LBB2_8462:                             ;   in Loop: Header=BB2_8431 Depth=2
	s_or_b64 exec, exec, s[94:95]
	s_trap 2
	ds_read_b64 v[0:1], v0
	s_waitcnt lgkmcnt(0)
	v_add_co_u32_e32 v12, vcc, v12, v14
	v_addc_co_u32_e32 v13, vcc, 0, v13, vcc
	v_cmp_lt_u64_e32 vcc, v[0:1], v[12:13]
	s_and_saveexec_b64 s[94:95], vcc
	s_cbranch_execz .LBB2_8471
; %bb.8463:                             ;   in Loop: Header=BB2_8431 Depth=2
	s_mov_b32 s44, 0
	s_mov_b64 s[30:31], 0
                                        ; implicit-def: $sgpr34_sgpr35
                                        ; implicit-def: $sgpr36_sgpr37
	s_branch .LBB2_8465
.LBB2_8464:                             ;   in Loop: Header=BB2_8465 Depth=3
	s_or_b64 exec, exec, s[48:49]
	s_and_b64 vcc, exec, vcc
	s_or_b64 s[30:31], vcc, s[30:31]
	s_andn2_b64 vcc, s[34:35], exec
	s_and_b64 s[34:35], s[36:37], exec
	s_or_b64 s[34:35], vcc, s[34:35]
	s_andn2_b64 exec, exec, s[30:31]
	s_cbranch_execz .LBB2_8469
.LBB2_8465:                             ;   Parent Loop BB2_47 Depth=1
                                        ;     Parent Loop BB2_8431 Depth=2
                                        ; =>    This Inner Loop Header: Depth=3
	s_add_i32 s44, s44, 1
	s_cmpk_lg_i32 s44, 0x2710
	s_cselect_b64 s[38:39], -1, 0
	s_and_b64 vcc, exec, s[38:39]
	s_cbranch_vccz .LBB2_8467
; %bb.8466:                             ;   in Loop: Header=BB2_8465 Depth=3
	s_mov_b64 vcc, -1
	s_or_b64 s[36:37], s[36:37], exec
	s_and_saveexec_b64 s[48:49], s[38:39]
	s_cbranch_execz .LBB2_8464
	s_branch .LBB2_8468
.LBB2_8467:                             ;   in Loop: Header=BB2_8465 Depth=3
	s_trap 2
	ds_read_b64 v[0:1], v0
	s_andn2_b64 s[38:39], s[38:39], exec
	s_mov_b32 s44, 0
	s_waitcnt lgkmcnt(0)
	flat_load_dword v0, v[0:1] glc
	s_waitcnt vmcnt(0) lgkmcnt(0)
	buffer_wbinvl1_vol
	v_cmp_eq_u32_e32 vcc, 0, v0
	s_and_b64 vcc, vcc, exec
	s_or_b64 s[38:39], s[38:39], vcc
	s_mov_b64 vcc, -1
	s_or_b64 s[36:37], s[36:37], exec
	s_and_saveexec_b64 s[48:49], s[38:39]
	s_cbranch_execz .LBB2_8464
.LBB2_8468:                             ;   in Loop: Header=BB2_8465 Depth=3
	s_sleep 1
	s_trap 2
	ds_read_b64 v[0:1], v0
	s_waitcnt lgkmcnt(0)
	s_andn2_b64 s[36:37], s[36:37], exec
	v_cmp_ge_u64_e32 vcc, v[0:1], v[12:13]
	s_orn2_b64 vcc, vcc, exec
	s_branch .LBB2_8464
.LBB2_8469:                             ;   in Loop: Header=BB2_8431 Depth=2
	s_or_b64 exec, exec, s[30:31]
	s_and_saveexec_b64 s[44:45], s[34:35]
	s_xor_b64 s[44:45], exec, s[44:45]
	s_cbranch_execz .LBB2_8471
; %bb.8470:                             ;   in Loop: Header=BB2_8431 Depth=2
	v_mov_b32_e32 v0, 1
	ds_write_b32 v0, v0
	s_trap 2
.LBB2_8471:                             ;   in Loop: Header=BB2_8431 Depth=2
	s_or_b64 exec, exec, s[94:95]
	;;#ASMSTART
	s_wakeup
	;;#ASMEND
.LBB2_8472:                             ;   in Loop: Header=BB2_8431 Depth=2
	s_or_b64 exec, exec, s[92:93]
.LBB2_8473:                             ;   in Loop: Header=BB2_8431 Depth=2
	s_andn2_saveexec_b64 s[90:91], s[90:91]
	s_cbranch_execz .LBB2_8475
; %bb.8474:                             ;   in Loop: Header=BB2_8431 Depth=2
	s_waitcnt vmcnt(0) lgkmcnt(0)
	buffer_wbinvl1_vol
	s_barrier
.LBB2_8475:                             ;   in Loop: Header=BB2_8431 Depth=2
	s_or_b64 exec, exec, s[90:91]
.LBB2_8476:                             ;   in Loop: Header=BB2_8431 Depth=2
	s_or_b64 exec, exec, s[28:29]
	v_and_b32_e32 v0, 16, v61
	s_and_saveexec_b64 s[28:29], s[18:19]
	s_xor_b64 s[28:29], exec, s[28:29]
	s_cbranch_execz .LBB2_8480
; %bb.8477:                             ;   in Loop: Header=BB2_8431 Depth=2
	s_trap 2
	ds_read_b32 v0, v0
	v_cmp_lt_i32_e32 vcc, 0, v50
	s_waitcnt vmcnt(0)
	v_and_b32_e32 v1, 16, v61
	s_waitcnt lgkmcnt(0)
	v_readfirstlane_b32 s44, v0
	s_cmp_eq_u32 s44, 0
	s_cselect_b64 s[44:45], -1, 0
	s_and_b64 s[44:45], vcc, s[44:45]
	v_cmp_ne_u32_e32 vcc, 0, v1
	v_and_b32_e32 v0, 16, v61
	s_and_b64 s[44:45], vcc, s[44:45]
	s_and_saveexec_b64 s[90:91], s[44:45]
	s_cbranch_execz .LBB2_8479
; %bb.8478:                             ;   in Loop: Header=BB2_8431 Depth=2
	v_mov_b32_e32 v0, 1
	buffer_wbinvl1_vol
.LBB2_8479:                             ;   in Loop: Header=BB2_8431 Depth=2
	s_or_b64 exec, exec, s[90:91]
.LBB2_8480:                             ;   in Loop: Header=BB2_8431 Depth=2
	s_andn2_saveexec_b64 s[28:29], s[28:29]
	s_cbranch_execz .LBB2_8499
; %bb.8481:                             ;   in Loop: Header=BB2_8431 Depth=2
	s_and_saveexec_b64 s[44:45], s[58:59]
	s_xor_b64 s[90:91], exec, s[44:45]
	s_cbranch_execz .LBB2_8496
; %bb.8482:                             ;   in Loop: Header=BB2_8431 Depth=2
	s_and_saveexec_b64 s[92:93], s[6:7]
	s_cbranch_execz .LBB2_8495
; %bb.8483:                             ;   in Loop: Header=BB2_8431 Depth=2
	s_mov_b64 s[30:31], exec
	s_waitcnt vmcnt(0)
	v_mbcnt_lo_u32_b32 v1, s30, 0
	v_mbcnt_hi_u32_b32 v1, s31, v1
	v_cmp_eq_u32_e32 vcc, 0, v1
	;;#ASMSTART
	s_waitcnt lgkmcnt(0) vmcnt(0)
	;;#ASMEND
	s_and_saveexec_b64 s[94:95], vcc
	s_cbranch_execz .LBB2_8485
; %bb.8484:                             ;   in Loop: Header=BB2_8431 Depth=2
	s_bcnt1_i32_b64 s44, s[30:31]
	v_mov_b32_e32 v1, s44
	v_mov_b32_e32 v2, v29
	s_waitcnt lgkmcnt(0)
	ds_add_u64 v0, v[1:2]
	s_trap 2
.LBB2_8485:                             ;   in Loop: Header=BB2_8431 Depth=2
	s_or_b64 exec, exec, s[94:95]
	s_trap 2
	ds_read_b64 v[1:2], v0
	s_waitcnt lgkmcnt(0)
	v_add_co_u32_e32 v12, vcc, v12, v14
	v_addc_co_u32_e32 v13, vcc, 0, v13, vcc
	v_cmp_lt_u64_e32 vcc, v[1:2], v[12:13]
	s_and_saveexec_b64 s[94:95], vcc
	s_cbranch_execz .LBB2_8494
; %bb.8486:                             ;   in Loop: Header=BB2_8431 Depth=2
	s_mov_b32 s44, 0
	s_mov_b64 s[30:31], 0
                                        ; implicit-def: $sgpr34_sgpr35
                                        ; implicit-def: $sgpr36_sgpr37
	s_branch .LBB2_8488
.LBB2_8487:                             ;   in Loop: Header=BB2_8488 Depth=3
	s_or_b64 exec, exec, s[48:49]
	s_and_b64 vcc, exec, vcc
	s_or_b64 s[30:31], vcc, s[30:31]
	s_andn2_b64 vcc, s[34:35], exec
	s_and_b64 s[34:35], s[36:37], exec
	s_or_b64 s[34:35], vcc, s[34:35]
	s_andn2_b64 exec, exec, s[30:31]
	s_cbranch_execz .LBB2_8492
.LBB2_8488:                             ;   Parent Loop BB2_47 Depth=1
                                        ;     Parent Loop BB2_8431 Depth=2
                                        ; =>    This Inner Loop Header: Depth=3
	s_add_i32 s44, s44, 1
	s_cmpk_lg_i32 s44, 0x2710
	s_cselect_b64 s[38:39], -1, 0
	s_and_b64 vcc, exec, s[38:39]
	s_cbranch_vccz .LBB2_8490
; %bb.8489:                             ;   in Loop: Header=BB2_8488 Depth=3
	s_mov_b64 vcc, -1
	s_or_b64 s[36:37], s[36:37], exec
	s_and_saveexec_b64 s[48:49], s[38:39]
	s_cbranch_execz .LBB2_8487
	s_branch .LBB2_8491
.LBB2_8490:                             ;   in Loop: Header=BB2_8488 Depth=3
	s_trap 2
	ds_read_b64 v[1:2], v0
	s_andn2_b64 s[38:39], s[38:39], exec
	s_mov_b32 s44, 0
	s_waitcnt lgkmcnt(0)
	flat_load_dword v1, v[1:2] glc
	s_waitcnt vmcnt(0) lgkmcnt(0)
	buffer_wbinvl1_vol
	v_cmp_eq_u32_e32 vcc, 0, v1
	s_and_b64 vcc, vcc, exec
	s_or_b64 s[38:39], s[38:39], vcc
	s_mov_b64 vcc, -1
	s_or_b64 s[36:37], s[36:37], exec
	s_and_saveexec_b64 s[48:49], s[38:39]
	s_cbranch_execz .LBB2_8487
.LBB2_8491:                             ;   in Loop: Header=BB2_8488 Depth=3
	s_sleep 1
	s_trap 2
	ds_read_b64 v[1:2], v0
	s_waitcnt lgkmcnt(0)
	s_andn2_b64 s[36:37], s[36:37], exec
	v_cmp_ge_u64_e32 vcc, v[1:2], v[12:13]
	s_orn2_b64 vcc, vcc, exec
	s_branch .LBB2_8487
.LBB2_8492:                             ;   in Loop: Header=BB2_8431 Depth=2
	s_or_b64 exec, exec, s[30:31]
	s_and_saveexec_b64 s[44:45], s[34:35]
	s_xor_b64 s[44:45], exec, s[44:45]
	s_cbranch_execz .LBB2_8494
; %bb.8493:                             ;   in Loop: Header=BB2_8431 Depth=2
	v_mov_b32_e32 v1, 1
	ds_write_b32 v0, v1
	s_trap 2
.LBB2_8494:                             ;   in Loop: Header=BB2_8431 Depth=2
	s_or_b64 exec, exec, s[94:95]
	;;#ASMSTART
	s_wakeup
	;;#ASMEND
.LBB2_8495:                             ;   in Loop: Header=BB2_8431 Depth=2
	s_or_b64 exec, exec, s[92:93]
.LBB2_8496:                             ;   in Loop: Header=BB2_8431 Depth=2
	s_andn2_saveexec_b64 s[90:91], s[90:91]
	s_cbranch_execz .LBB2_8498
; %bb.8497:                             ;   in Loop: Header=BB2_8431 Depth=2
	;;#ASMSTART
	s_waitcnt lgkmcnt(0) vmcnt(0)
	;;#ASMEND
	s_waitcnt vmcnt(0) lgkmcnt(0)
	s_barrier
.LBB2_8498:                             ;   in Loop: Header=BB2_8431 Depth=2
	s_or_b64 exec, exec, s[90:91]
.LBB2_8499:                             ;   in Loop: Header=BB2_8431 Depth=2
	s_or_b64 exec, exec, s[28:29]
	v_cmp_ne_u32_e32 vcc, 0, v0
	s_xor_b64 s[28:29], s[20:21], -1
	s_and_b64 s[44:45], vcc, s[28:29]
	s_and_saveexec_b64 s[28:29], s[44:45]
	s_cbranch_execz .LBB2_8501
; %bb.8500:                             ;   in Loop: Header=BB2_8431 Depth=2
	buffer_load_dword v0, off, s[0:3], s33 offset:96 ; 4-byte Folded Reload
	buffer_load_dword v1, off, s[0:3], s33 offset:100 ; 4-byte Folded Reload
	v_mov_b32_e32 v2, 1
	s_waitcnt vmcnt(0)
	flat_store_dword v[0:1], v2
.LBB2_8501:                             ;   in Loop: Header=BB2_8431 Depth=2
	s_or_b64 exec, exec, s[28:29]
	v_and_b32_e32 v0, 48, v61
	v_cmp_ne_u32_e32 vcc, 0, v0
	s_and_saveexec_b64 s[28:29], vcc
	s_cbranch_execz .LBB2_8430
; %bb.8502:                             ;   in Loop: Header=BB2_8431 Depth=2
	v_add_co_u32_e32 v38, vcc, 2, v38
	v_addc_co_u32_e32 v39, vcc, 0, v39, vcc
	flat_store_dwordx2 v[20:21], v[38:39]
	s_branch .LBB2_8430
.LBB2_8503:                             ;   in Loop: Header=BB2_47 Depth=1
	s_or_b64 exec, exec, s[92:93]
	s_or_b64 exec, exec, s[90:91]
	v_cmp_gt_i32_e32 vcc, 2, v0
	s_and_saveexec_b64 s[40:41], vcc
	s_cbranch_execnz .LBB2_8429
.LBB2_8504:                             ;   in Loop: Header=BB2_47 Depth=1
	s_or_b64 exec, exec, s[40:41]
	s_and_b64 vcc, exec, s[26:27]
	s_cbranch_vccz .LBB2_8506
	s_branch .LBB2_8764
.LBB2_8505:                             ;   in Loop: Header=BB2_47 Depth=1
	s_or_b64 exec, exec, s[42:43]
	s_or_b64 exec, exec, s[40:41]
	s_and_b64 vcc, exec, s[26:27]
	s_cbranch_vccnz .LBB2_8764
.LBB2_8506:                             ;   in Loop: Header=BB2_47 Depth=1
	s_mov_b32 s44, 1
.LBB2_8507:                             ;   Parent Loop BB2_47 Depth=1
                                        ; =>  This Loop Header: Depth=2
                                        ;       Child Loop BB2_8510 Depth 3
                                        ;         Child Loop BB2_8518 Depth 4
                                        ;         Child Loop BB2_8546 Depth 4
	;; [unrolled: 1-line block ×4, first 2 shown]
                                        ;           Child Loop BB2_8589 Depth 5
                                        ;         Child Loop BB2_8595 Depth 4
                                        ;           Child Loop BB2_8596 Depth 5
                                        ;         Child Loop BB2_8603 Depth 4
                                        ;         Child Loop BB2_8608 Depth 4
                                        ;           Child Loop BB2_8609 Depth 5
                                        ;         Child Loop BB2_8621 Depth 4
                                        ;         Child Loop BB2_8626 Depth 4
	;; [unrolled: 1-line block ×6, first 2 shown]
                                        ;       Child Loop BB2_8688 Depth 3
                                        ;         Child Loop BB2_8694 Depth 4
                                        ;         Child Loop BB2_8722 Depth 4
	;; [unrolled: 1-line block ×3, first 2 shown]
	buffer_load_dword v2, off, s[0:3], s33 offset:188 ; 4-byte Folded Reload
	buffer_load_dword v3, off, s[0:3], s33 offset:192 ; 4-byte Folded Reload
	s_sub_i32 s26, s70, s44
	s_cmp_ge_i32 s26, s66
	s_cselect_b32 s27, s66, 0
	s_sub_i32 s26, s26, s27
	s_ashr_i32 s28, s26, 31
	v_mov_b32_e32 v5, 0
	s_waitcnt vmcnt(0)
	v_mul_lo_u32 v1, v2, s28
	v_mul_lo_u32 v0, v3, s26
	v_mad_u64_u32 v[8:9], s[26:27], v2, s26, 0
	v_add3_u32 v9, v9, v1, v0
	buffer_load_dword v0, off, s[0:3], s33 offset:180 ; 4-byte Folded Reload
	buffer_load_dword v1, off, s[0:3], s33 offset:184 ; 4-byte Folded Reload
	s_waitcnt vmcnt(0)
	v_sub_co_u32_e32 v0, vcc, v0, v8
	v_subb_co_u32_e32 v1, vcc, v1, v9, vcc
	v_cmp_lt_i64_e32 vcc, v[2:3], v[0:1]
	v_cndmask_b32_e32 v1, v0, v2, vcc
	v_max_i32_e32 v0, 0, v1
	v_add_u32_e32 v2, 31, v0
	v_lshrrev_b32_e32 v2, 1, v2
	v_and_b32_e32 v2, 0x3ffffff0, v2
	v_cmp_lt_i32_e32 vcc, 0, v1
	v_max_i32_e32 v50, s81, v2
	s_and_b64 s[26:27], s[74:75], vcc
	v_mov_b32_e32 v1, 0
	s_and_saveexec_b64 s[42:43], s[26:27]
	s_cbranch_execz .LBB2_8685
; %bb.8508:                             ;   in Loop: Header=BB2_8507 Depth=2
	buffer_load_dword v1, off, s[0:3], s33 offset:132 ; 4-byte Folded Reload
	s_mov_b32 s45, 1
	s_mov_b64 s[92:93], -1
	s_mov_b64 s[90:91], 0
	s_waitcnt vmcnt(0)
	v_add_co_u32_e32 v2, vcc, v8, v1
	buffer_load_dword v1, off, s[0:3], s33 offset:136 ; 4-byte Folded Reload
	s_waitcnt vmcnt(0)
	v_addc_co_u32_e32 v3, vcc, v9, v1, vcc
	v_mov_b32_e32 v1, 0
	s_branch .LBB2_8510
.LBB2_8509:                             ;   in Loop: Header=BB2_8510 Depth=3
	s_or_b64 exec, exec, s[26:27]
	v_add_u32_e32 v1, v50, v1
	v_cmp_ge_i32_e32 vcc, v1, v0
	s_xor_b64 s[26:27], s[92:93], -1
	s_or_b64 s[26:27], s[26:27], vcc
	s_and_b64 s[26:27], exec, s[26:27]
	s_or_b64 s[90:91], s[26:27], s[90:91]
	s_mov_b64 s[92:93], 0
	v_mov_b32_e32 v5, s45
	s_mov_b32 s45, 2
	s_andn2_b64 exec, exec, s[90:91]
	s_cbranch_execz .LBB2_8760
.LBB2_8510:                             ;   Parent Loop BB2_47 Depth=1
                                        ;     Parent Loop BB2_8507 Depth=2
                                        ; =>    This Loop Header: Depth=3
                                        ;         Child Loop BB2_8518 Depth 4
                                        ;         Child Loop BB2_8546 Depth 4
	;; [unrolled: 1-line block ×4, first 2 shown]
                                        ;           Child Loop BB2_8589 Depth 5
                                        ;         Child Loop BB2_8595 Depth 4
                                        ;           Child Loop BB2_8596 Depth 5
                                        ;         Child Loop BB2_8603 Depth 4
                                        ;         Child Loop BB2_8608 Depth 4
                                        ;           Child Loop BB2_8609 Depth 5
                                        ;         Child Loop BB2_8621 Depth 4
                                        ;         Child Loop BB2_8626 Depth 4
	;; [unrolled: 1-line block ×6, first 2 shown]
	s_and_saveexec_b64 s[26:27], s[4:5]
	s_cbranch_execz .LBB2_8512
; %bb.8511:                             ;   in Loop: Header=BB2_8510 Depth=3
	s_trap 2
	s_waitcnt vmcnt(0)
	ds_read_b128 v[5:8], v0
	v_ashrrev_i32_e32 v9, 31, v1
	s_waitcnt lgkmcnt(0)
	v_add_co_u32_e32 v5, vcc, v5, v2
	v_addc_co_u32_e32 v6, vcc, v6, v3, vcc
	v_add_co_u32_e32 v5, vcc, v5, v1
	v_addc_co_u32_e32 v6, vcc, v6, v9, vcc
	ds_write_b64 v0, v[5:6]
	v_add_co_u32_e32 v5, vcc, v7, v2
	v_addc_co_u32_e32 v6, vcc, v8, v3, vcc
	v_add_co_u32_e32 v5, vcc, v5, v1
	v_addc_co_u32_e32 v6, vcc, v6, v9, vcc
	v_cmp_ne_u64_e32 vcc, 0, v[7:8]
	v_cndmask_b32_e32 v6, 0, v6, vcc
	v_cndmask_b32_e32 v5, 0, v5, vcc
	ds_write_b64 v0, v[5:6]
.LBB2_8512:                             ;   in Loop: Header=BB2_8510 Depth=3
	s_or_b64 exec, exec, s[26:27]
	v_sub_u32_e32 v5, v0, v1
	v_min_i32_e32 v50, v50, v5
	v_and_b32_e32 v5, 12, v61
	v_cmp_ne_u32_e32 vcc, 0, v5
	s_and_saveexec_b64 s[28:29], vcc
	s_cbranch_execz .LBB2_8538
; %bb.8513:                             ;   in Loop: Header=BB2_8510 Depth=3
	v_and_b32_e32 v5, 8, v61
	s_waitcnt lgkmcnt(0)
	v_add_co_u32_e32 v6, vcc, v26, v5
	v_addc_co_u32_e32 v7, vcc, 0, v27, vcc
	s_waitcnt vmcnt(0)
	v_add_co_u32_e32 v8, vcc, 2, v38
	v_addc_co_u32_e32 v9, vcc, 0, v39, vcc
	v_cmp_lt_u64_e32 vcc, v[6:7], v[8:9]
	s_and_saveexec_b64 s[40:41], vcc
	s_cbranch_execz .LBB2_8525
; %bb.8514:                             ;   in Loop: Header=BB2_8510 Depth=3
	v_and_b32_e32 v6, 64, v61
	s_mov_b32 s47, 0
	v_cmp_eq_u32_e32 vcc, 0, v6
	s_mov_b64 s[94:95], 0
                                        ; implicit-def: $sgpr30_sgpr31
                                        ; implicit-def: $sgpr34_sgpr35
                                        ; implicit-def: $sgpr36_sgpr37
	s_branch .LBB2_8518
.LBB2_8515:                             ;   in Loop: Header=BB2_8518 Depth=4
	s_waitcnt vmcnt(0) lgkmcnt(0)
	v_add_co_u32_e64 v10, s[26:27], v26, v5
	v_addc_co_u32_e64 v11, s[26:27], 0, v27, s[26:27]
	v_cmp_ge_u64_e64 s[26:27], v[10:11], v[8:9]
	s_or_b64 s[50:51], s[50:51], exec
	s_orn2_b64 s[48:49], s[26:27], exec
.LBB2_8516:                             ;   in Loop: Header=BB2_8518 Depth=4
	s_or_b64 exec, exec, s[54:55]
	s_andn2_b64 s[26:27], s[36:37], exec
	s_and_b64 s[36:37], s[50:51], exec
	s_or_b64 s[36:37], s[26:27], s[36:37]
	s_andn2_b64 s[26:27], s[34:35], exec
	s_and_b64 s[34:35], s[48:49], exec
	s_or_b64 s[34:35], s[26:27], s[34:35]
.LBB2_8517:                             ;   in Loop: Header=BB2_8518 Depth=4
	s_or_b64 exec, exec, s[38:39]
	s_and_b64 s[26:27], exec, s[34:35]
	s_or_b64 s[94:95], s[26:27], s[94:95]
	s_andn2_b64 s[26:27], s[30:31], exec
	s_and_b64 s[30:31], s[36:37], exec
	s_or_b64 s[30:31], s[26:27], s[30:31]
	s_andn2_b64 exec, exec, s[94:95]
	s_cbranch_execz .LBB2_8522
.LBB2_8518:                             ;   Parent Loop BB2_47 Depth=1
                                        ;     Parent Loop BB2_8507 Depth=2
                                        ;       Parent Loop BB2_8510 Depth=3
                                        ; =>      This Inner Loop Header: Depth=4
	s_sleep 1
	s_waitcnt vmcnt(0) lgkmcnt(0)
	flat_load_dwordx2 v[26:27], v[20:21] glc
	s_or_b64 s[36:37], s[36:37], exec
	s_or_b64 s[34:35], s[34:35], exec
                                        ; implicit-def: $vgpr6
	s_and_saveexec_b64 s[38:39], vcc
	s_cbranch_execz .LBB2_8517
; %bb.8519:                             ;   in Loop: Header=BB2_8518 Depth=4
	s_cmpk_lt_i32 s47, 0x270f
	s_cselect_b64 s[52:53], -1, 0
	s_cmpk_gt_i32 s47, 0x270e
	s_mov_b64 s[48:49], -1
	s_cbranch_scc0 .LBB2_8521
; %bb.8520:                             ;   in Loop: Header=BB2_8518 Depth=4
	s_trap 2
	ds_read_b64 v[6:7], v0
	s_andn2_b64 s[52:53], s[52:53], exec
	s_mov_b32 s47, 0
	s_mov_b64 s[50:51], 0
	s_waitcnt vmcnt(0) lgkmcnt(0)
	flat_load_dword v6, v[6:7] glc
	s_waitcnt vmcnt(0) lgkmcnt(0)
	buffer_wbinvl1_vol
	v_cmp_eq_u32_e64 s[26:27], 0, v6
	s_and_b64 s[26:27], s[26:27], exec
	s_or_b64 s[52:53], s[52:53], s[26:27]
	s_and_saveexec_b64 s[54:55], s[52:53]
	s_cbranch_execz .LBB2_8516
	s_branch .LBB2_8515
.LBB2_8521:                             ;   in Loop: Header=BB2_8518 Depth=4
	s_add_i32 s47, s47, 1
	s_mov_b64 s[50:51], -1
                                        ; implicit-def: $vgpr6
	s_and_saveexec_b64 s[54:55], s[52:53]
	s_cbranch_execz .LBB2_8516
	s_branch .LBB2_8515
.LBB2_8522:                             ;   in Loop: Header=BB2_8510 Depth=3
	s_or_b64 exec, exec, s[94:95]
	s_xor_b64 s[26:27], s[30:31], -1
	s_and_saveexec_b64 s[94:95], s[26:27]
	s_xor_b64 s[26:27], exec, s[94:95]
	s_cbranch_execz .LBB2_8524
; %bb.8523:                             ;   in Loop: Header=BB2_8510 Depth=3
	v_or_b32_e32 v61, 64, v61
	s_waitcnt lgkmcnt(0)
	ds_write_b32 v0, v6
	s_trap 2
.LBB2_8524:                             ;   in Loop: Header=BB2_8510 Depth=3
	s_or_b64 exec, exec, s[26:27]
.LBB2_8525:                             ;   in Loop: Header=BB2_8510 Depth=3
	s_or_b64 exec, exec, s[40:41]
	v_and_b32_e32 v6, 0x108, v61
	v_cmp_ne_u32_e32 vcc, s46, v6
	;;#ASMSTART
	s_wakeup
	;;#ASMEND
                                        ; implicit-def: $vgpr10_vgpr11
	s_and_saveexec_b64 s[26:27], vcc
	s_xor_b64 s[26:27], exec, s[26:27]
; %bb.8526:                             ;   in Loop: Header=BB2_8510 Depth=3
	v_and_b32_e32 v10, 7, v38
	v_mov_b32_e32 v11, v29
                                        ; implicit-def: $vgpr38_vgpr39
; %bb.8527:                             ;   in Loop: Header=BB2_8510 Depth=3
	s_andn2_saveexec_b64 s[26:27], s[26:27]
	s_cbranch_execz .LBB2_8529
; %bb.8528:                             ;   in Loop: Header=BB2_8510 Depth=3
	buffer_load_dword v22, off, s[0:3], s33 offset:80 ; 4-byte Folded Reload
	buffer_load_dword v23, off, s[0:3], s33 offset:84 ; 4-byte Folded Reload
	;; [unrolled: 1-line block ×4, first 2 shown]
	v_and_b32_e32 v10, 7, v38
	v_mov_b32_e32 v11, v29
	v_ashrrev_i32_e32 v51, 31, v50
	s_waitcnt vmcnt(0)
	v_mad_u64_u32 v[6:7], s[40:41], v10, 24, v[22:23]
	flat_store_dwordx2 v[6:7], v[50:51] offset:8
.LBB2_8529:                             ;   in Loop: Header=BB2_8510 Depth=3
	s_or_b64 exec, exec, s[26:27]
	v_and_b32_e32 v6, 0x100, v61
	v_cmp_ne_u32_e32 vcc, 0, v6
	s_mov_b64 s[26:27], -1
                                        ; implicit-def: $vgpr38_vgpr39
	s_and_saveexec_b64 s[40:41], vcc
	s_cbranch_execz .LBB2_8533
; %bb.8530:                             ;   in Loop: Header=BB2_8510 Depth=3
	buffer_load_dword v22, off, s[0:3], s33 offset:80 ; 4-byte Folded Reload
	buffer_load_dword v23, off, s[0:3], s33 offset:84 ; 4-byte Folded Reload
	;; [unrolled: 1-line block ×4, first 2 shown]
                                        ; implicit-def: $vgpr38_vgpr39
	s_waitcnt vmcnt(0)
	v_mad_u64_u32 v[51:52], s[26:27], v10, 24, v[22:23]
	v_mov_b32_e32 v6, v52
	v_mad_u64_u32 v[6:7], s[26:27], v11, 24, v[6:7]
	v_mov_b32_e32 v52, v6
	flat_load_dword v6, v[51:52]
	s_waitcnt vmcnt(0) lgkmcnt(0)
	v_cmp_ne_u32_e32 vcc, 1, v6
	v_cmp_eq_u32_e64 s[26:27], 1, v6
	s_and_saveexec_b64 s[94:95], s[26:27]
	s_cbranch_execz .LBB2_8532
; %bb.8531:                             ;   in Loop: Header=BB2_8510 Depth=3
	flat_load_dword v38, v[51:52] offset:4 glc
	s_waitcnt vmcnt(0) lgkmcnt(0)
	v_ashrrev_i32_e32 v39, 31, v38
.LBB2_8532:                             ;   in Loop: Header=BB2_8510 Depth=3
	s_or_b64 exec, exec, s[94:95]
	s_orn2_b64 s[26:27], vcc, exec
.LBB2_8533:                             ;   in Loop: Header=BB2_8510 Depth=3
	s_or_b64 exec, exec, s[40:41]
	s_and_saveexec_b64 s[40:41], s[26:27]
	s_cbranch_execz .LBB2_8535
; %bb.8534:                             ;   in Loop: Header=BB2_8510 Depth=3
	buffer_load_dword v16, off, s[0:3], s33 offset:104 ; 4-byte Folded Reload
	buffer_load_dword v7, off, s[0:3], s33 offset:124 ; 4-byte Folded Reload
	s_waitcnt vmcnt(0)
	v_mul_lo_u32 v6, v11, v16
	v_mul_lo_u32 v7, v10, v7
	v_mad_u64_u32 v[38:39], s[26:27], v10, v16, 0
	v_add3_u32 v39, v39, v7, v6
.LBB2_8535:                             ;   in Loop: Header=BB2_8510 Depth=3
	s_or_b64 exec, exec, s[40:41]
	v_cmp_eq_u32_e32 vcc, 0, v5
	v_mov_b32_e32 v5, 0xd0
	v_mov_b32_e32 v6, 0x88
	v_cndmask_b32_e32 v7, v5, v6, vcc
	buffer_load_dword v5, off, s[0:3], s33 offset:72 ; 4-byte Folded Reload
	buffer_load_dword v6, off, s[0:3], s33 offset:76 ; 4-byte Folded Reload
	v_add_u32_e32 v7, v0, v7
	s_waitcnt vmcnt(0)
	v_add_co_u32_e32 v5, vcc, v5, v38
	v_addc_co_u32_e32 v6, vcc, v6, v39, vcc
	ds_write_b64 v7, v[5:6] offset:584
	v_and_b32_e32 v5, 0x2000, v61
	v_cmp_ne_u32_e32 vcc, 0, v5
	s_and_saveexec_b64 s[26:27], vcc
	s_cbranch_execz .LBB2_8537
; %bb.8536:                             ;   in Loop: Header=BB2_8510 Depth=3
	ds_read_b64 v[5:6], v0 offset:872
	s_waitcnt lgkmcnt(0)
	v_add_co_u32_e32 v5, vcc, 1, v5
	v_addc_co_u32_e32 v6, vcc, 0, v6, vcc
	ds_write_b64 v0, v[5:6] offset:872
.LBB2_8537:                             ;   in Loop: Header=BB2_8510 Depth=3
	s_or_b64 exec, exec, s[26:27]
	v_mov_b32_e32 v39, v9
	v_mov_b32_e32 v38, v8
.LBB2_8538:                             ;   in Loop: Header=BB2_8510 Depth=3
	s_or_b64 exec, exec, s[28:29]
	s_and_saveexec_b64 s[26:27], s[12:13]
	s_cbranch_execz .LBB2_8557
; %bb.8539:                             ;   in Loop: Header=BB2_8510 Depth=3
	s_and_saveexec_b64 s[28:29], s[58:59]
	s_xor_b64 s[28:29], exec, s[28:29]
	s_cbranch_execz .LBB2_8554
; %bb.8540:                             ;   in Loop: Header=BB2_8510 Depth=3
	s_and_saveexec_b64 s[40:41], s[6:7]
	s_cbranch_execz .LBB2_8553
; %bb.8541:                             ;   in Loop: Header=BB2_8510 Depth=3
	s_mov_b64 s[30:31], exec
	v_mbcnt_lo_u32_b32 v5, s30, 0
	v_mbcnt_hi_u32_b32 v5, s31, v5
	v_cmp_eq_u32_e32 vcc, 0, v5
	s_waitcnt vmcnt(0) lgkmcnt(0)
	buffer_wbinvl1_vol
	s_and_saveexec_b64 s[94:95], vcc
	s_cbranch_execz .LBB2_8543
; %bb.8542:                             ;   in Loop: Header=BB2_8510 Depth=3
	s_bcnt1_i32_b64 s47, s[30:31]
	v_mov_b32_e32 v5, s47
	v_mov_b32_e32 v6, v29
	ds_add_u64 v0, v[5:6]
	s_trap 2
.LBB2_8543:                             ;   in Loop: Header=BB2_8510 Depth=3
	s_or_b64 exec, exec, s[94:95]
	s_trap 2
	ds_read_b64 v[5:6], v0
	s_waitcnt lgkmcnt(0)
	v_add_co_u32_e32 v12, vcc, v12, v14
	v_addc_co_u32_e32 v13, vcc, 0, v13, vcc
	v_cmp_lt_u64_e32 vcc, v[5:6], v[12:13]
	s_and_saveexec_b64 s[94:95], vcc
	s_cbranch_execz .LBB2_8552
; %bb.8544:                             ;   in Loop: Header=BB2_8510 Depth=3
	s_mov_b32 s47, 0
	s_mov_b64 s[30:31], 0
                                        ; implicit-def: $sgpr34_sgpr35
                                        ; implicit-def: $sgpr36_sgpr37
	s_branch .LBB2_8546
.LBB2_8545:                             ;   in Loop: Header=BB2_8546 Depth=4
	s_or_b64 exec, exec, s[48:49]
	s_and_b64 vcc, exec, vcc
	s_or_b64 s[30:31], vcc, s[30:31]
	s_andn2_b64 vcc, s[34:35], exec
	s_and_b64 s[34:35], s[36:37], exec
	s_or_b64 s[34:35], vcc, s[34:35]
	s_andn2_b64 exec, exec, s[30:31]
	s_cbranch_execz .LBB2_8550
.LBB2_8546:                             ;   Parent Loop BB2_47 Depth=1
                                        ;     Parent Loop BB2_8507 Depth=2
                                        ;       Parent Loop BB2_8510 Depth=3
                                        ; =>      This Inner Loop Header: Depth=4
	s_add_i32 s47, s47, 1
	s_cmpk_lg_i32 s47, 0x2710
	s_cselect_b64 s[38:39], -1, 0
	s_and_b64 vcc, exec, s[38:39]
	s_cbranch_vccz .LBB2_8548
; %bb.8547:                             ;   in Loop: Header=BB2_8546 Depth=4
	s_mov_b64 vcc, -1
	s_or_b64 s[36:37], s[36:37], exec
	s_and_saveexec_b64 s[48:49], s[38:39]
	s_cbranch_execz .LBB2_8545
	s_branch .LBB2_8549
.LBB2_8548:                             ;   in Loop: Header=BB2_8546 Depth=4
	s_trap 2
	ds_read_b64 v[5:6], v0
	s_andn2_b64 s[38:39], s[38:39], exec
	s_mov_b32 s47, 0
	s_waitcnt lgkmcnt(0)
	flat_load_dword v5, v[5:6] glc
	s_waitcnt vmcnt(0) lgkmcnt(0)
	buffer_wbinvl1_vol
	v_cmp_eq_u32_e32 vcc, 0, v5
	s_and_b64 vcc, vcc, exec
	s_or_b64 s[38:39], s[38:39], vcc
	s_mov_b64 vcc, -1
	s_or_b64 s[36:37], s[36:37], exec
	s_and_saveexec_b64 s[48:49], s[38:39]
	s_cbranch_execz .LBB2_8545
.LBB2_8549:                             ;   in Loop: Header=BB2_8546 Depth=4
	s_sleep 1
	s_trap 2
	ds_read_b64 v[5:6], v0
	s_waitcnt lgkmcnt(0)
	s_andn2_b64 s[36:37], s[36:37], exec
	v_cmp_ge_u64_e32 vcc, v[5:6], v[12:13]
	s_orn2_b64 vcc, vcc, exec
	s_branch .LBB2_8545
.LBB2_8550:                             ;   in Loop: Header=BB2_8510 Depth=3
	s_or_b64 exec, exec, s[30:31]
	s_and_saveexec_b64 vcc, s[34:35]
	s_xor_b64 vcc, exec, vcc
	s_cbranch_execz .LBB2_8552
; %bb.8551:                             ;   in Loop: Header=BB2_8510 Depth=3
	v_mov_b32_e32 v5, 1
	ds_write_b32 v0, v5
	s_trap 2
.LBB2_8552:                             ;   in Loop: Header=BB2_8510 Depth=3
	s_or_b64 exec, exec, s[94:95]
	;;#ASMSTART
	s_wakeup
	;;#ASMEND
.LBB2_8553:                             ;   in Loop: Header=BB2_8510 Depth=3
	s_or_b64 exec, exec, s[40:41]
.LBB2_8554:                             ;   in Loop: Header=BB2_8510 Depth=3
	s_andn2_saveexec_b64 s[28:29], s[28:29]
	s_cbranch_execz .LBB2_8556
; %bb.8555:                             ;   in Loop: Header=BB2_8510 Depth=3
	s_waitcnt vmcnt(0) lgkmcnt(0)
	buffer_wbinvl1_vol
	s_barrier
.LBB2_8556:                             ;   in Loop: Header=BB2_8510 Depth=3
	s_or_b64 exec, exec, s[28:29]
.LBB2_8557:                             ;   in Loop: Header=BB2_8510 Depth=3
	s_or_b64 exec, exec, s[26:27]
	s_trap 2
	ds_read_b32 v5, v0
	v_and_b32_e32 v6, 0x4000, v61
	v_cmp_ne_u32_e32 vcc, 0, v6
	s_xor_b64 s[26:27], s[10:11], -1
	s_and_b64 s[28:29], s[26:27], vcc
	s_and_saveexec_b64 s[26:27], s[28:29]
	s_cbranch_execz .LBB2_8576
; %bb.8558:                             ;   in Loop: Header=BB2_8510 Depth=3
	s_and_saveexec_b64 s[28:29], s[58:59]
	s_xor_b64 s[28:29], exec, s[28:29]
	s_cbranch_execz .LBB2_8573
; %bb.8559:                             ;   in Loop: Header=BB2_8510 Depth=3
	s_and_saveexec_b64 s[40:41], s[6:7]
	s_cbranch_execz .LBB2_8572
; %bb.8560:                             ;   in Loop: Header=BB2_8510 Depth=3
	s_mov_b64 s[30:31], exec
	v_mbcnt_lo_u32_b32 v6, s30, 0
	v_mbcnt_hi_u32_b32 v6, s31, v6
	v_cmp_eq_u32_e32 vcc, 0, v6
	s_waitcnt vmcnt(0) lgkmcnt(0)
	buffer_wbinvl1_vol
	s_and_saveexec_b64 s[94:95], vcc
	s_cbranch_execz .LBB2_8562
; %bb.8561:                             ;   in Loop: Header=BB2_8510 Depth=3
	s_bcnt1_i32_b64 s47, s[30:31]
	v_mov_b32_e32 v6, s47
	v_mov_b32_e32 v7, v29
	ds_add_u64 v0, v[6:7]
	s_trap 2
.LBB2_8562:                             ;   in Loop: Header=BB2_8510 Depth=3
	s_or_b64 exec, exec, s[94:95]
	s_trap 2
	ds_read_b64 v[6:7], v0
	s_waitcnt lgkmcnt(0)
	v_add_co_u32_e32 v12, vcc, v12, v14
	v_addc_co_u32_e32 v13, vcc, 0, v13, vcc
	v_cmp_lt_u64_e32 vcc, v[6:7], v[12:13]
	s_and_saveexec_b64 s[94:95], vcc
	s_cbranch_execz .LBB2_8571
; %bb.8563:                             ;   in Loop: Header=BB2_8510 Depth=3
	s_mov_b32 s47, 0
	s_mov_b64 s[30:31], 0
                                        ; implicit-def: $sgpr34_sgpr35
                                        ; implicit-def: $sgpr36_sgpr37
	s_branch .LBB2_8565
.LBB2_8564:                             ;   in Loop: Header=BB2_8565 Depth=4
	s_or_b64 exec, exec, s[48:49]
	s_and_b64 vcc, exec, vcc
	s_or_b64 s[30:31], vcc, s[30:31]
	s_andn2_b64 vcc, s[34:35], exec
	s_and_b64 s[34:35], s[36:37], exec
	s_or_b64 s[34:35], vcc, s[34:35]
	s_andn2_b64 exec, exec, s[30:31]
	s_cbranch_execz .LBB2_8569
.LBB2_8565:                             ;   Parent Loop BB2_47 Depth=1
                                        ;     Parent Loop BB2_8507 Depth=2
                                        ;       Parent Loop BB2_8510 Depth=3
                                        ; =>      This Inner Loop Header: Depth=4
	s_add_i32 s47, s47, 1
	s_cmpk_lg_i32 s47, 0x2710
	s_cselect_b64 s[38:39], -1, 0
	s_and_b64 vcc, exec, s[38:39]
	s_cbranch_vccz .LBB2_8567
; %bb.8566:                             ;   in Loop: Header=BB2_8565 Depth=4
	s_mov_b64 vcc, -1
	s_or_b64 s[36:37], s[36:37], exec
	s_and_saveexec_b64 s[48:49], s[38:39]
	s_cbranch_execz .LBB2_8564
	s_branch .LBB2_8568
.LBB2_8567:                             ;   in Loop: Header=BB2_8565 Depth=4
	s_trap 2
	ds_read_b64 v[6:7], v0
	s_andn2_b64 s[38:39], s[38:39], exec
	s_mov_b32 s47, 0
	s_waitcnt lgkmcnt(0)
	flat_load_dword v6, v[6:7] glc
	s_waitcnt vmcnt(0) lgkmcnt(0)
	buffer_wbinvl1_vol
	v_cmp_eq_u32_e32 vcc, 0, v6
	s_and_b64 vcc, vcc, exec
	s_or_b64 s[38:39], s[38:39], vcc
	s_mov_b64 vcc, -1
	s_or_b64 s[36:37], s[36:37], exec
	s_and_saveexec_b64 s[48:49], s[38:39]
	s_cbranch_execz .LBB2_8564
.LBB2_8568:                             ;   in Loop: Header=BB2_8565 Depth=4
	s_sleep 1
	s_trap 2
	ds_read_b64 v[6:7], v0
	s_waitcnt lgkmcnt(0)
	s_andn2_b64 s[36:37], s[36:37], exec
	v_cmp_ge_u64_e32 vcc, v[6:7], v[12:13]
	s_orn2_b64 vcc, vcc, exec
	s_branch .LBB2_8564
.LBB2_8569:                             ;   in Loop: Header=BB2_8510 Depth=3
	s_or_b64 exec, exec, s[30:31]
	s_and_saveexec_b64 vcc, s[34:35]
	s_xor_b64 vcc, exec, vcc
	s_cbranch_execz .LBB2_8571
; %bb.8570:                             ;   in Loop: Header=BB2_8510 Depth=3
	v_mov_b32_e32 v6, 1
	ds_write_b32 v0, v6
	s_trap 2
.LBB2_8571:                             ;   in Loop: Header=BB2_8510 Depth=3
	s_or_b64 exec, exec, s[94:95]
	;;#ASMSTART
	s_wakeup
	;;#ASMEND
.LBB2_8572:                             ;   in Loop: Header=BB2_8510 Depth=3
	s_or_b64 exec, exec, s[40:41]
.LBB2_8573:                             ;   in Loop: Header=BB2_8510 Depth=3
	s_andn2_saveexec_b64 s[28:29], s[28:29]
	s_cbranch_execz .LBB2_8575
; %bb.8574:                             ;   in Loop: Header=BB2_8510 Depth=3
	s_waitcnt vmcnt(0) lgkmcnt(0)
	buffer_wbinvl1_vol
	s_barrier
.LBB2_8575:                             ;   in Loop: Header=BB2_8510 Depth=3
	s_or_b64 exec, exec, s[28:29]
.LBB2_8576:                             ;   in Loop: Header=BB2_8510 Depth=3
	s_or_b64 exec, exec, s[26:27]
	s_trap 2
	ds_read_b64 v[51:52], v0
	s_waitcnt lgkmcnt(0)
	v_cmp_eq_u64_e32 vcc, 0, v[51:52]
	s_cbranch_vccnz .LBB2_8585
; %bb.8577:                             ;   in Loop: Header=BB2_8510 Depth=3
	s_trap 2
	ds_read_b64 v[53:54], v0
	s_waitcnt lgkmcnt(0)
	v_cmp_eq_u64_e32 vcc, 0, v[53:54]
	s_cbranch_vccnz .LBB2_8585
; %bb.8578:                             ;   in Loop: Header=BB2_8510 Depth=3
	s_trap 2
	ds_read_b64 v[40:41], v0
	v_cmp_eq_u32_e64 s[26:27], 0, v5
	v_cndmask_b32_e64 v5, 0, v50, s[26:27]
	s_mov_b64 s[26:27], -1
	s_waitcnt lgkmcnt(0)
	v_cmp_ne_u64_e32 vcc, 0, v[40:41]
	s_cbranch_vccz .LBB2_8612
; %bb.8579:                             ;   in Loop: Header=BB2_8510 Depth=3
	s_and_saveexec_b64 s[28:29], s[16:17]
	s_cbranch_execz .LBB2_8581
; %bb.8580:                             ;   in Loop: Header=BB2_8510 Depth=3
	ds_read_b32 v6, v0 offset:720
	s_waitcnt lgkmcnt(0)
	v_and_b32_e32 v6, 15, v6
	v_cmp_eq_u32_e32 vcc, 0, v6
	s_orn2_b64 s[26:27], vcc, exec
.LBB2_8581:                             ;   in Loop: Header=BB2_8510 Depth=3
	s_or_b64 exec, exec, s[28:29]
	s_and_saveexec_b64 s[28:29], s[24:25]
	s_cbranch_execz .LBB2_8583
; %bb.8582:                             ;   in Loop: Header=BB2_8510 Depth=3
	ds_read_b32 v6, v0 offset:784
	s_waitcnt lgkmcnt(0)
	v_and_b32_e32 v6, 15, v6
	v_cmp_eq_u32_e32 vcc, 0, v6
	s_and_b64 s[40:41], s[26:27], vcc
	s_andn2_b64 s[26:27], s[26:27], exec
	s_and_b64 s[40:41], s[40:41], exec
	s_or_b64 s[26:27], s[26:27], s[40:41]
.LBB2_8583:                             ;   in Loop: Header=BB2_8510 Depth=3
	s_or_b64 exec, exec, s[28:29]
	buffer_load_dword v16, off, s[0:3], s33 offset:128 ; 4-byte Folded Reload
	s_xor_b64 s[26:27], s[26:27], -1
	v_cndmask_b32_e64 v7, 0, 1, s[26:27]
	s_mov_b64 s[28:29], -1
	v_mov_b32_e32 v6, 0
	v_cmp_ne_u32_e32 vcc, 0, v7
	v_mov_b32_e32 v7, v5
	s_cbranch_vccz .LBB2_8586
; %bb.8584:                             ;   in Loop: Header=BB2_8510 Depth=3
	s_and_saveexec_b64 s[40:41], s[28:29]
	s_cbranch_execnz .LBB2_8601
	s_branch .LBB2_8611
.LBB2_8585:                             ;   in Loop: Header=BB2_8510 Depth=3
	s_mov_b64 s[26:27], 0
	s_and_saveexec_b64 s[28:29], s[12:13]
	s_cbranch_execnz .LBB2_8640
	s_branch .LBB2_8658
.LBB2_8586:                             ;   in Loop: Header=BB2_8510 Depth=3
	v_ashrrev_i32_e32 v7, 31, v5
	v_lshrrev_b32_e32 v7, 22, v7
	v_add_u32_e32 v7, v5, v7
	buffer_load_dword v6, off, s[0:3], s33 offset:148 ; 4-byte Folded Reload
	s_waitcnt vmcnt(0)
	v_ashrrev_i32_e32 v8, 10, v7
	v_and_b32_e32 v19, 0xfffffc00, v7
	buffer_load_dword v7, off, s[0:3], s33 offset:152 ; 4-byte Folded Reload
	v_sub_u32_e32 v23, v5, v19
	v_cmp_lt_i32_e64 s[26:27], 15, v23
	s_waitcnt vmcnt(1)
	v_sub_u32_e32 v6, v5, v6
	s_waitcnt vmcnt(0)
	v_sub_u32_e32 v7, v8, v7
	v_addc_co_u32_e64 v22, vcc, 0, v7, s[26:27]
	v_cmp_lt_i32_e32 vcc, 15, v6
	s_and_saveexec_b64 s[94:95], vcc
	s_cbranch_execz .LBB2_8592
; %bb.8587:                             ;   in Loop: Header=BB2_8510 Depth=3
	buffer_load_dword v8, off, s[0:3], s33 offset:148 ; 4-byte Folded Reload
	s_mov_b64 s[30:31], 0
	s_waitcnt vmcnt(0)
	v_add_co_u32_e32 v42, vcc, v51, v8
	v_addc_co_u32_e32 v43, vcc, 0, v52, vcc
	v_add_co_u32_e32 v7, vcc, v53, v8
	v_addc_co_u32_e32 v16, vcc, 0, v54, vcc
	;; [unrolled: 2-line block ×3, first 2 shown]
.LBB2_8588:                             ;   Parent Loop BB2_47 Depth=1
                                        ;     Parent Loop BB2_8507 Depth=2
                                        ;       Parent Loop BB2_8510 Depth=3
                                        ; =>      This Loop Header: Depth=4
                                        ;           Child Loop BB2_8589 Depth 5
	global_load_dwordx4 v[8:11], v[42:43], off glc slc
	s_mov_b64 s[34:35], -1
	s_mov_b64 s[36:37], 0
	s_waitcnt vmcnt(0)
.LBB2_8589:                             ;   Parent Loop BB2_47 Depth=1
                                        ;     Parent Loop BB2_8507 Depth=2
                                        ;       Parent Loop BB2_8510 Depth=3
                                        ;         Parent Loop BB2_8588 Depth=4
                                        ; =>        This Inner Loop Header: Depth=5
	s_cmp_eq_u32 s36, 1
	s_cselect_b64 s[28:29], -1, 0
	v_cndmask_b32_e64 v30, v7, v18, s[28:29]
	v_cndmask_b32_e64 v31, v16, v24, s[28:29]
	v_add_co_u32_e32 v25, vcc, 0x400, v30
	s_cmp_eq_u32 s36, 0
	v_addc_co_u32_e32 v28, vcc, 0, v31, vcc
	s_cselect_b64 vcc, -1, 0
	s_and_b64 s[40:41], exec, s[34:35]
	s_mov_b64 s[36:37], 1
	v_cndmask_b32_e64 v18, v18, v25, s[28:29]
	s_mov_b64 s[34:35], 0
	v_cndmask_b32_e64 v24, v24, v28, s[28:29]
	v_cndmask_b32_e32 v16, v16, v28, vcc
	v_cndmask_b32_e32 v7, v7, v25, vcc
	s_mov_b64 vcc, s[40:41]
	global_store_dwordx4 v[30:31], v[8:11], off glc slc
	s_cbranch_vccnz .LBB2_8589
; %bb.8590:                             ;   in Loop: Header=BB2_8588 Depth=4
	buffer_load_dword v9, off, s[0:3], s33 offset:60 ; 4-byte Folded Reload
	v_add_u32_e32 v8, 0xfffffc00, v15
	v_add_co_u32_e32 v7, vcc, v7, v8
	v_sub_u32_e32 v6, v6, v15
	v_sub_u32_e32 v22, v22, v14
	s_waitcnt vmcnt(0)
	v_addc_co_u32_e32 v16, vcc, v16, v9, vcc
	v_add_co_u32_e32 v18, vcc, v18, v8
	buffer_load_dword v8, off, s[0:3], s33 offset:64 ; 4-byte Folded Reload
	v_addc_co_u32_e32 v24, vcc, v24, v9, vcc
	s_waitcnt vmcnt(0)
	v_add_co_u32_e32 v42, vcc, v8, v42
	buffer_load_dword v8, off, s[0:3], s33 offset:68 ; 4-byte Folded Reload
	s_waitcnt vmcnt(0)
	v_addc_co_u32_e32 v43, vcc, v8, v43, vcc
	v_cmp_gt_i32_e32 vcc, 16, v6
	s_or_b64 s[30:31], vcc, s[30:31]
	s_andn2_b64 exec, exec, s[30:31]
	s_cbranch_execnz .LBB2_8588
; %bb.8591:                             ;   in Loop: Header=BB2_8510 Depth=3
	s_or_b64 exec, exec, s[30:31]
.LBB2_8592:                             ;   in Loop: Header=BB2_8510 Depth=3
	s_or_b64 exec, exec, s[94:95]
	v_and_b32_e32 v8, 15, v5
	v_cndmask_b32_e64 v18, v23, v8, s[26:27]
	v_mov_b32_e32 v6, 0
	v_cmp_ne_u32_e32 vcc, 0, v18
	s_mov_b64 s[28:29], 0
                                        ; implicit-def: $vgpr7
                                        ; implicit-def: $vgpr16
	s_and_saveexec_b64 s[94:95], vcc
	s_cbranch_execz .LBB2_8600
; %bb.8593:                             ;   in Loop: Header=BB2_8510 Depth=3
	v_sub_u32_e32 v6, v23, v8
	buffer_load_dword v8, off, s[0:3], s33 offset:176 ; 4-byte Folded Reload
	v_cmp_lt_i32_e32 vcc, 0, v22
	v_cndmask_b32_e32 v7, 0, v14, vcc
	v_sub_u32_e32 v7, v7, v22
	v_cndmask_b32_e64 v6, 0, v6, s[26:27]
	v_add_u32_e32 v6, v6, v19
	s_waitcnt vmcnt(0)
	v_lshl_or_b32 v7, v7, 6, v8
	v_ashrrev_i32_e32 v8, 31, v7
	v_lshrrev_b32_e32 v8, 26, v8
	v_add_u32_e32 v8, v7, v8
	v_ashrrev_i32_e32 v9, 6, v8
	v_and_b32_e32 v8, 0xffffffc0, v8
	v_sub_u32_e32 v16, v7, v8
	v_lshlrev_b32_e32 v7, 4, v16
	v_lshl_add_u32 v8, v9, 10, v7
	v_ashrrev_i32_e32 v7, 31, v18
	v_lshrrev_b32_e32 v7, 22, v7
	v_add_u32_e32 v7, v18, v7
	v_ashrrev_i32_e32 v10, 10, v7
	v_and_b32_e32 v7, 0xfffffc00, v7
	v_sub_u32_e32 v19, v18, v7
	v_cmp_lt_i32_e64 s[26:27], 15, v19
	v_sub_u32_e32 v23, v18, v8
	v_addc_co_u32_e64 v10, vcc, 0, v10, s[26:27]
	v_sub_u32_e32 v22, v10, v9
	v_cmp_lt_i32_e32 vcc, 15, v23
	s_and_saveexec_b64 s[30:31], vcc
	s_cbranch_execz .LBB2_8599
; %bb.8594:                             ;   in Loop: Header=BB2_8510 Depth=3
	v_add_u32_e32 v8, v8, v6
	v_ashrrev_i32_e32 v9, 31, v8
	v_add_co_u32_e32 v42, vcc, v8, v51
	v_addc_co_u32_e32 v43, vcc, v9, v52, vcc
	v_add_co_u32_e32 v24, vcc, v8, v53
	v_addc_co_u32_e32 v25, vcc, v9, v54, vcc
	;; [unrolled: 2-line block ×3, first 2 shown]
	s_mov_b64 s[34:35], 0
.LBB2_8595:                             ;   Parent Loop BB2_47 Depth=1
                                        ;     Parent Loop BB2_8507 Depth=2
                                        ;       Parent Loop BB2_8510 Depth=3
                                        ; =>      This Loop Header: Depth=4
                                        ;           Child Loop BB2_8596 Depth 5
	global_load_dwordx4 v[8:11], v[42:43], off glc slc
	s_mov_b64 s[36:37], -1
	s_mov_b64 s[38:39], 0
	s_waitcnt vmcnt(0)
.LBB2_8596:                             ;   Parent Loop BB2_47 Depth=1
                                        ;     Parent Loop BB2_8507 Depth=2
                                        ;       Parent Loop BB2_8510 Depth=3
                                        ;         Parent Loop BB2_8595 Depth=4
                                        ; =>        This Inner Loop Header: Depth=5
	s_cmp_eq_u32 s38, 1
	s_cselect_b64 s[28:29], -1, 0
	v_cndmask_b32_e64 v33, v24, v28, s[28:29]
	v_cndmask_b32_e64 v34, v25, v30, s[28:29]
	v_add_co_u32_e32 v31, vcc, 0x400, v33
	s_cmp_eq_u32 s38, 0
	global_store_dwordx4 v[33:34], v[8:11], off glc slc
	v_addc_co_u32_e32 v33, vcc, 0, v34, vcc
	s_cselect_b64 vcc, -1, 0
	s_and_b64 s[40:41], exec, s[36:37]
	s_mov_b64 s[38:39], 1
	v_cndmask_b32_e64 v28, v28, v31, s[28:29]
	s_mov_b64 s[36:37], 0
	v_cndmask_b32_e64 v30, v30, v33, s[28:29]
	v_cndmask_b32_e32 v25, v25, v33, vcc
	v_cndmask_b32_e32 v24, v24, v31, vcc
	s_mov_b64 vcc, s[40:41]
	s_cbranch_vccnz .LBB2_8596
; %bb.8597:                             ;   in Loop: Header=BB2_8595 Depth=4
	buffer_load_dword v9, off, s[0:3], s33 offset:60 ; 4-byte Folded Reload
	v_add_u32_e32 v8, 0xfffffc00, v15
	v_add_co_u32_e32 v24, vcc, v24, v8
	v_sub_u32_e32 v23, v23, v15
	v_sub_u32_e32 v22, v22, v14
	s_waitcnt vmcnt(0)
	v_addc_co_u32_e32 v25, vcc, v25, v9, vcc
	v_add_co_u32_e32 v28, vcc, v28, v8
	buffer_load_dword v8, off, s[0:3], s33 offset:64 ; 4-byte Folded Reload
	v_addc_co_u32_e32 v30, vcc, v30, v9, vcc
	s_waitcnt vmcnt(0)
	v_add_co_u32_e32 v42, vcc, v8, v42
	buffer_load_dword v8, off, s[0:3], s33 offset:68 ; 4-byte Folded Reload
	s_waitcnt vmcnt(0)
	v_addc_co_u32_e32 v43, vcc, v8, v43, vcc
	v_cmp_gt_i32_e32 vcc, 16, v23
	s_or_b64 s[34:35], vcc, s[34:35]
	s_andn2_b64 exec, exec, s[34:35]
	s_cbranch_execnz .LBB2_8595
; %bb.8598:                             ;   in Loop: Header=BB2_8510 Depth=3
	s_or_b64 exec, exec, s[34:35]
.LBB2_8599:                             ;   in Loop: Header=BB2_8510 Depth=3
	s_or_b64 exec, exec, s[30:31]
	v_and_b32_e32 v8, 15, v18
	v_sub_u32_e32 v9, v19, v8
	v_cndmask_b32_e64 v9, 0, v9, s[26:27]
	v_cmp_lt_i32_e32 vcc, 0, v22
	v_add3_u32 v6, v7, v6, v9
	v_cndmask_b32_e64 v7, v19, v8, s[26:27]
	v_cndmask_b32_e32 v8, 0, v14, vcc
	v_sub_u32_e32 v8, v8, v22
	v_cmp_ne_u32_e32 vcc, 0, v7
	v_lshl_add_u32 v16, v8, 6, v16
	s_and_b64 s[28:29], vcc, exec
.LBB2_8600:                             ;   in Loop: Header=BB2_8510 Depth=3
	s_or_b64 exec, exec, s[94:95]
	s_and_saveexec_b64 s[40:41], s[28:29]
	s_cbranch_execz .LBB2_8611
.LBB2_8601:                             ;   in Loop: Header=BB2_8510 Depth=3
	s_waitcnt vmcnt(0)
	v_ashrrev_i32_e32 v8, 31, v16
	v_ashrrev_i32_e32 v9, 31, v7
	v_lshrrev_b32_e32 v8, 26, v8
	v_lshrrev_b32_e32 v9, 23, v9
	v_add_u32_e32 v8, v16, v8
	v_add_u32_e32 v9, v7, v9
	v_ashrrev_i32_e32 v18, 6, v8
	v_ashrrev_i32_e32 v22, 9, v9
	v_sub_u32_e32 v19, v22, v18
	v_cmp_lt_i32_e32 vcc, 0, v19
	s_and_saveexec_b64 s[26:27], vcc
	s_cbranch_execz .LBB2_8605
; %bb.8602:                             ;   in Loop: Header=BB2_8510 Depth=3
	v_and_b32_e32 v8, 0xffffffc0, v8
	v_sub_u32_e32 v8, v16, v8
	v_lshlrev_b32_e32 v9, 9, v18
	v_add3_u32 v23, v6, v8, v9
	v_ashrrev_i32_e32 v24, 31, v23
	v_add_co_u32_e32 v8, vcc, v23, v53
	v_addc_co_u32_e32 v9, vcc, v24, v54, vcc
	v_add_co_u32_e32 v10, vcc, v23, v40
	v_addc_co_u32_e32 v11, vcc, v24, v41, vcc
	;; [unrolled: 2-line block ×4, first 2 shown]
	s_mov_b64 s[28:29], 0
.LBB2_8603:                             ;   Parent Loop BB2_47 Depth=1
                                        ;     Parent Loop BB2_8507 Depth=2
                                        ;       Parent Loop BB2_8510 Depth=3
                                        ; =>      This Inner Loop Header: Depth=4
	v_add_co_u32_e32 v23, vcc, 0xfffffe40, v40
	v_addc_co_u32_e32 v24, vcc, -1, v41, vcc
	flat_load_ubyte v23, v[23:24] glc slc
	v_add_co_u32_e32 v24, vcc, 0xfffffe80, v40
	v_addc_co_u32_e32 v25, vcc, -1, v41, vcc
	v_add_co_u32_e32 v30, vcc, 0xfffffec0, v40
	v_addc_co_u32_e32 v31, vcc, -1, v41, vcc
	flat_load_ubyte v24, v[24:25] glc slc
	v_sub_u32_e32 v19, v19, v14
	flat_load_ubyte v25, v[30:31] glc slc
	v_add_co_u32_e32 v30, vcc, 0xffffff00, v40
	v_addc_co_u32_e32 v31, vcc, -1, v41, vcc
	flat_load_ubyte v28, v[30:31] glc slc
	v_add_co_u32_e32 v30, vcc, 0xffffff40, v40
	v_addc_co_u32_e32 v31, vcc, -1, v41, vcc
	;; [unrolled: 3-line block ×4, first 2 shown]
	flat_load_ubyte v30, v[30:31] glc slc
	s_nop 0
	flat_load_ubyte v31, v[40:41] glc slc
	s_waitcnt vmcnt(0) lgkmcnt(0)
	flat_store_byte v[8:9], v23 glc slc
	flat_store_byte v[8:9], v24 offset:64 glc slc
	flat_store_byte v[8:9], v25 offset:128 glc slc
	;; [unrolled: 1-line block ×7, first 2 shown]
	flat_store_byte v[10:11], v23 glc slc
	flat_store_byte v[10:11], v24 offset:64 glc slc
	flat_store_byte v[10:11], v25 offset:128 glc slc
	;; [unrolled: 1-line block ×7, first 2 shown]
	v_add_co_u32_e32 v8, vcc, v8, v32
	v_addc_co_u32_e32 v9, vcc, 0, v9, vcc
	v_add_co_u32_e32 v10, vcc, v10, v32
	v_addc_co_u32_e32 v11, vcc, 0, v11, vcc
	;; [unrolled: 2-line block ×3, first 2 shown]
	v_cmp_gt_i32_e32 vcc, 1, v19
	s_or_b64 s[28:29], vcc, s[28:29]
	s_andn2_b64 exec, exec, s[28:29]
	s_cbranch_execnz .LBB2_8603
; %bb.8604:                             ;   in Loop: Header=BB2_8510 Depth=3
	s_or_b64 exec, exec, s[28:29]
.LBB2_8605:                             ;   in Loop: Header=BB2_8510 Depth=3
	s_or_b64 exec, exec, s[26:27]
	v_lshlrev_b32_e32 v8, 9, v22
	v_cmp_ne_u32_e32 vcc, v7, v8
	s_and_b64 exec, exec, vcc
	s_cbranch_execz .LBB2_8611
; %bb.8606:                             ;   in Loop: Header=BB2_8510 Depth=3
	v_lshlrev_b32_e32 v9, 6, v18
	v_sub_u32_e32 v9, v16, v9
	v_lshlrev_b32_e32 v10, 6, v19
	v_sub_u32_e32 v9, v9, v10
	v_add_u32_e32 v8, v8, v9
	v_sub_u32_e32 v7, v7, v8
	v_cmp_lt_i32_e32 vcc, 0, v7
	s_and_b64 exec, exec, vcc
	s_cbranch_execz .LBB2_8611
; %bb.8607:                             ;   in Loop: Header=BB2_8510 Depth=3
	v_add_u32_e32 v11, v8, v6
	s_trap 2
	ds_read_b64 v[8:9], v0
	ds_read_b128 v[22:25], v0
	v_ashrrev_i32_e32 v16, 31, v11
	s_mov_b64 s[94:95], 0
	s_waitcnt lgkmcnt(0)
	v_add_co_u32_e32 v8, vcc, v8, v11
	v_addc_co_u32_e32 v9, vcc, v9, v16, vcc
	v_add_co_u32_e32 v6, vcc, v22, v11
	v_addc_co_u32_e32 v10, vcc, v23, v16, vcc
	v_add_co_u32_e32 v11, vcc, v24, v11
	v_addc_co_u32_e32 v16, vcc, v25, v16, vcc
.LBB2_8608:                             ;   Parent Loop BB2_47 Depth=1
                                        ;     Parent Loop BB2_8507 Depth=2
                                        ;       Parent Loop BB2_8510 Depth=3
                                        ; =>      This Loop Header: Depth=4
                                        ;           Child Loop BB2_8609 Depth 5
	flat_load_ubyte v18, v[8:9] glc slc
	s_mov_b64 s[30:31], -1
	s_mov_b64 s[34:35], 0
	s_waitcnt vmcnt(0)
.LBB2_8609:                             ;   Parent Loop BB2_47 Depth=1
                                        ;     Parent Loop BB2_8507 Depth=2
                                        ;       Parent Loop BB2_8510 Depth=3
                                        ;         Parent Loop BB2_8608 Depth=4
                                        ; =>        This Inner Loop Header: Depth=5
	s_cmp_eq_u32 s34, 1
	s_cselect_b64 vcc, -1, 0
	v_cndmask_b32_e32 v22, v6, v11, vcc
	v_cndmask_b32_e32 v23, v10, v16, vcc
	v_add_co_u32_e64 v19, s[26:27], 64, v22
	s_cmp_eq_u32 s34, 0
	s_waitcnt lgkmcnt(0)
	flat_store_byte v[22:23], v18 glc slc
	v_addc_co_u32_e64 v22, s[26:27], 0, v23, s[26:27]
	s_cselect_b64 s[26:27], -1, 0
	s_and_b64 s[28:29], exec, s[30:31]
	s_mov_b64 s[34:35], 1
	s_mov_b64 s[30:31], 0
	v_cndmask_b32_e32 v16, v16, v22, vcc
	v_cndmask_b32_e32 v11, v11, v19, vcc
	v_cndmask_b32_e64 v10, v10, v22, s[26:27]
	v_cndmask_b32_e64 v6, v6, v19, s[26:27]
	s_mov_b64 vcc, s[28:29]
	s_cbranch_vccnz .LBB2_8609
; %bb.8610:                             ;   in Loop: Header=BB2_8608 Depth=4
	buffer_load_dword v18, off, s[0:3], s33 offset:108 ; 4-byte Folded Reload
	buffer_load_dword v19, off, s[0:3], s33 offset:112 ; 4-byte Folded Reload
	s_waitcnt vmcnt(0)
	v_add_co_u32_e32 v6, vcc, v6, v18
	v_addc_co_u32_e32 v10, vcc, v10, v19, vcc
	v_add_co_u32_e32 v11, vcc, v11, v18
	buffer_load_dword v18, off, s[0:3], s33 offset:56 ; 4-byte Folded Reload
	v_addc_co_u32_e32 v16, vcc, v16, v19, vcc
	s_waitcnt vmcnt(0)
	v_sub_u32_e32 v7, v7, v18
	buffer_load_dword v18, off, s[0:3], s33 offset:116 ; 4-byte Folded Reload
	v_cmp_gt_i32_e32 vcc, 1, v7
	s_or_b64 s[94:95], vcc, s[94:95]
	s_waitcnt vmcnt(0)
	v_add_co_u32_e32 v8, vcc, v18, v8
	buffer_load_dword v18, off, s[0:3], s33 offset:120 ; 4-byte Folded Reload
	s_waitcnt vmcnt(0)
	v_addc_co_u32_e32 v9, vcc, v18, v9, vcc
	s_andn2_b64 exec, exec, s[94:95]
	s_cbranch_execnz .LBB2_8608
.LBB2_8611:                             ;   in Loop: Header=BB2_8510 Depth=3
	s_or_b64 exec, exec, s[40:41]
	s_mov_b64 s[26:27], 0
.LBB2_8612:                             ;   in Loop: Header=BB2_8510 Depth=3
	s_and_b64 vcc, exec, s[26:27]
	s_cbranch_vccz .LBB2_8639
; %bb.8613:                             ;   in Loop: Header=BB2_8510 Depth=3
	s_mov_b64 s[26:27], -1
	s_and_saveexec_b64 s[28:29], s[16:17]
	s_cbranch_execz .LBB2_8615
; %bb.8614:                             ;   in Loop: Header=BB2_8510 Depth=3
	ds_read_b32 v6, v0 offset:720
	s_waitcnt lgkmcnt(0)
	v_and_b32_e32 v6, 15, v6
	v_cmp_eq_u32_e32 vcc, 0, v6
	s_orn2_b64 s[26:27], vcc, exec
.LBB2_8615:                             ;   in Loop: Header=BB2_8510 Depth=3
	s_or_b64 exec, exec, s[28:29]
	s_and_saveexec_b64 s[28:29], s[14:15]
	s_cbranch_execz .LBB2_8617
; %bb.8616:                             ;   in Loop: Header=BB2_8510 Depth=3
	ds_read_b32 v6, v0 offset:784
	s_waitcnt lgkmcnt(0)
	v_and_b32_e32 v6, 15, v6
	v_cmp_eq_u32_e32 vcc, 0, v6
	s_and_b64 s[40:41], s[26:27], vcc
	s_andn2_b64 s[26:27], s[26:27], exec
	s_and_b64 s[40:41], s[40:41], exec
	s_or_b64 s[26:27], s[26:27], s[40:41]
.LBB2_8617:                             ;   in Loop: Header=BB2_8510 Depth=3
	s_or_b64 exec, exec, s[28:29]
	buffer_load_dword v8, off, s[0:3], s33 offset:128 ; 4-byte Folded Reload
	s_xor_b64 s[26:27], s[26:27], -1
	v_cndmask_b32_e64 v7, 0, 1, s[26:27]
	s_mov_b64 s[40:41], -1
	v_mov_b32_e32 v6, 0
	v_cmp_ne_u32_e32 vcc, 0, v7
	v_mov_b32_e32 v7, v5
	s_cbranch_vccz .LBB2_8619
; %bb.8618:                             ;   in Loop: Header=BB2_8510 Depth=3
	s_and_saveexec_b64 s[26:27], s[40:41]
	s_cbranch_execnz .LBB2_8630
	s_branch .LBB2_8638
.LBB2_8619:                             ;   in Loop: Header=BB2_8510 Depth=3
	buffer_load_dword v7, off, s[0:3], s33 offset:152 ; 4-byte Folded Reload
	v_ashrrev_i32_e32 v6, 31, v5
	v_lshrrev_b32_e32 v6, 21, v6
	v_add_u32_e32 v6, v5, v6
	v_ashrrev_i32_e32 v6, 11, v6
	s_waitcnt vmcnt(0)
	v_sub_u32_e32 v10, v6, v7
	v_cmp_lt_i32_e32 vcc, 0, v10
	s_and_saveexec_b64 s[26:27], vcc
	s_cbranch_execz .LBB2_8623
; %bb.8620:                             ;   in Loop: Header=BB2_8510 Depth=3
	buffer_load_dword v8, off, s[0:3], s33 offset:212 ; 4-byte Folded Reload
	buffer_load_dword v9, off, s[0:3], s33 offset:216 ; 4-byte Folded Reload
	s_mov_b64 s[28:29], 0
	v_lshlrev_b32_e32 v7, 11, v14
.LBB2_8621:                             ;   Parent Loop BB2_47 Depth=1
                                        ;     Parent Loop BB2_8507 Depth=2
                                        ;       Parent Loop BB2_8510 Depth=3
                                        ; =>      This Inner Loop Header: Depth=4
	s_waitcnt vmcnt(0)
	v_add_co_u32_e32 v18, vcc, v51, v8
	v_addc_co_u32_e32 v19, vcc, v52, v9, vcc
	global_load_dwordx4 v[22:25], v[18:19], off glc slc
	global_load_dwordx4 v[40:43], v[18:19], off offset:1024 glc slc
	v_add_co_u32_e32 v18, vcc, v53, v8
	v_addc_co_u32_e32 v19, vcc, v54, v9, vcc
	v_add_co_u32_e32 v8, vcc, v8, v7
	v_sub_u32_e32 v10, v10, v14
	v_addc_co_u32_e32 v9, vcc, 0, v9, vcc
	v_cmp_gt_i32_e32 vcc, 1, v10
	s_or_b64 s[28:29], vcc, s[28:29]
	s_waitcnt vmcnt(0)
	global_store_dwordx4 v[18:19], v[22:25], off glc slc
	global_store_dwordx4 v[18:19], v[40:43], off offset:1024 glc slc
	s_andn2_b64 exec, exec, s[28:29]
	s_cbranch_execnz .LBB2_8621
; %bb.8622:                             ;   in Loop: Header=BB2_8510 Depth=3
	s_or_b64 exec, exec, s[28:29]
.LBB2_8623:                             ;   in Loop: Header=BB2_8510 Depth=3
	s_or_b64 exec, exec, s[26:27]
	v_lshlrev_b32_e32 v9, 11, v6
	v_cmp_ne_u32_e32 vcc, v5, v9
	s_mov_b64 s[40:41], 0
	v_mov_b32_e32 v6, 0
                                        ; implicit-def: $vgpr7
                                        ; implicit-def: $vgpr8
	s_and_saveexec_b64 s[28:29], vcc
	s_cbranch_execz .LBB2_8629
; %bb.8624:                             ;   in Loop: Header=BB2_8510 Depth=3
	buffer_load_dword v8, off, s[0:3], s33 offset:176 ; 4-byte Folded Reload
	v_lshlrev_b32_e32 v6, 6, v10
	v_sub_u32_e32 v7, v5, v9
	s_waitcnt vmcnt(0)
	v_sub_u32_e32 v6, v8, v6
	v_ashrrev_i32_e32 v8, 31, v6
	v_lshrrev_b32_e32 v8, 26, v8
	v_add_u32_e32 v8, v6, v8
	v_ashrrev_i32_e32 v10, 6, v8
	v_and_b32_e32 v8, 0xffffffc0, v8
	v_sub_u32_e32 v8, v6, v8
	v_lshlrev_b32_e32 v6, 4, v8
	v_lshl_add_u32 v16, v10, 10, v6
	v_ashrrev_i32_e32 v6, 31, v7
	v_lshrrev_b32_e32 v6, 22, v6
	v_add_u32_e32 v6, v7, v6
	v_ashrrev_i32_e32 v18, 10, v6
	v_and_b32_e32 v6, 0xfffffc00, v6
	v_sub_u32_e32 v11, v7, v16
	v_sub_u32_e32 v7, v7, v6
	v_cmp_lt_i32_e32 vcc, 15, v7
	v_addc_co_u32_e64 v18, s[26:27], 0, v18, vcc
	v_sub_u32_e32 v10, v18, v10
	v_cmp_lt_i32_e64 s[26:27], 15, v11
	s_and_saveexec_b64 s[40:41], s[26:27]
	s_cbranch_execz .LBB2_8628
; %bb.8625:                             ;   in Loop: Header=BB2_8510 Depth=3
	v_add_u32_e32 v16, v16, v9
	v_ashrrev_i32_e32 v18, 31, v16
	s_mov_b64 s[94:95], 0
.LBB2_8626:                             ;   Parent Loop BB2_47 Depth=1
                                        ;     Parent Loop BB2_8507 Depth=2
                                        ;       Parent Loop BB2_8510 Depth=3
                                        ; =>      This Inner Loop Header: Depth=4
	v_add_co_u32_e64 v22, s[26:27], v51, v16
	v_addc_co_u32_e64 v23, s[26:27], v52, v18, s[26:27]
	global_load_dwordx4 v[22:25], v[22:23], off glc slc
	v_add_co_u32_e64 v30, s[26:27], v53, v16
	v_addc_co_u32_e64 v31, s[26:27], v54, v18, s[26:27]
	v_add_co_u32_e64 v16, s[26:27], v16, v15
	v_sub_u32_e32 v11, v11, v15
	v_addc_co_u32_e64 v18, s[26:27], 0, v18, s[26:27]
	v_cmp_gt_i32_e64 s[26:27], 16, v11
	v_sub_u32_e32 v10, v10, v14
	s_or_b64 s[94:95], s[26:27], s[94:95]
	s_waitcnt vmcnt(0)
	global_store_dwordx4 v[30:31], v[22:25], off glc slc
	s_andn2_b64 exec, exec, s[94:95]
	s_cbranch_execnz .LBB2_8626
; %bb.8627:                             ;   in Loop: Header=BB2_8510 Depth=3
	s_or_b64 exec, exec, s[94:95]
.LBB2_8628:                             ;   in Loop: Header=BB2_8510 Depth=3
	s_or_b64 exec, exec, s[40:41]
	v_and_b32_e32 v11, 15, v5
	v_sub_u32_e32 v16, v7, v11
	v_cndmask_b32_e32 v16, 0, v16, vcc
	v_cndmask_b32_e32 v7, v7, v11, vcc
	v_cmp_lt_i32_e32 vcc, 0, v10
	v_add3_u32 v6, v6, v9, v16
	v_cndmask_b32_e32 v9, 0, v14, vcc
	v_sub_u32_e32 v9, v9, v10
	v_cmp_ne_u32_e32 vcc, 0, v7
	v_lshl_add_u32 v8, v9, 6, v8
	s_and_b64 s[40:41], vcc, exec
.LBB2_8629:                             ;   in Loop: Header=BB2_8510 Depth=3
	s_or_b64 exec, exec, s[28:29]
	s_and_saveexec_b64 s[26:27], s[40:41]
	s_cbranch_execz .LBB2_8638
.LBB2_8630:                             ;   in Loop: Header=BB2_8510 Depth=3
	s_waitcnt vmcnt(0)
	v_ashrrev_i32_e32 v9, 31, v8
	v_ashrrev_i32_e32 v10, 31, v7
	v_lshrrev_b32_e32 v9, 26, v9
	v_lshrrev_b32_e32 v10, 23, v10
	v_add_u32_e32 v16, v8, v9
	v_add_u32_e32 v10, v7, v10
	v_ashrrev_i32_e32 v9, 6, v16
	v_ashrrev_i32_e32 v11, 9, v10
	v_sub_u32_e32 v10, v11, v9
	v_cmp_lt_i32_e32 vcc, 0, v10
	s_and_saveexec_b64 s[28:29], vcc
	s_cbranch_execz .LBB2_8634
; %bb.8631:                             ;   in Loop: Header=BB2_8510 Depth=3
	v_and_b32_e32 v16, 0xffffffc0, v16
	v_sub_u32_e32 v16, v8, v16
	v_lshlrev_b32_e32 v18, 9, v9
	v_add3_u32 v16, v6, v16, v18
	v_ashrrev_i32_e32 v18, 31, v16
	s_mov_b64 s[40:41], 0
.LBB2_8632:                             ;   Parent Loop BB2_47 Depth=1
                                        ;     Parent Loop BB2_8507 Depth=2
                                        ;       Parent Loop BB2_8510 Depth=3
                                        ; =>      This Inner Loop Header: Depth=4
	v_add_co_u32_e32 v22, vcc, v16, v51
	v_addc_co_u32_e32 v23, vcc, v18, v52, vcc
	flat_load_ubyte v19, v[22:23] glc slc
	flat_load_ubyte v24, v[22:23] offset:64 glc slc
	flat_load_ubyte v25, v[22:23] offset:128 glc slc
	;; [unrolled: 1-line block ×7, first 2 shown]
	v_add_co_u32_e32 v22, vcc, v16, v53
	v_addc_co_u32_e32 v23, vcc, v18, v54, vcc
	v_add_co_u32_e32 v51, vcc, v51, v32
	v_addc_co_u32_e32 v52, vcc, 0, v52, vcc
	v_add_co_u32_e32 v53, vcc, v53, v32
	v_sub_u32_e32 v10, v10, v14
	v_addc_co_u32_e32 v54, vcc, 0, v54, vcc
	v_cmp_gt_i32_e32 vcc, 1, v10
	s_or_b64 s[40:41], vcc, s[40:41]
	s_waitcnt vmcnt(0) lgkmcnt(0)
	flat_store_byte v[22:23], v19 glc slc
	flat_store_byte v[22:23], v24 offset:64 glc slc
	flat_store_byte v[22:23], v25 offset:128 glc slc
	;; [unrolled: 1-line block ×7, first 2 shown]
	s_andn2_b64 exec, exec, s[40:41]
	s_cbranch_execnz .LBB2_8632
; %bb.8633:                             ;   in Loop: Header=BB2_8510 Depth=3
	s_or_b64 exec, exec, s[40:41]
.LBB2_8634:                             ;   in Loop: Header=BB2_8510 Depth=3
	s_or_b64 exec, exec, s[28:29]
	buffer_load_dword v16, off, s[0:3], s33 offset:56 ; 4-byte Folded Reload
	v_lshlrev_b32_e32 v11, 9, v11
	v_cmp_ne_u32_e32 vcc, v7, v11
	s_and_b64 s[28:29], exec, vcc
	s_mov_b64 exec, s[28:29]
	s_cbranch_execz .LBB2_8638
; %bb.8635:                             ;   in Loop: Header=BB2_8510 Depth=3
	v_lshlrev_b32_e32 v9, 6, v9
	v_sub_u32_e32 v8, v8, v9
	v_lshlrev_b32_e32 v9, 6, v10
	v_sub_u32_e32 v8, v8, v9
	v_add_u32_e32 v8, v11, v8
	v_sub_u32_e32 v7, v7, v8
	v_cmp_lt_i32_e32 vcc, 0, v7
	s_and_b64 exec, exec, vcc
	s_cbranch_execz .LBB2_8638
; %bb.8636:                             ;   in Loop: Header=BB2_8510 Depth=3
	v_add_u32_e32 v6, v8, v6
	s_trap 2
	ds_read_b64 v[8:9], v0
	v_ashrrev_i32_e32 v10, 31, v6
	s_mov_b64 s[28:29], 0
.LBB2_8637:                             ;   Parent Loop BB2_47 Depth=1
                                        ;     Parent Loop BB2_8507 Depth=2
                                        ;       Parent Loop BB2_8510 Depth=3
                                        ; =>      This Inner Loop Header: Depth=4
	s_waitcnt lgkmcnt(0)
	v_add_co_u32_e32 v18, vcc, v8, v6
	v_addc_co_u32_e32 v19, vcc, v9, v10, vcc
	flat_load_ubyte v11, v[18:19] glc slc
	s_waitcnt vmcnt(0)
	v_add_co_u32_e32 v6, vcc, v6, v16
	v_sub_u32_e32 v7, v7, v16
	v_addc_co_u32_e32 v10, vcc, 0, v10, vcc
	v_cmp_gt_i32_e32 vcc, 1, v7
	s_or_b64 s[28:29], vcc, s[28:29]
	s_waitcnt lgkmcnt(0)
	flat_store_byte v[18:19], v11 glc slc
	s_andn2_b64 exec, exec, s[28:29]
	s_cbranch_execnz .LBB2_8637
.LBB2_8638:                             ;   in Loop: Header=BB2_8510 Depth=3
	s_or_b64 exec, exec, s[26:27]
.LBB2_8639:                             ;   in Loop: Header=BB2_8510 Depth=3
	v_cmp_lt_i32_e64 s[26:27], 0, v5
	s_and_saveexec_b64 s[28:29], s[12:13]
	s_cbranch_execz .LBB2_8658
.LBB2_8640:                             ;   in Loop: Header=BB2_8510 Depth=3
	s_and_saveexec_b64 s[40:41], s[58:59]
	s_xor_b64 s[40:41], exec, s[40:41]
	s_cbranch_execz .LBB2_8655
; %bb.8641:                             ;   in Loop: Header=BB2_8510 Depth=3
	s_and_saveexec_b64 s[94:95], s[6:7]
	s_cbranch_execz .LBB2_8654
; %bb.8642:                             ;   in Loop: Header=BB2_8510 Depth=3
	s_mov_b64 s[34:35], exec
	v_mbcnt_lo_u32_b32 v5, s34, 0
	v_mbcnt_hi_u32_b32 v5, s35, v5
	v_cmp_eq_u32_e32 vcc, 0, v5
	s_waitcnt vmcnt(0) lgkmcnt(0)
	buffer_wbinvl1_vol
	s_and_saveexec_b64 s[30:31], vcc
	s_cbranch_execz .LBB2_8644
; %bb.8643:                             ;   in Loop: Header=BB2_8510 Depth=3
	s_bcnt1_i32_b64 s47, s[34:35]
	v_mov_b32_e32 v5, s47
	v_mov_b32_e32 v6, v29
	ds_add_u64 v0, v[5:6]
	s_trap 2
.LBB2_8644:                             ;   in Loop: Header=BB2_8510 Depth=3
	s_or_b64 exec, exec, s[30:31]
	s_trap 2
	ds_read_b64 v[5:6], v0
	s_waitcnt lgkmcnt(0)
	v_add_co_u32_e32 v12, vcc, v12, v14
	v_addc_co_u32_e32 v13, vcc, 0, v13, vcc
	v_cmp_lt_u64_e32 vcc, v[5:6], v[12:13]
	s_and_saveexec_b64 s[30:31], vcc
	s_cbranch_execz .LBB2_8653
; %bb.8645:                             ;   in Loop: Header=BB2_8510 Depth=3
	s_mov_b32 s47, 0
	s_mov_b64 s[34:35], 0
                                        ; implicit-def: $sgpr36_sgpr37
                                        ; implicit-def: $sgpr38_sgpr39
	s_branch .LBB2_8647
.LBB2_8646:                             ;   in Loop: Header=BB2_8647 Depth=4
	s_or_b64 exec, exec, s[50:51]
	s_and_b64 vcc, exec, vcc
	s_or_b64 s[34:35], vcc, s[34:35]
	s_andn2_b64 vcc, s[36:37], exec
	s_and_b64 s[36:37], s[38:39], exec
	s_or_b64 s[36:37], vcc, s[36:37]
	s_andn2_b64 exec, exec, s[34:35]
	s_cbranch_execz .LBB2_8651
.LBB2_8647:                             ;   Parent Loop BB2_47 Depth=1
                                        ;     Parent Loop BB2_8507 Depth=2
                                        ;       Parent Loop BB2_8510 Depth=3
                                        ; =>      This Inner Loop Header: Depth=4
	s_add_i32 s47, s47, 1
	s_cmpk_lg_i32 s47, 0x2710
	s_cselect_b64 s[48:49], -1, 0
	s_and_b64 vcc, exec, s[48:49]
	s_cbranch_vccz .LBB2_8649
; %bb.8648:                             ;   in Loop: Header=BB2_8647 Depth=4
	s_mov_b64 vcc, -1
	s_or_b64 s[38:39], s[38:39], exec
	s_and_saveexec_b64 s[50:51], s[48:49]
	s_cbranch_execz .LBB2_8646
	s_branch .LBB2_8650
.LBB2_8649:                             ;   in Loop: Header=BB2_8647 Depth=4
	s_trap 2
	ds_read_b64 v[5:6], v0
	s_andn2_b64 s[48:49], s[48:49], exec
	s_mov_b32 s47, 0
	s_waitcnt lgkmcnt(0)
	flat_load_dword v5, v[5:6] glc
	s_waitcnt vmcnt(0) lgkmcnt(0)
	buffer_wbinvl1_vol
	v_cmp_eq_u32_e32 vcc, 0, v5
	s_and_b64 vcc, vcc, exec
	s_or_b64 s[48:49], s[48:49], vcc
	s_mov_b64 vcc, -1
	s_or_b64 s[38:39], s[38:39], exec
	s_and_saveexec_b64 s[50:51], s[48:49]
	s_cbranch_execz .LBB2_8646
.LBB2_8650:                             ;   in Loop: Header=BB2_8647 Depth=4
	s_sleep 1
	s_trap 2
	ds_read_b64 v[5:6], v0
	s_waitcnt lgkmcnt(0)
	s_andn2_b64 s[38:39], s[38:39], exec
	v_cmp_ge_u64_e32 vcc, v[5:6], v[12:13]
	s_orn2_b64 vcc, vcc, exec
	s_branch .LBB2_8646
.LBB2_8651:                             ;   in Loop: Header=BB2_8510 Depth=3
	s_or_b64 exec, exec, s[34:35]
	s_and_saveexec_b64 vcc, s[36:37]
	s_xor_b64 vcc, exec, vcc
	s_cbranch_execz .LBB2_8653
; %bb.8652:                             ;   in Loop: Header=BB2_8510 Depth=3
	v_mov_b32_e32 v5, 1
	ds_write_b32 v0, v5
	s_trap 2
.LBB2_8653:                             ;   in Loop: Header=BB2_8510 Depth=3
	s_or_b64 exec, exec, s[30:31]
	;;#ASMSTART
	s_wakeup
	;;#ASMEND
.LBB2_8654:                             ;   in Loop: Header=BB2_8510 Depth=3
	s_or_b64 exec, exec, s[94:95]
.LBB2_8655:                             ;   in Loop: Header=BB2_8510 Depth=3
	s_andn2_saveexec_b64 s[40:41], s[40:41]
	s_cbranch_execz .LBB2_8657
; %bb.8656:                             ;   in Loop: Header=BB2_8510 Depth=3
	s_waitcnt vmcnt(0) lgkmcnt(0)
	buffer_wbinvl1_vol
	s_barrier
.LBB2_8657:                             ;   in Loop: Header=BB2_8510 Depth=3
	s_or_b64 exec, exec, s[40:41]
.LBB2_8658:                             ;   in Loop: Header=BB2_8510 Depth=3
	s_or_b64 exec, exec, s[28:29]
	v_and_b32_e32 v5, 16, v61
	s_and_saveexec_b64 s[28:29], s[18:19]
	s_xor_b64 s[28:29], exec, s[28:29]
	s_cbranch_execz .LBB2_8662
; %bb.8659:                             ;   in Loop: Header=BB2_8510 Depth=3
	v_and_b32_e32 v6, 16, v61
	v_cmp_ne_u32_e32 vcc, 0, v6
	v_and_b32_e32 v5, 16, v61
	s_and_b64 s[40:41], vcc, s[26:27]
	s_and_saveexec_b64 s[26:27], s[40:41]
	s_cbranch_execz .LBB2_8661
; %bb.8660:                             ;   in Loop: Header=BB2_8510 Depth=3
	v_mov_b32_e32 v5, 1
	s_waitcnt vmcnt(0) lgkmcnt(0)
	buffer_wbinvl1_vol
.LBB2_8661:                             ;   in Loop: Header=BB2_8510 Depth=3
	s_or_b64 exec, exec, s[26:27]
.LBB2_8662:                             ;   in Loop: Header=BB2_8510 Depth=3
	s_andn2_saveexec_b64 s[26:27], s[28:29]
	s_cbranch_execz .LBB2_8681
; %bb.8663:                             ;   in Loop: Header=BB2_8510 Depth=3
	s_and_saveexec_b64 s[28:29], s[58:59]
	s_xor_b64 s[28:29], exec, s[28:29]
	s_cbranch_execz .LBB2_8678
; %bb.8664:                             ;   in Loop: Header=BB2_8510 Depth=3
	s_and_saveexec_b64 s[40:41], s[6:7]
	s_cbranch_execz .LBB2_8677
; %bb.8665:                             ;   in Loop: Header=BB2_8510 Depth=3
	s_mov_b64 s[30:31], exec
	v_mbcnt_lo_u32_b32 v6, s30, 0
	v_mbcnt_hi_u32_b32 v6, s31, v6
	v_cmp_eq_u32_e32 vcc, 0, v6
	;;#ASMSTART
	s_waitcnt lgkmcnt(0) vmcnt(0)
	;;#ASMEND
	s_and_saveexec_b64 s[94:95], vcc
	s_cbranch_execz .LBB2_8667
; %bb.8666:                             ;   in Loop: Header=BB2_8510 Depth=3
	s_bcnt1_i32_b64 s47, s[30:31]
	v_mov_b32_e32 v6, s47
	v_mov_b32_e32 v7, v29
	s_waitcnt lgkmcnt(0)
	ds_add_u64 v0, v[6:7]
	s_trap 2
.LBB2_8667:                             ;   in Loop: Header=BB2_8510 Depth=3
	s_or_b64 exec, exec, s[94:95]
	s_trap 2
	ds_read_b64 v[6:7], v0
	s_waitcnt lgkmcnt(0)
	v_add_co_u32_e32 v12, vcc, v12, v14
	v_addc_co_u32_e32 v13, vcc, 0, v13, vcc
	v_cmp_lt_u64_e32 vcc, v[6:7], v[12:13]
	s_and_saveexec_b64 s[94:95], vcc
	s_cbranch_execz .LBB2_8676
; %bb.8668:                             ;   in Loop: Header=BB2_8510 Depth=3
	s_mov_b32 s47, 0
	s_mov_b64 s[30:31], 0
                                        ; implicit-def: $sgpr34_sgpr35
                                        ; implicit-def: $sgpr36_sgpr37
	s_branch .LBB2_8670
.LBB2_8669:                             ;   in Loop: Header=BB2_8670 Depth=4
	s_or_b64 exec, exec, s[48:49]
	s_and_b64 vcc, exec, vcc
	s_or_b64 s[30:31], vcc, s[30:31]
	s_andn2_b64 vcc, s[34:35], exec
	s_and_b64 s[34:35], s[36:37], exec
	s_or_b64 s[34:35], vcc, s[34:35]
	s_andn2_b64 exec, exec, s[30:31]
	s_cbranch_execz .LBB2_8674
.LBB2_8670:                             ;   Parent Loop BB2_47 Depth=1
                                        ;     Parent Loop BB2_8507 Depth=2
                                        ;       Parent Loop BB2_8510 Depth=3
                                        ; =>      This Inner Loop Header: Depth=4
	s_add_i32 s47, s47, 1
	s_cmpk_lg_i32 s47, 0x2710
	s_cselect_b64 s[38:39], -1, 0
	s_and_b64 vcc, exec, s[38:39]
	s_cbranch_vccz .LBB2_8672
; %bb.8671:                             ;   in Loop: Header=BB2_8670 Depth=4
	s_mov_b64 vcc, -1
	s_or_b64 s[36:37], s[36:37], exec
	s_and_saveexec_b64 s[48:49], s[38:39]
	s_cbranch_execz .LBB2_8669
	s_branch .LBB2_8673
.LBB2_8672:                             ;   in Loop: Header=BB2_8670 Depth=4
	s_trap 2
	ds_read_b64 v[6:7], v0
	s_andn2_b64 s[38:39], s[38:39], exec
	s_mov_b32 s47, 0
	s_waitcnt vmcnt(0) lgkmcnt(0)
	flat_load_dword v6, v[6:7] glc
	s_waitcnt vmcnt(0) lgkmcnt(0)
	buffer_wbinvl1_vol
	v_cmp_eq_u32_e32 vcc, 0, v6
	s_and_b64 vcc, vcc, exec
	s_or_b64 s[38:39], s[38:39], vcc
	s_mov_b64 vcc, -1
	s_or_b64 s[36:37], s[36:37], exec
	s_and_saveexec_b64 s[48:49], s[38:39]
	s_cbranch_execz .LBB2_8669
.LBB2_8673:                             ;   in Loop: Header=BB2_8670 Depth=4
	s_sleep 1
	s_trap 2
	ds_read_b64 v[6:7], v0
	s_waitcnt lgkmcnt(0)
	s_andn2_b64 s[36:37], s[36:37], exec
	v_cmp_ge_u64_e32 vcc, v[6:7], v[12:13]
	s_orn2_b64 vcc, vcc, exec
	s_branch .LBB2_8669
.LBB2_8674:                             ;   in Loop: Header=BB2_8510 Depth=3
	s_or_b64 exec, exec, s[30:31]
	s_and_saveexec_b64 vcc, s[34:35]
	s_xor_b64 vcc, exec, vcc
	s_cbranch_execz .LBB2_8676
; %bb.8675:                             ;   in Loop: Header=BB2_8510 Depth=3
	v_mov_b32_e32 v6, 1
	ds_write_b32 v0, v6
	s_trap 2
.LBB2_8676:                             ;   in Loop: Header=BB2_8510 Depth=3
	s_or_b64 exec, exec, s[94:95]
	;;#ASMSTART
	s_wakeup
	;;#ASMEND
.LBB2_8677:                             ;   in Loop: Header=BB2_8510 Depth=3
	s_or_b64 exec, exec, s[40:41]
.LBB2_8678:                             ;   in Loop: Header=BB2_8510 Depth=3
	s_andn2_saveexec_b64 s[28:29], s[28:29]
	s_cbranch_execz .LBB2_8680
; %bb.8679:                             ;   in Loop: Header=BB2_8510 Depth=3
	;;#ASMSTART
	s_waitcnt lgkmcnt(0) vmcnt(0)
	;;#ASMEND
	s_waitcnt vmcnt(0) lgkmcnt(0)
	s_barrier
.LBB2_8680:                             ;   in Loop: Header=BB2_8510 Depth=3
	s_or_b64 exec, exec, s[28:29]
.LBB2_8681:                             ;   in Loop: Header=BB2_8510 Depth=3
	s_or_b64 exec, exec, s[26:27]
	v_cmp_ne_u32_e32 vcc, 0, v5
	s_xor_b64 s[26:27], s[20:21], -1
	s_and_b64 s[28:29], vcc, s[26:27]
	s_and_saveexec_b64 s[26:27], s[28:29]
	s_cbranch_execz .LBB2_8683
; %bb.8682:                             ;   in Loop: Header=BB2_8510 Depth=3
	buffer_load_dword v5, off, s[0:3], s33 offset:96 ; 4-byte Folded Reload
	buffer_load_dword v6, off, s[0:3], s33 offset:100 ; 4-byte Folded Reload
	v_mov_b32_e32 v7, 1
	s_waitcnt vmcnt(0)
	flat_store_dword v[5:6], v7
.LBB2_8683:                             ;   in Loop: Header=BB2_8510 Depth=3
	s_or_b64 exec, exec, s[26:27]
	v_and_b32_e32 v5, 48, v61
	v_cmp_ne_u32_e32 vcc, 0, v5
	s_and_saveexec_b64 s[26:27], vcc
	s_cbranch_execz .LBB2_8509
; %bb.8684:                             ;   in Loop: Header=BB2_8510 Depth=3
	v_add_co_u32_e32 v38, vcc, 2, v38
	v_addc_co_u32_e32 v39, vcc, 0, v39, vcc
	flat_store_dwordx2 v[20:21], v[38:39]
	s_branch .LBB2_8509
.LBB2_8685:                             ;   in Loop: Header=BB2_8507 Depth=2
	s_or_b64 exec, exec, s[42:43]
	v_cmp_gt_i32_e32 vcc, 2, v5
	s_and_saveexec_b64 s[28:29], vcc
	s_cbranch_execz .LBB2_8761
.LBB2_8686:                             ;   in Loop: Header=BB2_8507 Depth=2
	v_cmp_eq_u32_e64 s[42:43], 0, v5
	s_mov_b64 s[40:41], 0
	s_branch .LBB2_8688
.LBB2_8687:                             ;   in Loop: Header=BB2_8688 Depth=3
	s_or_b64 exec, exec, s[26:27]
	v_add_u32_e32 v1, v50, v1
	s_mov_b64 s[42:43], 0
	s_andn2_b64 exec, exec, s[40:41]
	s_cbranch_execz .LBB2_8762
.LBB2_8688:                             ;   Parent Loop BB2_47 Depth=1
                                        ;     Parent Loop BB2_8507 Depth=2
                                        ; =>    This Loop Header: Depth=3
                                        ;         Child Loop BB2_8694 Depth 4
                                        ;         Child Loop BB2_8722 Depth 4
	;; [unrolled: 1-line block ×3, first 2 shown]
	v_sub_u32_e32 v2, v0, v1
	v_min_i32_e32 v50, v50, v2
	v_and_b32_e32 v2, 12, v61
	v_cmp_ne_u32_e32 vcc, 0, v2
	s_and_saveexec_b64 s[90:91], vcc
	s_cbranch_execz .LBB2_8714
; %bb.8689:                             ;   in Loop: Header=BB2_8688 Depth=3
	v_and_b32_e32 v2, 8, v61
	s_waitcnt lgkmcnt(0)
	v_add_co_u32_e32 v5, vcc, v26, v2
	v_addc_co_u32_e32 v6, vcc, 0, v27, vcc
	s_waitcnt vmcnt(0)
	v_add_co_u32_e32 v8, vcc, 2, v38
	v_addc_co_u32_e32 v9, vcc, 0, v39, vcc
	v_cmp_lt_u64_e32 vcc, v[5:6], v[8:9]
	s_and_saveexec_b64 s[92:93], vcc
	s_cbranch_execz .LBB2_8701
; %bb.8690:                             ;   in Loop: Header=BB2_8688 Depth=3
	v_and_b32_e32 v3, 64, v61
	s_mov_b32 s45, 0
	v_cmp_eq_u32_e32 vcc, 0, v3
	s_mov_b64 s[94:95], 0
                                        ; implicit-def: $sgpr30_sgpr31
                                        ; implicit-def: $sgpr34_sgpr35
                                        ; implicit-def: $sgpr36_sgpr37
	s_branch .LBB2_8694
.LBB2_8691:                             ;   in Loop: Header=BB2_8694 Depth=4
	s_waitcnt vmcnt(0) lgkmcnt(0)
	v_add_co_u32_e64 v5, s[26:27], v26, v2
	v_addc_co_u32_e64 v6, s[26:27], 0, v27, s[26:27]
	v_cmp_ge_u64_e64 s[26:27], v[5:6], v[8:9]
	s_or_b64 s[50:51], s[50:51], exec
	s_orn2_b64 s[48:49], s[26:27], exec
.LBB2_8692:                             ;   in Loop: Header=BB2_8694 Depth=4
	s_or_b64 exec, exec, s[54:55]
	s_andn2_b64 s[26:27], s[36:37], exec
	s_and_b64 s[36:37], s[50:51], exec
	s_or_b64 s[36:37], s[26:27], s[36:37]
	s_andn2_b64 s[26:27], s[34:35], exec
	s_and_b64 s[34:35], s[48:49], exec
	s_or_b64 s[34:35], s[26:27], s[34:35]
.LBB2_8693:                             ;   in Loop: Header=BB2_8694 Depth=4
	s_or_b64 exec, exec, s[38:39]
	s_and_b64 s[26:27], exec, s[34:35]
	s_or_b64 s[94:95], s[26:27], s[94:95]
	s_andn2_b64 s[26:27], s[30:31], exec
	s_and_b64 s[30:31], s[36:37], exec
	s_or_b64 s[30:31], s[26:27], s[30:31]
	s_andn2_b64 exec, exec, s[94:95]
	s_cbranch_execz .LBB2_8698
.LBB2_8694:                             ;   Parent Loop BB2_47 Depth=1
                                        ;     Parent Loop BB2_8507 Depth=2
                                        ;       Parent Loop BB2_8688 Depth=3
                                        ; =>      This Inner Loop Header: Depth=4
	s_sleep 1
	s_waitcnt vmcnt(0) lgkmcnt(0)
	flat_load_dwordx2 v[26:27], v[20:21] glc
	s_or_b64 s[36:37], s[36:37], exec
	s_or_b64 s[34:35], s[34:35], exec
                                        ; implicit-def: $vgpr3
	s_and_saveexec_b64 s[38:39], vcc
	s_cbranch_execz .LBB2_8693
; %bb.8695:                             ;   in Loop: Header=BB2_8694 Depth=4
	s_cmpk_lt_i32 s45, 0x270f
	s_cselect_b64 s[52:53], -1, 0
	s_cmpk_gt_i32 s45, 0x270e
	s_mov_b64 s[48:49], -1
	s_cbranch_scc0 .LBB2_8697
; %bb.8696:                             ;   in Loop: Header=BB2_8694 Depth=4
	s_trap 2
	ds_read_b64 v[5:6], v0
	s_andn2_b64 s[52:53], s[52:53], exec
	s_mov_b32 s45, 0
	s_mov_b64 s[50:51], 0
	s_waitcnt vmcnt(0) lgkmcnt(0)
	flat_load_dword v3, v[5:6] glc
	s_waitcnt vmcnt(0) lgkmcnt(0)
	buffer_wbinvl1_vol
	v_cmp_eq_u32_e64 s[26:27], 0, v3
	s_and_b64 s[26:27], s[26:27], exec
	s_or_b64 s[52:53], s[52:53], s[26:27]
	s_and_saveexec_b64 s[54:55], s[52:53]
	s_cbranch_execz .LBB2_8692
	s_branch .LBB2_8691
.LBB2_8697:                             ;   in Loop: Header=BB2_8694 Depth=4
	s_add_i32 s45, s45, 1
	s_mov_b64 s[50:51], -1
                                        ; implicit-def: $vgpr3
	s_and_saveexec_b64 s[54:55], s[52:53]
	s_cbranch_execz .LBB2_8692
	s_branch .LBB2_8691
.LBB2_8698:                             ;   in Loop: Header=BB2_8688 Depth=3
	s_or_b64 exec, exec, s[94:95]
	s_xor_b64 s[26:27], s[30:31], -1
	s_and_saveexec_b64 s[94:95], s[26:27]
	s_xor_b64 s[26:27], exec, s[94:95]
	s_cbranch_execz .LBB2_8700
; %bb.8699:                             ;   in Loop: Header=BB2_8688 Depth=3
	v_or_b32_e32 v61, 64, v61
	s_waitcnt lgkmcnt(0)
	ds_write_b32 v0, v3
	s_trap 2
.LBB2_8700:                             ;   in Loop: Header=BB2_8688 Depth=3
	s_or_b64 exec, exec, s[26:27]
.LBB2_8701:                             ;   in Loop: Header=BB2_8688 Depth=3
	s_or_b64 exec, exec, s[92:93]
	v_and_b32_e32 v3, 0x108, v61
	v_cmp_ne_u32_e32 vcc, s46, v3
	;;#ASMSTART
	s_wakeup
	;;#ASMEND
                                        ; implicit-def: $vgpr10_vgpr11
	s_and_saveexec_b64 s[26:27], vcc
	s_xor_b64 s[26:27], exec, s[26:27]
; %bb.8702:                             ;   in Loop: Header=BB2_8688 Depth=3
	v_and_b32_e32 v10, 7, v38
	v_mov_b32_e32 v11, v29
                                        ; implicit-def: $vgpr38_vgpr39
; %bb.8703:                             ;   in Loop: Header=BB2_8688 Depth=3
	s_andn2_saveexec_b64 s[26:27], s[26:27]
	s_cbranch_execz .LBB2_8705
; %bb.8704:                             ;   in Loop: Header=BB2_8688 Depth=3
	buffer_load_dword v22, off, s[0:3], s33 offset:80 ; 4-byte Folded Reload
	buffer_load_dword v23, off, s[0:3], s33 offset:84 ; 4-byte Folded Reload
	;; [unrolled: 1-line block ×4, first 2 shown]
	v_and_b32_e32 v10, 7, v38
	v_mov_b32_e32 v11, v29
	v_ashrrev_i32_e32 v51, 31, v50
	s_waitcnt vmcnt(0)
	v_mad_u64_u32 v[5:6], s[92:93], v10, 24, v[22:23]
	flat_store_dwordx2 v[5:6], v[50:51] offset:8
.LBB2_8705:                             ;   in Loop: Header=BB2_8688 Depth=3
	s_or_b64 exec, exec, s[26:27]
	v_and_b32_e32 v3, 0x100, v61
	v_cmp_ne_u32_e32 vcc, 0, v3
	s_mov_b64 s[26:27], -1
                                        ; implicit-def: $vgpr38_vgpr39
	s_and_saveexec_b64 s[92:93], vcc
	s_cbranch_execz .LBB2_8709
; %bb.8706:                             ;   in Loop: Header=BB2_8688 Depth=3
	buffer_load_dword v22, off, s[0:3], s33 offset:80 ; 4-byte Folded Reload
	buffer_load_dword v23, off, s[0:3], s33 offset:84 ; 4-byte Folded Reload
	;; [unrolled: 1-line block ×4, first 2 shown]
                                        ; implicit-def: $vgpr38_vgpr39
	s_waitcnt vmcnt(0)
	v_mad_u64_u32 v[51:52], s[26:27], v10, 24, v[22:23]
	v_mov_b32_e32 v3, v52
	v_mad_u64_u32 v[5:6], s[26:27], v11, 24, v[3:4]
	v_mov_b32_e32 v52, v5
	flat_load_dword v3, v[51:52]
	s_waitcnt vmcnt(0) lgkmcnt(0)
	v_cmp_ne_u32_e32 vcc, 1, v3
	v_cmp_eq_u32_e64 s[26:27], 1, v3
	s_and_saveexec_b64 s[94:95], s[26:27]
	s_cbranch_execz .LBB2_8708
; %bb.8707:                             ;   in Loop: Header=BB2_8688 Depth=3
	flat_load_dword v38, v[51:52] offset:4 glc
	s_waitcnt vmcnt(0) lgkmcnt(0)
	v_ashrrev_i32_e32 v39, 31, v38
.LBB2_8708:                             ;   in Loop: Header=BB2_8688 Depth=3
	s_or_b64 exec, exec, s[94:95]
	s_orn2_b64 s[26:27], vcc, exec
.LBB2_8709:                             ;   in Loop: Header=BB2_8688 Depth=3
	s_or_b64 exec, exec, s[92:93]
	s_and_saveexec_b64 s[92:93], s[26:27]
	s_cbranch_execz .LBB2_8711
; %bb.8710:                             ;   in Loop: Header=BB2_8688 Depth=3
	buffer_load_dword v6, off, s[0:3], s33 offset:104 ; 4-byte Folded Reload
	buffer_load_dword v5, off, s[0:3], s33 offset:124 ; 4-byte Folded Reload
	s_waitcnt vmcnt(0)
	v_mul_lo_u32 v3, v11, v6
	v_mul_lo_u32 v5, v10, v5
	v_mad_u64_u32 v[38:39], s[26:27], v10, v6, 0
	v_add3_u32 v39, v39, v5, v3
.LBB2_8711:                             ;   in Loop: Header=BB2_8688 Depth=3
	s_or_b64 exec, exec, s[92:93]
	v_cmp_eq_u32_e32 vcc, 0, v2
	v_mov_b32_e32 v2, 0xd0
	v_mov_b32_e32 v3, 0x88
	v_cndmask_b32_e32 v5, v2, v3, vcc
	buffer_load_dword v2, off, s[0:3], s33 offset:72 ; 4-byte Folded Reload
	buffer_load_dword v3, off, s[0:3], s33 offset:76 ; 4-byte Folded Reload
	v_add_u32_e32 v5, v0, v5
	s_waitcnt vmcnt(0)
	v_add_co_u32_e32 v2, vcc, v2, v38
	v_addc_co_u32_e32 v3, vcc, v3, v39, vcc
	ds_write_b64 v5, v[2:3] offset:584
	v_and_b32_e32 v2, 0x2000, v61
	v_cmp_ne_u32_e32 vcc, 0, v2
	s_and_saveexec_b64 s[26:27], vcc
	s_cbranch_execz .LBB2_8713
; %bb.8712:                             ;   in Loop: Header=BB2_8688 Depth=3
	ds_read_b64 v[2:3], v0 offset:872
	s_waitcnt lgkmcnt(0)
	v_add_co_u32_e32 v2, vcc, 1, v2
	v_addc_co_u32_e32 v3, vcc, 0, v3, vcc
	ds_write_b64 v0, v[2:3] offset:872
.LBB2_8713:                             ;   in Loop: Header=BB2_8688 Depth=3
	s_or_b64 exec, exec, s[26:27]
	v_mov_b32_e32 v39, v9
	v_mov_b32_e32 v38, v8
.LBB2_8714:                             ;   in Loop: Header=BB2_8688 Depth=3
	s_or_b64 exec, exec, s[90:91]
	s_xor_b64 s[26:27], s[42:43], -1
	s_and_b64 s[26:27], exec, s[26:27]
	s_or_b64 s[40:41], s[26:27], s[40:41]
	s_and_saveexec_b64 s[26:27], s[12:13]
	s_cbranch_execz .LBB2_8733
; %bb.8715:                             ;   in Loop: Header=BB2_8688 Depth=3
	s_and_saveexec_b64 s[42:43], s[58:59]
	s_xor_b64 s[42:43], exec, s[42:43]
	s_cbranch_execz .LBB2_8730
; %bb.8716:                             ;   in Loop: Header=BB2_8688 Depth=3
	s_and_saveexec_b64 s[90:91], s[6:7]
	s_cbranch_execz .LBB2_8729
; %bb.8717:                             ;   in Loop: Header=BB2_8688 Depth=3
	s_mov_b64 s[94:95], exec
	v_mbcnt_lo_u32_b32 v2, s94, 0
	v_mbcnt_hi_u32_b32 v2, s95, v2
	v_cmp_eq_u32_e32 vcc, 0, v2
	s_waitcnt vmcnt(0) lgkmcnt(0)
	buffer_wbinvl1_vol
	s_and_saveexec_b64 s[92:93], vcc
	s_cbranch_execz .LBB2_8719
; %bb.8718:                             ;   in Loop: Header=BB2_8688 Depth=3
	s_bcnt1_i32_b64 s45, s[94:95]
	v_mov_b32_e32 v2, s45
	v_mov_b32_e32 v3, v29
	ds_add_u64 v0, v[2:3]
	s_trap 2
.LBB2_8719:                             ;   in Loop: Header=BB2_8688 Depth=3
	s_or_b64 exec, exec, s[92:93]
	s_trap 2
	ds_read_b64 v[2:3], v0
	s_waitcnt lgkmcnt(0)
	v_add_co_u32_e32 v12, vcc, v12, v14
	v_addc_co_u32_e32 v13, vcc, 0, v13, vcc
	v_cmp_lt_u64_e32 vcc, v[2:3], v[12:13]
	s_and_saveexec_b64 s[92:93], vcc
	s_cbranch_execz .LBB2_8728
; %bb.8720:                             ;   in Loop: Header=BB2_8688 Depth=3
	s_mov_b32 s45, 0
	s_mov_b64 s[94:95], 0
                                        ; implicit-def: $sgpr30_sgpr31
                                        ; implicit-def: $sgpr34_sgpr35
	s_branch .LBB2_8722
.LBB2_8721:                             ;   in Loop: Header=BB2_8722 Depth=4
	s_or_b64 exec, exec, s[38:39]
	s_and_b64 vcc, exec, vcc
	s_or_b64 s[94:95], vcc, s[94:95]
	s_andn2_b64 vcc, s[30:31], exec
	s_and_b64 s[30:31], s[34:35], exec
	s_or_b64 s[30:31], vcc, s[30:31]
	s_andn2_b64 exec, exec, s[94:95]
	s_cbranch_execz .LBB2_8726
.LBB2_8722:                             ;   Parent Loop BB2_47 Depth=1
                                        ;     Parent Loop BB2_8507 Depth=2
                                        ;       Parent Loop BB2_8688 Depth=3
                                        ; =>      This Inner Loop Header: Depth=4
	s_add_i32 s45, s45, 1
	s_cmpk_lg_i32 s45, 0x2710
	s_cselect_b64 s[36:37], -1, 0
	s_and_b64 vcc, exec, s[36:37]
	s_cbranch_vccz .LBB2_8724
; %bb.8723:                             ;   in Loop: Header=BB2_8722 Depth=4
	s_mov_b64 vcc, -1
	s_or_b64 s[34:35], s[34:35], exec
	s_and_saveexec_b64 s[38:39], s[36:37]
	s_cbranch_execz .LBB2_8721
	s_branch .LBB2_8725
.LBB2_8724:                             ;   in Loop: Header=BB2_8722 Depth=4
	s_trap 2
	ds_read_b64 v[2:3], v0
	s_andn2_b64 s[36:37], s[36:37], exec
	s_mov_b32 s45, 0
	s_waitcnt lgkmcnt(0)
	flat_load_dword v2, v[2:3] glc
	s_waitcnt vmcnt(0) lgkmcnt(0)
	buffer_wbinvl1_vol
	v_cmp_eq_u32_e32 vcc, 0, v2
	s_and_b64 vcc, vcc, exec
	s_or_b64 s[36:37], s[36:37], vcc
	s_mov_b64 vcc, -1
	s_or_b64 s[34:35], s[34:35], exec
	s_and_saveexec_b64 s[38:39], s[36:37]
	s_cbranch_execz .LBB2_8721
.LBB2_8725:                             ;   in Loop: Header=BB2_8722 Depth=4
	s_sleep 1
	s_trap 2
	ds_read_b64 v[2:3], v0
	s_waitcnt lgkmcnt(0)
	s_andn2_b64 s[34:35], s[34:35], exec
	v_cmp_ge_u64_e32 vcc, v[2:3], v[12:13]
	s_orn2_b64 vcc, vcc, exec
	s_branch .LBB2_8721
.LBB2_8726:                             ;   in Loop: Header=BB2_8688 Depth=3
	s_or_b64 exec, exec, s[94:95]
	s_and_saveexec_b64 s[94:95], s[30:31]
	s_xor_b64 s[94:95], exec, s[94:95]
	s_cbranch_execz .LBB2_8728
; %bb.8727:                             ;   in Loop: Header=BB2_8688 Depth=3
	v_mov_b32_e32 v2, 1
	ds_write_b32 v0, v2
	s_trap 2
.LBB2_8728:                             ;   in Loop: Header=BB2_8688 Depth=3
	s_or_b64 exec, exec, s[92:93]
	;;#ASMSTART
	s_wakeup
	;;#ASMEND
.LBB2_8729:                             ;   in Loop: Header=BB2_8688 Depth=3
	s_or_b64 exec, exec, s[90:91]
.LBB2_8730:                             ;   in Loop: Header=BB2_8688 Depth=3
	s_andn2_saveexec_b64 s[42:43], s[42:43]
	s_cbranch_execz .LBB2_8732
; %bb.8731:                             ;   in Loop: Header=BB2_8688 Depth=3
	s_waitcnt vmcnt(0) lgkmcnt(0)
	buffer_wbinvl1_vol
	s_barrier
.LBB2_8732:                             ;   in Loop: Header=BB2_8688 Depth=3
	s_or_b64 exec, exec, s[42:43]
.LBB2_8733:                             ;   in Loop: Header=BB2_8688 Depth=3
	s_or_b64 exec, exec, s[26:27]
	v_and_b32_e32 v2, 16, v61
	s_and_saveexec_b64 s[26:27], s[18:19]
	s_xor_b64 s[26:27], exec, s[26:27]
	s_cbranch_execz .LBB2_8737
; %bb.8734:                             ;   in Loop: Header=BB2_8688 Depth=3
	s_trap 2
	ds_read_b32 v2, v0
	v_cmp_lt_i32_e32 vcc, 0, v50
	v_and_b32_e32 v3, 16, v61
	s_waitcnt lgkmcnt(0)
	v_readfirstlane_b32 s42, v2
	s_cmp_eq_u32 s42, 0
	s_cselect_b64 s[42:43], -1, 0
	s_and_b64 s[42:43], vcc, s[42:43]
	v_cmp_ne_u32_e32 vcc, 0, v3
	v_and_b32_e32 v2, 16, v61
	s_and_b64 s[90:91], vcc, s[42:43]
	s_and_saveexec_b64 s[42:43], s[90:91]
	s_cbranch_execz .LBB2_8736
; %bb.8735:                             ;   in Loop: Header=BB2_8688 Depth=3
	v_mov_b32_e32 v2, 1
	s_waitcnt vmcnt(0)
	buffer_wbinvl1_vol
.LBB2_8736:                             ;   in Loop: Header=BB2_8688 Depth=3
	s_or_b64 exec, exec, s[42:43]
.LBB2_8737:                             ;   in Loop: Header=BB2_8688 Depth=3
	s_andn2_saveexec_b64 s[26:27], s[26:27]
	s_cbranch_execz .LBB2_8756
; %bb.8738:                             ;   in Loop: Header=BB2_8688 Depth=3
	s_and_saveexec_b64 s[42:43], s[58:59]
	s_xor_b64 s[42:43], exec, s[42:43]
	s_cbranch_execz .LBB2_8753
; %bb.8739:                             ;   in Loop: Header=BB2_8688 Depth=3
	s_and_saveexec_b64 s[90:91], s[6:7]
	s_cbranch_execz .LBB2_8752
; %bb.8740:                             ;   in Loop: Header=BB2_8688 Depth=3
	s_mov_b64 s[94:95], exec
	v_mbcnt_lo_u32_b32 v3, s94, 0
	v_mbcnt_hi_u32_b32 v3, s95, v3
	v_cmp_eq_u32_e32 vcc, 0, v3
	;;#ASMSTART
	s_waitcnt lgkmcnt(0) vmcnt(0)
	;;#ASMEND
	s_and_saveexec_b64 s[92:93], vcc
	s_cbranch_execz .LBB2_8742
; %bb.8741:                             ;   in Loop: Header=BB2_8688 Depth=3
	s_bcnt1_i32_b64 s45, s[94:95]
	v_mov_b32_e32 v5, s45
	v_mov_b32_e32 v6, v29
	s_waitcnt lgkmcnt(0)
	ds_add_u64 v0, v[5:6]
	s_trap 2
.LBB2_8742:                             ;   in Loop: Header=BB2_8688 Depth=3
	s_or_b64 exec, exec, s[92:93]
	s_trap 2
	ds_read_b64 v[5:6], v0
	s_waitcnt lgkmcnt(0)
	v_add_co_u32_e32 v12, vcc, v12, v14
	v_addc_co_u32_e32 v13, vcc, 0, v13, vcc
	v_cmp_lt_u64_e32 vcc, v[5:6], v[12:13]
	s_and_saveexec_b64 s[92:93], vcc
	s_cbranch_execz .LBB2_8751
; %bb.8743:                             ;   in Loop: Header=BB2_8688 Depth=3
	s_mov_b32 s45, 0
	s_mov_b64 s[94:95], 0
                                        ; implicit-def: $sgpr30_sgpr31
                                        ; implicit-def: $sgpr34_sgpr35
	s_branch .LBB2_8745
.LBB2_8744:                             ;   in Loop: Header=BB2_8745 Depth=4
	s_or_b64 exec, exec, s[38:39]
	s_and_b64 vcc, exec, vcc
	s_or_b64 s[94:95], vcc, s[94:95]
	s_andn2_b64 vcc, s[30:31], exec
	s_and_b64 s[30:31], s[34:35], exec
	s_or_b64 s[30:31], vcc, s[30:31]
	s_andn2_b64 exec, exec, s[94:95]
	s_cbranch_execz .LBB2_8749
.LBB2_8745:                             ;   Parent Loop BB2_47 Depth=1
                                        ;     Parent Loop BB2_8507 Depth=2
                                        ;       Parent Loop BB2_8688 Depth=3
                                        ; =>      This Inner Loop Header: Depth=4
	s_add_i32 s45, s45, 1
	s_cmpk_lg_i32 s45, 0x2710
	s_cselect_b64 s[36:37], -1, 0
	s_and_b64 vcc, exec, s[36:37]
	s_cbranch_vccz .LBB2_8747
; %bb.8746:                             ;   in Loop: Header=BB2_8745 Depth=4
	s_mov_b64 vcc, -1
	s_or_b64 s[34:35], s[34:35], exec
	s_and_saveexec_b64 s[38:39], s[36:37]
	s_cbranch_execz .LBB2_8744
	s_branch .LBB2_8748
.LBB2_8747:                             ;   in Loop: Header=BB2_8745 Depth=4
	s_trap 2
	ds_read_b64 v[5:6], v0
	s_andn2_b64 s[36:37], s[36:37], exec
	s_mov_b32 s45, 0
	s_waitcnt vmcnt(0) lgkmcnt(0)
	flat_load_dword v3, v[5:6] glc
	s_waitcnt vmcnt(0) lgkmcnt(0)
	buffer_wbinvl1_vol
	v_cmp_eq_u32_e32 vcc, 0, v3
	s_and_b64 vcc, vcc, exec
	s_or_b64 s[36:37], s[36:37], vcc
	s_mov_b64 vcc, -1
	s_or_b64 s[34:35], s[34:35], exec
	s_and_saveexec_b64 s[38:39], s[36:37]
	s_cbranch_execz .LBB2_8744
.LBB2_8748:                             ;   in Loop: Header=BB2_8745 Depth=4
	s_sleep 1
	s_trap 2
	ds_read_b64 v[5:6], v0
	s_waitcnt lgkmcnt(0)
	s_andn2_b64 s[34:35], s[34:35], exec
	v_cmp_ge_u64_e32 vcc, v[5:6], v[12:13]
	s_orn2_b64 vcc, vcc, exec
	s_branch .LBB2_8744
.LBB2_8749:                             ;   in Loop: Header=BB2_8688 Depth=3
	s_or_b64 exec, exec, s[94:95]
	s_and_saveexec_b64 s[94:95], s[30:31]
	s_xor_b64 s[94:95], exec, s[94:95]
	s_cbranch_execz .LBB2_8751
; %bb.8750:                             ;   in Loop: Header=BB2_8688 Depth=3
	v_mov_b32_e32 v3, 1
	ds_write_b32 v0, v3
	s_trap 2
.LBB2_8751:                             ;   in Loop: Header=BB2_8688 Depth=3
	s_or_b64 exec, exec, s[92:93]
	;;#ASMSTART
	s_wakeup
	;;#ASMEND
.LBB2_8752:                             ;   in Loop: Header=BB2_8688 Depth=3
	s_or_b64 exec, exec, s[90:91]
.LBB2_8753:                             ;   in Loop: Header=BB2_8688 Depth=3
	s_andn2_saveexec_b64 s[42:43], s[42:43]
	s_cbranch_execz .LBB2_8755
; %bb.8754:                             ;   in Loop: Header=BB2_8688 Depth=3
	;;#ASMSTART
	s_waitcnt lgkmcnt(0) vmcnt(0)
	;;#ASMEND
	s_waitcnt vmcnt(0) lgkmcnt(0)
	s_barrier
.LBB2_8755:                             ;   in Loop: Header=BB2_8688 Depth=3
	s_or_b64 exec, exec, s[42:43]
.LBB2_8756:                             ;   in Loop: Header=BB2_8688 Depth=3
	s_or_b64 exec, exec, s[26:27]
	v_cmp_ne_u32_e32 vcc, 0, v2
	s_xor_b64 s[26:27], s[20:21], -1
	s_and_b64 s[42:43], vcc, s[26:27]
	s_and_saveexec_b64 s[26:27], s[42:43]
	s_cbranch_execz .LBB2_8758
; %bb.8757:                             ;   in Loop: Header=BB2_8688 Depth=3
	buffer_load_dword v2, off, s[0:3], s33 offset:96 ; 4-byte Folded Reload
	buffer_load_dword v3, off, s[0:3], s33 offset:100 ; 4-byte Folded Reload
	v_mov_b32_e32 v5, 1
	s_waitcnt vmcnt(0)
	flat_store_dword v[2:3], v5
.LBB2_8758:                             ;   in Loop: Header=BB2_8688 Depth=3
	s_or_b64 exec, exec, s[26:27]
	v_and_b32_e32 v2, 48, v61
	v_cmp_ne_u32_e32 vcc, 0, v2
	s_and_saveexec_b64 s[26:27], vcc
	s_cbranch_execz .LBB2_8687
; %bb.8759:                             ;   in Loop: Header=BB2_8688 Depth=3
	v_add_co_u32_e32 v38, vcc, 2, v38
	v_addc_co_u32_e32 v39, vcc, 0, v39, vcc
	flat_store_dwordx2 v[20:21], v[38:39]
	s_branch .LBB2_8687
.LBB2_8760:                             ;   in Loop: Header=BB2_8507 Depth=2
	s_or_b64 exec, exec, s[90:91]
	s_or_b64 exec, exec, s[42:43]
	v_cmp_gt_i32_e32 vcc, 2, v5
	s_and_saveexec_b64 s[28:29], vcc
	s_cbranch_execnz .LBB2_8686
.LBB2_8761:                             ;   in Loop: Header=BB2_8507 Depth=2
	s_or_b64 exec, exec, s[28:29]
	s_add_i32 s26, s44, 1
	s_cmp_eq_u32 s44, s84
	s_cbranch_scc0 .LBB2_8763
	s_branch .LBB2_8764
.LBB2_8762:                             ;   in Loop: Header=BB2_8507 Depth=2
	s_or_b64 exec, exec, s[40:41]
	s_or_b64 exec, exec, s[28:29]
	s_add_i32 s26, s44, 1
	s_cmp_eq_u32 s44, s84
	s_cbranch_scc1 .LBB2_8764
.LBB2_8763:                             ;   in Loop: Header=BB2_8507 Depth=2
	s_mov_b32 s44, s26
	s_branch .LBB2_8507
.LBB2_8764:                             ;   in Loop: Header=BB2_47 Depth=1
	buffer_load_dword v2, off, s[0:3], s33 offset:188 ; 4-byte Folded Reload
	buffer_load_dword v3, off, s[0:3], s33 offset:192 ; 4-byte Folded Reload
	v_mov_b32_e32 v6, 0
	s_waitcnt vmcnt(0)
	v_mul_lo_u32 v1, v2, s83
	v_mul_lo_u32 v0, v3, s82
	v_mad_u64_u32 v[8:9], s[26:27], v2, s82, 0
	v_add3_u32 v9, v9, v1, v0
	buffer_load_dword v0, off, s[0:3], s33 offset:180 ; 4-byte Folded Reload
	buffer_load_dword v1, off, s[0:3], s33 offset:184 ; 4-byte Folded Reload
	s_waitcnt vmcnt(0)
	v_sub_co_u32_e32 v0, vcc, v0, v8
	v_subb_co_u32_e32 v1, vcc, v1, v9, vcc
	v_cmp_lt_i64_e32 vcc, v[2:3], v[0:1]
	v_cndmask_b32_e32 v2, v0, v2, vcc
	v_max_i32_e32 v0, 0, v2
	v_add_u32_e32 v1, 31, v0
	v_lshrrev_b32_e32 v1, 1, v1
	v_and_b32_e32 v1, 0x3ffffff0, v1
	v_cmp_lt_i32_e32 vcc, 0, v2
	v_max_i32_e32 v1, s81, v1
	s_and_b64 s[26:27], s[74:75], vcc
	v_mov_b32_e32 v2, 0
	s_and_saveexec_b64 s[28:29], s[26:27]
	s_cbranch_execz .LBB2_8902
; %bb.8765:                             ;   in Loop: Header=BB2_47 Depth=1
	buffer_load_dword v2, off, s[0:3], s33 offset:132 ; 4-byte Folded Reload
	s_mov_b32 s44, 1
	s_mov_b64 s[42:43], -1
	s_mov_b64 s[40:41], 0
	s_waitcnt vmcnt(0)
	v_add_co_u32_e32 v3, vcc, v8, v2
	buffer_load_dword v2, off, s[0:3], s33 offset:136 ; 4-byte Folded Reload
	s_waitcnt vmcnt(0)
	v_addc_co_u32_e32 v5, vcc, v9, v2, vcc
	v_mov_b32_e32 v2, 0
	s_branch .LBB2_8767
.LBB2_8766:                             ;   in Loop: Header=BB2_8767 Depth=2
	s_or_b64 exec, exec, s[26:27]
	v_add_u32_e32 v2, v1, v2
	v_cmp_ge_i32_e32 vcc, v2, v0
	s_xor_b64 s[26:27], s[42:43], -1
	s_or_b64 s[26:27], s[26:27], vcc
	s_and_b64 s[26:27], exec, s[26:27]
	s_or_b64 s[40:41], s[26:27], s[40:41]
	s_mov_b64 s[42:43], 0
	v_mov_b32_e32 v6, s44
	s_mov_b32 s44, 2
	s_andn2_b64 exec, exec, s[40:41]
	s_cbranch_execz .LBB2_8901
.LBB2_8767:                             ;   Parent Loop BB2_47 Depth=1
                                        ; =>  This Loop Header: Depth=2
                                        ;       Child Loop BB2_8775 Depth 3
                                        ;       Child Loop BB2_8799 Depth 3
	;; [unrolled: 1-line block ×9, first 2 shown]
	s_and_saveexec_b64 s[26:27], s[4:5]
	s_cbranch_execz .LBB2_8769
; %bb.8768:                             ;   in Loop: Header=BB2_8767 Depth=2
	s_trap 2
	ds_read_b128 v[6:9], v0
	v_ashrrev_i32_e32 v10, 31, v2
	s_waitcnt lgkmcnt(0)
	v_add_co_u32_e32 v6, vcc, v6, v3
	v_addc_co_u32_e32 v7, vcc, v7, v5, vcc
	v_add_co_u32_e32 v6, vcc, v6, v2
	v_addc_co_u32_e32 v7, vcc, v7, v10, vcc
	ds_write_b64 v0, v[6:7]
	v_add_co_u32_e32 v6, vcc, v8, v3
	v_addc_co_u32_e32 v7, vcc, v9, v5, vcc
	v_add_co_u32_e32 v6, vcc, v6, v2
	v_addc_co_u32_e32 v7, vcc, v7, v10, vcc
	v_cmp_ne_u64_e32 vcc, 0, v[8:9]
	v_cndmask_b32_e32 v7, 0, v7, vcc
	v_cndmask_b32_e32 v6, 0, v6, vcc
	ds_write_b64 v0, v[6:7]
.LBB2_8769:                             ;   in Loop: Header=BB2_8767 Depth=2
	s_or_b64 exec, exec, s[26:27]
	v_and_b32_e32 v6, 4, v61
	v_cmp_ne_u32_e32 vcc, 0, v6
	s_and_saveexec_b64 s[90:91], vcc
	s_cbranch_execz .LBB2_8791
; %bb.8770:                             ;   in Loop: Header=BB2_8767 Depth=2
	v_add_co_u32_e32 v8, vcc, 2, v38
	v_addc_co_u32_e32 v9, vcc, 0, v39, vcc
	s_waitcnt lgkmcnt(0)
	v_cmp_lt_u64_e32 vcc, v[26:27], v[8:9]
	s_and_saveexec_b64 s[92:93], vcc
	s_cbranch_execz .LBB2_8782
; %bb.8771:                             ;   in Loop: Header=BB2_8767 Depth=2
	v_and_b32_e32 v6, 64, v61
	s_mov_b32 s45, 0
	v_cmp_eq_u32_e32 vcc, 0, v6
	s_mov_b64 s[94:95], 0
                                        ; implicit-def: $sgpr30_sgpr31
                                        ; implicit-def: $sgpr34_sgpr35
                                        ; implicit-def: $sgpr36_sgpr37
	s_branch .LBB2_8775
.LBB2_8772:                             ;   in Loop: Header=BB2_8775 Depth=3
	s_waitcnt vmcnt(0) lgkmcnt(0)
	v_cmp_ge_u64_e64 s[26:27], v[26:27], v[8:9]
	s_or_b64 s[50:51], s[50:51], exec
	s_orn2_b64 s[48:49], s[26:27], exec
.LBB2_8773:                             ;   in Loop: Header=BB2_8775 Depth=3
	s_or_b64 exec, exec, s[54:55]
	s_andn2_b64 s[26:27], s[36:37], exec
	s_and_b64 s[36:37], s[50:51], exec
	s_or_b64 s[36:37], s[26:27], s[36:37]
	s_andn2_b64 s[26:27], s[34:35], exec
	s_and_b64 s[34:35], s[48:49], exec
	s_or_b64 s[34:35], s[26:27], s[34:35]
.LBB2_8774:                             ;   in Loop: Header=BB2_8775 Depth=3
	s_or_b64 exec, exec, s[38:39]
	s_and_b64 s[26:27], exec, s[34:35]
	s_or_b64 s[94:95], s[26:27], s[94:95]
	s_andn2_b64 s[26:27], s[30:31], exec
	s_and_b64 s[30:31], s[36:37], exec
	s_or_b64 s[30:31], s[26:27], s[30:31]
	s_andn2_b64 exec, exec, s[94:95]
	s_cbranch_execz .LBB2_8779
.LBB2_8775:                             ;   Parent Loop BB2_47 Depth=1
                                        ;     Parent Loop BB2_8767 Depth=2
                                        ; =>    This Inner Loop Header: Depth=3
	s_sleep 1
	s_waitcnt vmcnt(0) lgkmcnt(0)
	flat_load_dwordx2 v[26:27], v[20:21] glc
	s_or_b64 s[36:37], s[36:37], exec
	s_or_b64 s[34:35], s[34:35], exec
                                        ; implicit-def: $vgpr6
	s_and_saveexec_b64 s[38:39], vcc
	s_cbranch_execz .LBB2_8774
; %bb.8776:                             ;   in Loop: Header=BB2_8775 Depth=3
	s_cmpk_lt_i32 s45, 0x270f
	s_cselect_b64 s[52:53], -1, 0
	s_cmpk_gt_i32 s45, 0x270e
	s_mov_b64 s[48:49], -1
	s_cbranch_scc0 .LBB2_8778
; %bb.8777:                             ;   in Loop: Header=BB2_8775 Depth=3
	s_trap 2
	ds_read_b64 v[6:7], v0
	s_andn2_b64 s[52:53], s[52:53], exec
	s_mov_b32 s45, 0
	s_mov_b64 s[50:51], 0
	s_waitcnt vmcnt(0) lgkmcnt(0)
	flat_load_dword v6, v[6:7] glc
	s_waitcnt vmcnt(0) lgkmcnt(0)
	buffer_wbinvl1_vol
	v_cmp_eq_u32_e64 s[26:27], 0, v6
	s_and_b64 s[26:27], s[26:27], exec
	s_or_b64 s[52:53], s[52:53], s[26:27]
	s_and_saveexec_b64 s[54:55], s[52:53]
	s_cbranch_execz .LBB2_8773
	s_branch .LBB2_8772
.LBB2_8778:                             ;   in Loop: Header=BB2_8775 Depth=3
	s_add_i32 s45, s45, 1
	s_mov_b64 s[50:51], -1
                                        ; implicit-def: $vgpr6
	s_and_saveexec_b64 s[54:55], s[52:53]
	s_cbranch_execz .LBB2_8773
	s_branch .LBB2_8772
.LBB2_8779:                             ;   in Loop: Header=BB2_8767 Depth=2
	s_or_b64 exec, exec, s[94:95]
	s_xor_b64 s[26:27], s[30:31], -1
	s_and_saveexec_b64 s[94:95], s[26:27]
	s_xor_b64 s[26:27], exec, s[94:95]
	s_cbranch_execz .LBB2_8781
; %bb.8780:                             ;   in Loop: Header=BB2_8767 Depth=2
	v_or_b32_e32 v61, 64, v61
	s_waitcnt lgkmcnt(0)
	ds_write_b32 v0, v6
	s_trap 2
.LBB2_8781:                             ;   in Loop: Header=BB2_8767 Depth=2
	s_or_b64 exec, exec, s[26:27]
.LBB2_8782:                             ;   in Loop: Header=BB2_8767 Depth=2
	s_or_b64 exec, exec, s[92:93]
	v_and_b32_e32 v6, 0x100, v61
	v_cmp_ne_u32_e32 vcc, 0, v6
	v_and_b32_e32 v6, 7, v38
	s_mov_b64 s[26:27], -1
	;;#ASMSTART
	s_wakeup
	;;#ASMEND
                                        ; implicit-def: $vgpr10_vgpr11
	s_and_saveexec_b64 s[92:93], vcc
	s_cbranch_execz .LBB2_8786
; %bb.8783:                             ;   in Loop: Header=BB2_8767 Depth=2
	buffer_load_dword v22, off, s[0:3], s33 offset:80 ; 4-byte Folded Reload
	buffer_load_dword v23, off, s[0:3], s33 offset:84 ; 4-byte Folded Reload
	;; [unrolled: 1-line block ×4, first 2 shown]
                                        ; implicit-def: $vgpr10_vgpr11
	s_waitcnt vmcnt(0)
	v_mad_u64_u32 v[38:39], s[26:27], v6, 24, v[22:23]
	flat_load_dword v7, v[38:39]
	s_waitcnt vmcnt(0) lgkmcnt(0)
	v_cmp_ne_u32_e32 vcc, 1, v7
	v_cmp_eq_u32_e64 s[26:27], 1, v7
	s_and_saveexec_b64 s[94:95], s[26:27]
	s_cbranch_execz .LBB2_8785
; %bb.8784:                             ;   in Loop: Header=BB2_8767 Depth=2
	flat_load_dword v10, v[38:39] offset:4 glc
	s_waitcnt vmcnt(0) lgkmcnt(0)
	v_ashrrev_i32_e32 v11, 31, v10
.LBB2_8785:                             ;   in Loop: Header=BB2_8767 Depth=2
	s_or_b64 exec, exec, s[94:95]
	s_orn2_b64 s[26:27], vcc, exec
.LBB2_8786:                             ;   in Loop: Header=BB2_8767 Depth=2
	s_or_b64 exec, exec, s[92:93]
	s_and_saveexec_b64 s[92:93], s[26:27]
	s_cbranch_execz .LBB2_8788
; %bb.8787:                             ;   in Loop: Header=BB2_8767 Depth=2
	buffer_load_dword v7, off, s[0:3], s33 offset:104 ; 4-byte Folded Reload
	s_waitcnt vmcnt(0)
	v_mad_i64_i32 v[10:11], s[26:27], v6, v7, 0
.LBB2_8788:                             ;   in Loop: Header=BB2_8767 Depth=2
	s_or_b64 exec, exec, s[92:93]
	buffer_load_dword v6, off, s[0:3], s33 offset:72 ; 4-byte Folded Reload
	buffer_load_dword v7, off, s[0:3], s33 offset:76 ; 4-byte Folded Reload
	s_waitcnt vmcnt(0)
	v_add_co_u32_e32 v6, vcc, v6, v10
	v_addc_co_u32_e32 v7, vcc, v7, v11, vcc
	ds_write_b64 v0, v[6:7] offset:720
	v_and_b32_e32 v6, 0x2000, v61
	v_cmp_ne_u32_e32 vcc, 0, v6
	s_and_saveexec_b64 s[26:27], vcc
	s_cbranch_execz .LBB2_8790
; %bb.8789:                             ;   in Loop: Header=BB2_8767 Depth=2
	ds_read_b64 v[6:7], v0 offset:872
	s_waitcnt lgkmcnt(0)
	v_add_co_u32_e32 v6, vcc, 1, v6
	v_addc_co_u32_e32 v7, vcc, 0, v7, vcc
	ds_write_b64 v0, v[6:7] offset:872
.LBB2_8790:                             ;   in Loop: Header=BB2_8767 Depth=2
	s_or_b64 exec, exec, s[26:27]
	v_mov_b32_e32 v39, v9
	v_mov_b32_e32 v38, v8
.LBB2_8791:                             ;   in Loop: Header=BB2_8767 Depth=2
	s_or_b64 exec, exec, s[90:91]
	s_and_saveexec_b64 s[26:27], s[12:13]
	s_cbranch_execz .LBB2_8810
; %bb.8792:                             ;   in Loop: Header=BB2_8767 Depth=2
	s_and_saveexec_b64 s[90:91], s[58:59]
	s_xor_b64 s[90:91], exec, s[90:91]
	s_cbranch_execz .LBB2_8807
; %bb.8793:                             ;   in Loop: Header=BB2_8767 Depth=2
	s_and_saveexec_b64 s[92:93], s[6:7]
	s_cbranch_execz .LBB2_8806
; %bb.8794:                             ;   in Loop: Header=BB2_8767 Depth=2
	s_mov_b64 s[30:31], exec
	v_mbcnt_lo_u32_b32 v6, s30, 0
	v_mbcnt_hi_u32_b32 v6, s31, v6
	v_cmp_eq_u32_e32 vcc, 0, v6
	s_waitcnt vmcnt(0) lgkmcnt(0)
	buffer_wbinvl1_vol
	s_and_saveexec_b64 s[94:95], vcc
	s_cbranch_execz .LBB2_8796
; %bb.8795:                             ;   in Loop: Header=BB2_8767 Depth=2
	s_bcnt1_i32_b64 s45, s[30:31]
	v_mov_b32_e32 v6, s45
	v_mov_b32_e32 v7, v29
	ds_add_u64 v0, v[6:7]
	s_trap 2
.LBB2_8796:                             ;   in Loop: Header=BB2_8767 Depth=2
	s_or_b64 exec, exec, s[94:95]
	s_trap 2
	ds_read_b64 v[6:7], v0
	s_waitcnt lgkmcnt(0)
	v_add_co_u32_e32 v12, vcc, v12, v14
	v_addc_co_u32_e32 v13, vcc, 0, v13, vcc
	v_cmp_lt_u64_e32 vcc, v[6:7], v[12:13]
	s_and_saveexec_b64 s[94:95], vcc
	s_cbranch_execz .LBB2_8805
; %bb.8797:                             ;   in Loop: Header=BB2_8767 Depth=2
	s_mov_b32 s45, 0
	s_mov_b64 s[30:31], 0
                                        ; implicit-def: $sgpr34_sgpr35
                                        ; implicit-def: $sgpr36_sgpr37
	s_branch .LBB2_8799
.LBB2_8798:                             ;   in Loop: Header=BB2_8799 Depth=3
	s_or_b64 exec, exec, s[48:49]
	s_and_b64 vcc, exec, vcc
	s_or_b64 s[30:31], vcc, s[30:31]
	s_andn2_b64 vcc, s[34:35], exec
	s_and_b64 s[34:35], s[36:37], exec
	s_or_b64 s[34:35], vcc, s[34:35]
	s_andn2_b64 exec, exec, s[30:31]
	s_cbranch_execz .LBB2_8803
.LBB2_8799:                             ;   Parent Loop BB2_47 Depth=1
                                        ;     Parent Loop BB2_8767 Depth=2
                                        ; =>    This Inner Loop Header: Depth=3
	s_add_i32 s45, s45, 1
	s_cmpk_lg_i32 s45, 0x2710
	s_cselect_b64 s[38:39], -1, 0
	s_and_b64 vcc, exec, s[38:39]
	s_cbranch_vccz .LBB2_8801
; %bb.8800:                             ;   in Loop: Header=BB2_8799 Depth=3
	s_mov_b64 vcc, -1
	s_or_b64 s[36:37], s[36:37], exec
	s_and_saveexec_b64 s[48:49], s[38:39]
	s_cbranch_execz .LBB2_8798
	s_branch .LBB2_8802
.LBB2_8801:                             ;   in Loop: Header=BB2_8799 Depth=3
	s_trap 2
	ds_read_b64 v[6:7], v0
	s_andn2_b64 s[38:39], s[38:39], exec
	s_mov_b32 s45, 0
	s_waitcnt lgkmcnt(0)
	flat_load_dword v6, v[6:7] glc
	s_waitcnt vmcnt(0) lgkmcnt(0)
	buffer_wbinvl1_vol
	v_cmp_eq_u32_e32 vcc, 0, v6
	s_and_b64 vcc, vcc, exec
	s_or_b64 s[38:39], s[38:39], vcc
	s_mov_b64 vcc, -1
	s_or_b64 s[36:37], s[36:37], exec
	s_and_saveexec_b64 s[48:49], s[38:39]
	s_cbranch_execz .LBB2_8798
.LBB2_8802:                             ;   in Loop: Header=BB2_8799 Depth=3
	s_sleep 1
	s_trap 2
	ds_read_b64 v[6:7], v0
	s_waitcnt lgkmcnt(0)
	s_andn2_b64 s[36:37], s[36:37], exec
	v_cmp_ge_u64_e32 vcc, v[6:7], v[12:13]
	s_orn2_b64 vcc, vcc, exec
	s_branch .LBB2_8798
.LBB2_8803:                             ;   in Loop: Header=BB2_8767 Depth=2
	s_or_b64 exec, exec, s[30:31]
	s_and_saveexec_b64 vcc, s[34:35]
	s_xor_b64 vcc, exec, vcc
	s_cbranch_execz .LBB2_8805
; %bb.8804:                             ;   in Loop: Header=BB2_8767 Depth=2
	v_mov_b32_e32 v6, 1
	ds_write_b32 v0, v6
	s_trap 2
.LBB2_8805:                             ;   in Loop: Header=BB2_8767 Depth=2
	s_or_b64 exec, exec, s[94:95]
	;;#ASMSTART
	s_wakeup
	;;#ASMEND
.LBB2_8806:                             ;   in Loop: Header=BB2_8767 Depth=2
	s_or_b64 exec, exec, s[92:93]
.LBB2_8807:                             ;   in Loop: Header=BB2_8767 Depth=2
	s_andn2_saveexec_b64 s[90:91], s[90:91]
	s_cbranch_execz .LBB2_8809
; %bb.8808:                             ;   in Loop: Header=BB2_8767 Depth=2
	s_waitcnt vmcnt(0) lgkmcnt(0)
	buffer_wbinvl1_vol
	s_barrier
.LBB2_8809:                             ;   in Loop: Header=BB2_8767 Depth=2
	s_or_b64 exec, exec, s[90:91]
.LBB2_8810:                             ;   in Loop: Header=BB2_8767 Depth=2
	s_or_b64 exec, exec, s[26:27]
	s_trap 2
	ds_read_b32 v6, v0
	v_and_b32_e32 v7, 0x4000, v61
	v_cmp_ne_u32_e32 vcc, 0, v7
	s_xor_b64 s[26:27], s[10:11], -1
	s_and_b64 s[90:91], s[26:27], vcc
	s_and_saveexec_b64 s[26:27], s[90:91]
	s_cbranch_execz .LBB2_8829
; %bb.8811:                             ;   in Loop: Header=BB2_8767 Depth=2
	s_and_saveexec_b64 s[90:91], s[58:59]
	s_xor_b64 s[90:91], exec, s[90:91]
	s_cbranch_execz .LBB2_8826
; %bb.8812:                             ;   in Loop: Header=BB2_8767 Depth=2
	s_and_saveexec_b64 s[92:93], s[6:7]
	s_cbranch_execz .LBB2_8825
; %bb.8813:                             ;   in Loop: Header=BB2_8767 Depth=2
	s_mov_b64 s[30:31], exec
	v_mbcnt_lo_u32_b32 v7, s30, 0
	v_mbcnt_hi_u32_b32 v7, s31, v7
	v_cmp_eq_u32_e32 vcc, 0, v7
	s_waitcnt vmcnt(0) lgkmcnt(0)
	buffer_wbinvl1_vol
	s_and_saveexec_b64 s[94:95], vcc
	s_cbranch_execz .LBB2_8815
; %bb.8814:                             ;   in Loop: Header=BB2_8767 Depth=2
	s_bcnt1_i32_b64 s45, s[30:31]
	v_mov_b32_e32 v7, s45
	v_mov_b32_e32 v8, v29
	ds_add_u64 v0, v[7:8]
	s_trap 2
.LBB2_8815:                             ;   in Loop: Header=BB2_8767 Depth=2
	s_or_b64 exec, exec, s[94:95]
	s_trap 2
	ds_read_b64 v[7:8], v0
	s_waitcnt lgkmcnt(0)
	v_add_co_u32_e32 v12, vcc, v12, v14
	v_addc_co_u32_e32 v13, vcc, 0, v13, vcc
	v_cmp_lt_u64_e32 vcc, v[7:8], v[12:13]
	s_and_saveexec_b64 s[94:95], vcc
	s_cbranch_execz .LBB2_8824
; %bb.8816:                             ;   in Loop: Header=BB2_8767 Depth=2
	s_mov_b32 s45, 0
	s_mov_b64 s[30:31], 0
                                        ; implicit-def: $sgpr34_sgpr35
                                        ; implicit-def: $sgpr36_sgpr37
	s_branch .LBB2_8818
.LBB2_8817:                             ;   in Loop: Header=BB2_8818 Depth=3
	s_or_b64 exec, exec, s[48:49]
	s_and_b64 vcc, exec, vcc
	s_or_b64 s[30:31], vcc, s[30:31]
	s_andn2_b64 vcc, s[34:35], exec
	s_and_b64 s[34:35], s[36:37], exec
	s_or_b64 s[34:35], vcc, s[34:35]
	s_andn2_b64 exec, exec, s[30:31]
	s_cbranch_execz .LBB2_8822
.LBB2_8818:                             ;   Parent Loop BB2_47 Depth=1
                                        ;     Parent Loop BB2_8767 Depth=2
                                        ; =>    This Inner Loop Header: Depth=3
	s_add_i32 s45, s45, 1
	s_cmpk_lg_i32 s45, 0x2710
	s_cselect_b64 s[38:39], -1, 0
	s_and_b64 vcc, exec, s[38:39]
	s_cbranch_vccz .LBB2_8820
; %bb.8819:                             ;   in Loop: Header=BB2_8818 Depth=3
	s_mov_b64 vcc, -1
	s_or_b64 s[36:37], s[36:37], exec
	s_and_saveexec_b64 s[48:49], s[38:39]
	s_cbranch_execz .LBB2_8817
	s_branch .LBB2_8821
.LBB2_8820:                             ;   in Loop: Header=BB2_8818 Depth=3
	s_trap 2
	ds_read_b64 v[7:8], v0
	s_andn2_b64 s[38:39], s[38:39], exec
	s_mov_b32 s45, 0
	s_waitcnt lgkmcnt(0)
	flat_load_dword v7, v[7:8] glc
	s_waitcnt vmcnt(0) lgkmcnt(0)
	buffer_wbinvl1_vol
	v_cmp_eq_u32_e32 vcc, 0, v7
	s_and_b64 vcc, vcc, exec
	s_or_b64 s[38:39], s[38:39], vcc
	s_mov_b64 vcc, -1
	s_or_b64 s[36:37], s[36:37], exec
	s_and_saveexec_b64 s[48:49], s[38:39]
	s_cbranch_execz .LBB2_8817
.LBB2_8821:                             ;   in Loop: Header=BB2_8818 Depth=3
	s_sleep 1
	s_trap 2
	ds_read_b64 v[7:8], v0
	s_waitcnt lgkmcnt(0)
	s_andn2_b64 s[36:37], s[36:37], exec
	v_cmp_ge_u64_e32 vcc, v[7:8], v[12:13]
	s_orn2_b64 vcc, vcc, exec
	s_branch .LBB2_8817
.LBB2_8822:                             ;   in Loop: Header=BB2_8767 Depth=2
	s_or_b64 exec, exec, s[30:31]
	s_and_saveexec_b64 vcc, s[34:35]
	s_xor_b64 vcc, exec, vcc
	s_cbranch_execz .LBB2_8824
; %bb.8823:                             ;   in Loop: Header=BB2_8767 Depth=2
	v_mov_b32_e32 v7, 1
	ds_write_b32 v0, v7
	s_trap 2
.LBB2_8824:                             ;   in Loop: Header=BB2_8767 Depth=2
	s_or_b64 exec, exec, s[94:95]
	;;#ASMSTART
	s_wakeup
	;;#ASMEND
.LBB2_8825:                             ;   in Loop: Header=BB2_8767 Depth=2
	s_or_b64 exec, exec, s[92:93]
.LBB2_8826:                             ;   in Loop: Header=BB2_8767 Depth=2
	s_andn2_saveexec_b64 s[90:91], s[90:91]
	s_cbranch_execz .LBB2_8828
; %bb.8827:                             ;   in Loop: Header=BB2_8767 Depth=2
	s_waitcnt vmcnt(0) lgkmcnt(0)
	buffer_wbinvl1_vol
	s_barrier
.LBB2_8828:                             ;   in Loop: Header=BB2_8767 Depth=2
	s_or_b64 exec, exec, s[90:91]
.LBB2_8829:                             ;   in Loop: Header=BB2_8767 Depth=2
	s_or_b64 exec, exec, s[26:27]
	s_trap 2
	ds_read_b64 v[8:9], v0
	v_sub_u32_e32 v7, v0, v2
	v_min_i32_e32 v1, v1, v7
	s_waitcnt lgkmcnt(0)
	v_cmp_eq_u64_e32 vcc, 0, v[8:9]
	s_cbranch_vccnz .LBB2_8837
; %bb.8830:                             ;   in Loop: Header=BB2_8767 Depth=2
	s_trap 2
	ds_read_b64 v[10:11], v0
	s_waitcnt lgkmcnt(0)
	v_cmp_eq_u64_e32 vcc, 0, v[10:11]
	s_cbranch_vccnz .LBB2_8837
; %bb.8831:                             ;   in Loop: Header=BB2_8767 Depth=2
	s_mov_b64 s[26:27], -1
	s_and_saveexec_b64 s[90:91], s[16:17]
	s_cbranch_execz .LBB2_8833
; %bb.8832:                             ;   in Loop: Header=BB2_8767 Depth=2
	ds_read_b32 v7, v0 offset:720
	s_waitcnt lgkmcnt(0)
	v_and_b32_e32 v7, 15, v7
	v_cmp_eq_u32_e32 vcc, 0, v7
	s_orn2_b64 s[26:27], vcc, exec
.LBB2_8833:                             ;   in Loop: Header=BB2_8767 Depth=2
	s_or_b64 exec, exec, s[90:91]
	s_and_saveexec_b64 s[90:91], s[14:15]
	s_cbranch_execz .LBB2_8835
; %bb.8834:                             ;   in Loop: Header=BB2_8767 Depth=2
	ds_read_b32 v7, v0 offset:784
	s_waitcnt lgkmcnt(0)
	v_and_b32_e32 v7, 15, v7
	v_cmp_eq_u32_e32 vcc, 0, v7
	s_and_b64 s[92:93], s[26:27], vcc
	s_andn2_b64 s[26:27], s[26:27], exec
	s_and_b64 s[92:93], s[92:93], exec
	s_or_b64 s[26:27], s[26:27], s[92:93]
.LBB2_8835:                             ;   in Loop: Header=BB2_8767 Depth=2
	s_or_b64 exec, exec, s[90:91]
	buffer_load_dword v18, off, s[0:3], s33 offset:128 ; 4-byte Folded Reload
	v_cmp_eq_u32_e32 vcc, 0, v6
	s_xor_b64 s[26:27], s[26:27], -1
	v_cndmask_b32_e32 v6, 0, v1, vcc
	v_cndmask_b32_e64 v7, 0, 1, s[26:27]
	s_mov_b64 s[92:93], -1
	v_cmp_ne_u32_e32 vcc, 0, v7
	v_mov_b32_e32 v7, 0
	v_mov_b32_e32 v16, v6
	s_cbranch_vccz .LBB2_8842
; %bb.8836:                             ;   in Loop: Header=BB2_8767 Depth=2
	s_and_saveexec_b64 s[26:27], s[92:93]
	s_cbranch_execnz .LBB2_8853
	s_branch .LBB2_8861
.LBB2_8837:                             ;   in Loop: Header=BB2_8767 Depth=2
	s_mov_b64 s[26:27], 0
	s_and_saveexec_b64 s[90:91], s[12:13]
	s_cbranch_execnz .LBB2_8862
.LBB2_8838:                             ;   in Loop: Header=BB2_8767 Depth=2
	s_or_b64 exec, exec, s[90:91]
	s_and_saveexec_b64 s[90:91], s[18:19]
	s_xor_b64 s[90:91], exec, s[90:91]
	s_cbranch_execz .LBB2_8880
.LBB2_8839:                             ;   in Loop: Header=BB2_8767 Depth=2
	v_and_b32_e32 v6, 16, v61
	v_cmp_ne_u32_e32 vcc, 0, v6
	s_and_b64 s[92:93], vcc, s[26:27]
	s_and_saveexec_b64 s[26:27], s[92:93]
	s_cbranch_execz .LBB2_8841
; %bb.8840:                             ;   in Loop: Header=BB2_8767 Depth=2
	s_waitcnt vmcnt(0) lgkmcnt(0)
	buffer_wbinvl1_vol
.LBB2_8841:                             ;   in Loop: Header=BB2_8767 Depth=2
	s_or_b64 exec, exec, s[26:27]
	s_andn2_saveexec_b64 s[26:27], s[90:91]
	s_cbranch_execz .LBB2_8899
	s_branch .LBB2_8881
.LBB2_8842:                             ;   in Loop: Header=BB2_8767 Depth=2
	buffer_load_dword v16, off, s[0:3], s33 offset:152 ; 4-byte Folded Reload
	v_ashrrev_i32_e32 v7, 31, v6
	v_lshrrev_b32_e32 v7, 21, v7
	v_add_u32_e32 v7, v6, v7
	v_ashrrev_i32_e32 v7, 11, v7
	s_waitcnt vmcnt(0)
	v_sub_u32_e32 v22, v7, v16
	v_cmp_lt_i32_e32 vcc, 0, v22
	s_and_saveexec_b64 s[26:27], vcc
	s_cbranch_execz .LBB2_8846
; %bb.8843:                             ;   in Loop: Header=BB2_8767 Depth=2
	buffer_load_dword v48, off, s[0:3], s33 offset:212 ; 4-byte Folded Reload
	buffer_load_dword v49, off, s[0:3], s33 offset:216 ; 4-byte Folded Reload
	s_mov_b64 s[90:91], 0
	v_lshlrev_b32_e32 v16, 11, v14
.LBB2_8844:                             ;   Parent Loop BB2_47 Depth=1
                                        ;     Parent Loop BB2_8767 Depth=2
                                        ; =>    This Inner Loop Header: Depth=3
	s_waitcnt vmcnt(1)
	v_add_co_u32_e32 v18, vcc, v8, v48
	s_waitcnt vmcnt(0)
	v_addc_co_u32_e32 v19, vcc, v9, v49, vcc
	global_load_dwordx4 v[50:53], v[18:19], off glc slc
	global_load_dwordx4 v[40:43], v[18:19], off offset:1024 glc slc
	v_add_co_u32_e32 v18, vcc, v10, v48
	v_addc_co_u32_e32 v19, vcc, v11, v49, vcc
	v_add_co_u32_e32 v48, vcc, v48, v16
	v_sub_u32_e32 v22, v22, v14
	v_addc_co_u32_e32 v49, vcc, 0, v49, vcc
	v_cmp_gt_i32_e32 vcc, 1, v22
	s_or_b64 s[90:91], vcc, s[90:91]
	s_waitcnt vmcnt(1)
	global_store_dwordx4 v[18:19], v[50:53], off glc slc
	s_waitcnt vmcnt(1)
	global_store_dwordx4 v[18:19], v[40:43], off offset:1024 glc slc
	s_andn2_b64 exec, exec, s[90:91]
	s_cbranch_execnz .LBB2_8844
; %bb.8845:                             ;   in Loop: Header=BB2_8767 Depth=2
	s_or_b64 exec, exec, s[90:91]
.LBB2_8846:                             ;   in Loop: Header=BB2_8767 Depth=2
	s_or_b64 exec, exec, s[26:27]
	v_lshlrev_b32_e32 v19, 11, v7
	v_cmp_ne_u32_e32 vcc, v6, v19
	s_mov_b64 s[92:93], 0
	v_mov_b32_e32 v7, 0
                                        ; implicit-def: $vgpr16
                                        ; implicit-def: $vgpr18
	s_and_saveexec_b64 s[90:91], vcc
	s_cbranch_execz .LBB2_8852
; %bb.8847:                             ;   in Loop: Header=BB2_8767 Depth=2
	buffer_load_dword v18, off, s[0:3], s33 offset:176 ; 4-byte Folded Reload
	v_lshlrev_b32_e32 v7, 6, v22
	v_sub_u32_e32 v16, v6, v19
	s_waitcnt vmcnt(0)
	v_sub_u32_e32 v7, v18, v7
	v_ashrrev_i32_e32 v18, 31, v7
	v_lshrrev_b32_e32 v18, 26, v18
	v_add_u32_e32 v18, v7, v18
	v_ashrrev_i32_e32 v22, 6, v18
	v_and_b32_e32 v18, 0xffffffc0, v18
	v_sub_u32_e32 v18, v7, v18
	v_lshlrev_b32_e32 v7, 4, v18
	v_lshl_add_u32 v24, v22, 10, v7
	v_ashrrev_i32_e32 v7, 31, v16
	v_lshrrev_b32_e32 v7, 22, v7
	v_add_u32_e32 v7, v16, v7
	v_ashrrev_i32_e32 v25, 10, v7
	v_and_b32_e32 v7, 0xfffffc00, v7
	v_sub_u32_e32 v23, v16, v24
	v_sub_u32_e32 v16, v16, v7
	v_cmp_lt_i32_e32 vcc, 15, v16
	v_addc_co_u32_e64 v25, s[26:27], 0, v25, vcc
	v_sub_u32_e32 v22, v25, v22
	v_cmp_lt_i32_e64 s[26:27], 15, v23
	s_and_saveexec_b64 s[92:93], s[26:27]
	s_cbranch_execz .LBB2_8851
; %bb.8848:                             ;   in Loop: Header=BB2_8767 Depth=2
	v_add_u32_e32 v24, v24, v19
	v_ashrrev_i32_e32 v25, 31, v24
	s_mov_b64 s[94:95], 0
.LBB2_8849:                             ;   Parent Loop BB2_47 Depth=1
                                        ;     Parent Loop BB2_8767 Depth=2
                                        ; =>    This Inner Loop Header: Depth=3
	v_add_co_u32_e64 v30, s[26:27], v8, v24
	v_addc_co_u32_e64 v31, s[26:27], v9, v25, s[26:27]
	global_load_dwordx4 v[48:51], v[30:31], off glc slc
	v_add_co_u32_e64 v30, s[26:27], v10, v24
	v_addc_co_u32_e64 v31, s[26:27], v11, v25, s[26:27]
	v_add_co_u32_e64 v24, s[26:27], v24, v15
	v_sub_u32_e32 v23, v23, v15
	v_addc_co_u32_e64 v25, s[26:27], 0, v25, s[26:27]
	v_cmp_gt_i32_e64 s[26:27], 16, v23
	v_sub_u32_e32 v22, v22, v14
	s_or_b64 s[94:95], s[26:27], s[94:95]
	s_waitcnt vmcnt(0)
	global_store_dwordx4 v[30:31], v[48:51], off glc slc
	s_andn2_b64 exec, exec, s[94:95]
	s_cbranch_execnz .LBB2_8849
; %bb.8850:                             ;   in Loop: Header=BB2_8767 Depth=2
	s_or_b64 exec, exec, s[94:95]
.LBB2_8851:                             ;   in Loop: Header=BB2_8767 Depth=2
	s_or_b64 exec, exec, s[92:93]
	v_and_b32_e32 v23, 15, v6
	v_sub_u32_e32 v24, v16, v23
	v_cndmask_b32_e32 v24, 0, v24, vcc
	v_cndmask_b32_e32 v16, v16, v23, vcc
	v_cmp_lt_i32_e32 vcc, 0, v22
	v_add3_u32 v7, v7, v19, v24
	v_cndmask_b32_e32 v19, 0, v14, vcc
	v_sub_u32_e32 v19, v19, v22
	v_cmp_ne_u32_e32 vcc, 0, v16
	v_lshl_add_u32 v18, v19, 6, v18
	s_and_b64 s[92:93], vcc, exec
.LBB2_8852:                             ;   in Loop: Header=BB2_8767 Depth=2
	s_or_b64 exec, exec, s[90:91]
	s_and_saveexec_b64 s[26:27], s[92:93]
	s_cbranch_execz .LBB2_8861
.LBB2_8853:                             ;   in Loop: Header=BB2_8767 Depth=2
	s_waitcnt vmcnt(0)
	v_ashrrev_i32_e32 v19, 31, v18
	v_ashrrev_i32_e32 v22, 31, v16
	v_lshrrev_b32_e32 v19, 26, v19
	v_lshrrev_b32_e32 v22, 23, v22
	v_add_u32_e32 v24, v18, v19
	v_add_u32_e32 v22, v16, v22
	v_ashrrev_i32_e32 v19, 6, v24
	v_ashrrev_i32_e32 v23, 9, v22
	v_sub_u32_e32 v22, v23, v19
	v_cmp_lt_i32_e32 vcc, 0, v22
	s_and_saveexec_b64 s[90:91], vcc
	s_cbranch_execz .LBB2_8857
; %bb.8854:                             ;   in Loop: Header=BB2_8767 Depth=2
	v_and_b32_e32 v24, 0xffffffc0, v24
	v_sub_u32_e32 v24, v18, v24
	v_lshlrev_b32_e32 v25, 9, v19
	v_add3_u32 v24, v7, v24, v25
	v_ashrrev_i32_e32 v25, 31, v24
	s_mov_b64 s[92:93], 0
.LBB2_8855:                             ;   Parent Loop BB2_47 Depth=1
                                        ;     Parent Loop BB2_8767 Depth=2
                                        ; =>    This Inner Loop Header: Depth=3
	v_add_co_u32_e32 v30, vcc, v24, v8
	v_addc_co_u32_e32 v31, vcc, v25, v9, vcc
	flat_load_ubyte v28, v[30:31] glc slc
	flat_load_ubyte v33, v[30:31] offset:64 glc slc
	flat_load_ubyte v34, v[30:31] offset:128 glc slc
	;; [unrolled: 1-line block ×7, first 2 shown]
	v_add_co_u32_e32 v30, vcc, v24, v10
	v_addc_co_u32_e32 v31, vcc, v25, v11, vcc
	v_add_co_u32_e32 v8, vcc, v8, v32
	v_addc_co_u32_e32 v9, vcc, 0, v9, vcc
	v_add_co_u32_e32 v10, vcc, v10, v32
	v_sub_u32_e32 v22, v22, v14
	v_addc_co_u32_e32 v11, vcc, 0, v11, vcc
	v_cmp_gt_i32_e32 vcc, 1, v22
	s_or_b64 s[92:93], vcc, s[92:93]
	s_waitcnt vmcnt(0) lgkmcnt(0)
	flat_store_byte v[30:31], v28 glc slc
	flat_store_byte v[30:31], v33 offset:64 glc slc
	flat_store_byte v[30:31], v34 offset:128 glc slc
	;; [unrolled: 1-line block ×7, first 2 shown]
	s_andn2_b64 exec, exec, s[92:93]
	s_cbranch_execnz .LBB2_8855
; %bb.8856:                             ;   in Loop: Header=BB2_8767 Depth=2
	s_or_b64 exec, exec, s[92:93]
.LBB2_8857:                             ;   in Loop: Header=BB2_8767 Depth=2
	s_or_b64 exec, exec, s[90:91]
	v_lshlrev_b32_e32 v8, 9, v23
	buffer_load_dword v23, off, s[0:3], s33 offset:56 ; 4-byte Folded Reload
	v_cmp_ne_u32_e32 vcc, v16, v8
	s_and_b64 s[90:91], exec, vcc
	s_mov_b64 exec, s[90:91]
	s_cbranch_execz .LBB2_8861
; %bb.8858:                             ;   in Loop: Header=BB2_8767 Depth=2
	v_lshlrev_b32_e32 v9, 6, v19
	v_sub_u32_e32 v9, v18, v9
	v_lshlrev_b32_e32 v10, 6, v22
	v_sub_u32_e32 v9, v9, v10
	v_add_u32_e32 v8, v8, v9
	v_sub_u32_e32 v10, v16, v8
	v_cmp_lt_i32_e32 vcc, 0, v10
	s_and_b64 exec, exec, vcc
	s_cbranch_execz .LBB2_8861
; %bb.8859:                             ;   in Loop: Header=BB2_8767 Depth=2
	v_add_u32_e32 v7, v8, v7
	s_trap 2
	ds_read_b64 v[8:9], v0
	v_ashrrev_i32_e32 v11, 31, v7
	s_mov_b64 s[90:91], 0
.LBB2_8860:                             ;   Parent Loop BB2_47 Depth=1
                                        ;     Parent Loop BB2_8767 Depth=2
                                        ; =>    This Inner Loop Header: Depth=3
	s_waitcnt lgkmcnt(0)
	v_add_co_u32_e32 v18, vcc, v8, v7
	v_addc_co_u32_e32 v19, vcc, v9, v11, vcc
	flat_load_ubyte v16, v[18:19] glc slc
	s_waitcnt vmcnt(0)
	v_add_co_u32_e32 v7, vcc, v7, v23
	v_sub_u32_e32 v10, v10, v23
	v_addc_co_u32_e32 v11, vcc, 0, v11, vcc
	v_cmp_gt_i32_e32 vcc, 1, v10
	s_or_b64 s[90:91], vcc, s[90:91]
	s_waitcnt lgkmcnt(0)
	flat_store_byte v[18:19], v16 glc slc
	s_andn2_b64 exec, exec, s[90:91]
	s_cbranch_execnz .LBB2_8860
.LBB2_8861:                             ;   in Loop: Header=BB2_8767 Depth=2
	s_or_b64 exec, exec, s[26:27]
	v_cmp_lt_i32_e64 s[26:27], 0, v6
	s_and_saveexec_b64 s[90:91], s[12:13]
	s_cbranch_execz .LBB2_8838
.LBB2_8862:                             ;   in Loop: Header=BB2_8767 Depth=2
	s_and_saveexec_b64 s[92:93], s[58:59]
	s_xor_b64 s[92:93], exec, s[92:93]
	s_cbranch_execz .LBB2_8877
; %bb.8863:                             ;   in Loop: Header=BB2_8767 Depth=2
	s_and_saveexec_b64 s[94:95], s[6:7]
	s_cbranch_execz .LBB2_8876
; %bb.8864:                             ;   in Loop: Header=BB2_8767 Depth=2
	s_mov_b64 s[34:35], exec
	v_mbcnt_lo_u32_b32 v6, s34, 0
	v_mbcnt_hi_u32_b32 v6, s35, v6
	v_cmp_eq_u32_e32 vcc, 0, v6
	s_waitcnt vmcnt(0) lgkmcnt(0)
	buffer_wbinvl1_vol
	s_and_saveexec_b64 s[30:31], vcc
	s_cbranch_execz .LBB2_8866
; %bb.8865:                             ;   in Loop: Header=BB2_8767 Depth=2
	s_bcnt1_i32_b64 s45, s[34:35]
	v_mov_b32_e32 v6, s45
	v_mov_b32_e32 v7, v29
	ds_add_u64 v0, v[6:7]
	s_trap 2
.LBB2_8866:                             ;   in Loop: Header=BB2_8767 Depth=2
	s_or_b64 exec, exec, s[30:31]
	s_trap 2
	ds_read_b64 v[6:7], v0
	s_waitcnt lgkmcnt(0)
	v_add_co_u32_e32 v12, vcc, v12, v14
	v_addc_co_u32_e32 v13, vcc, 0, v13, vcc
	v_cmp_lt_u64_e32 vcc, v[6:7], v[12:13]
	s_and_saveexec_b64 s[30:31], vcc
	s_cbranch_execz .LBB2_8875
; %bb.8867:                             ;   in Loop: Header=BB2_8767 Depth=2
	s_mov_b32 s45, 0
	s_mov_b64 s[34:35], 0
                                        ; implicit-def: $sgpr36_sgpr37
                                        ; implicit-def: $sgpr38_sgpr39
	s_branch .LBB2_8869
.LBB2_8868:                             ;   in Loop: Header=BB2_8869 Depth=3
	s_or_b64 exec, exec, s[50:51]
	s_and_b64 vcc, exec, vcc
	s_or_b64 s[34:35], vcc, s[34:35]
	s_andn2_b64 vcc, s[36:37], exec
	s_and_b64 s[36:37], s[38:39], exec
	s_or_b64 s[36:37], vcc, s[36:37]
	s_andn2_b64 exec, exec, s[34:35]
	s_cbranch_execz .LBB2_8873
.LBB2_8869:                             ;   Parent Loop BB2_47 Depth=1
                                        ;     Parent Loop BB2_8767 Depth=2
                                        ; =>    This Inner Loop Header: Depth=3
	s_add_i32 s45, s45, 1
	s_cmpk_lg_i32 s45, 0x2710
	s_cselect_b64 s[48:49], -1, 0
	s_and_b64 vcc, exec, s[48:49]
	s_cbranch_vccz .LBB2_8871
; %bb.8870:                             ;   in Loop: Header=BB2_8869 Depth=3
	s_mov_b64 vcc, -1
	s_or_b64 s[38:39], s[38:39], exec
	s_and_saveexec_b64 s[50:51], s[48:49]
	s_cbranch_execz .LBB2_8868
	s_branch .LBB2_8872
.LBB2_8871:                             ;   in Loop: Header=BB2_8869 Depth=3
	s_trap 2
	ds_read_b64 v[6:7], v0
	s_andn2_b64 s[48:49], s[48:49], exec
	s_mov_b32 s45, 0
	s_waitcnt lgkmcnt(0)
	flat_load_dword v6, v[6:7] glc
	s_waitcnt vmcnt(0) lgkmcnt(0)
	buffer_wbinvl1_vol
	v_cmp_eq_u32_e32 vcc, 0, v6
	s_and_b64 vcc, vcc, exec
	s_or_b64 s[48:49], s[48:49], vcc
	s_mov_b64 vcc, -1
	s_or_b64 s[38:39], s[38:39], exec
	s_and_saveexec_b64 s[50:51], s[48:49]
	s_cbranch_execz .LBB2_8868
.LBB2_8872:                             ;   in Loop: Header=BB2_8869 Depth=3
	s_sleep 1
	s_trap 2
	ds_read_b64 v[6:7], v0
	s_waitcnt lgkmcnt(0)
	s_andn2_b64 s[38:39], s[38:39], exec
	v_cmp_ge_u64_e32 vcc, v[6:7], v[12:13]
	s_orn2_b64 vcc, vcc, exec
	s_branch .LBB2_8868
.LBB2_8873:                             ;   in Loop: Header=BB2_8767 Depth=2
	s_or_b64 exec, exec, s[34:35]
	s_and_saveexec_b64 vcc, s[36:37]
	s_xor_b64 vcc, exec, vcc
	s_cbranch_execz .LBB2_8875
; %bb.8874:                             ;   in Loop: Header=BB2_8767 Depth=2
	v_mov_b32_e32 v6, 1
	ds_write_b32 v0, v6
	s_trap 2
.LBB2_8875:                             ;   in Loop: Header=BB2_8767 Depth=2
	s_or_b64 exec, exec, s[30:31]
	;;#ASMSTART
	s_wakeup
	;;#ASMEND
.LBB2_8876:                             ;   in Loop: Header=BB2_8767 Depth=2
	s_or_b64 exec, exec, s[94:95]
.LBB2_8877:                             ;   in Loop: Header=BB2_8767 Depth=2
	s_andn2_saveexec_b64 s[92:93], s[92:93]
	s_cbranch_execz .LBB2_8879
; %bb.8878:                             ;   in Loop: Header=BB2_8767 Depth=2
	s_waitcnt vmcnt(0) lgkmcnt(0)
	buffer_wbinvl1_vol
	s_barrier
.LBB2_8879:                             ;   in Loop: Header=BB2_8767 Depth=2
	s_or_b64 exec, exec, s[92:93]
	s_or_b64 exec, exec, s[90:91]
	s_and_saveexec_b64 s[90:91], s[18:19]
	s_xor_b64 s[90:91], exec, s[90:91]
	s_cbranch_execnz .LBB2_8839
.LBB2_8880:                             ;   in Loop: Header=BB2_8767 Depth=2
	s_andn2_saveexec_b64 s[26:27], s[90:91]
	s_cbranch_execz .LBB2_8899
.LBB2_8881:                             ;   in Loop: Header=BB2_8767 Depth=2
	s_and_saveexec_b64 s[90:91], s[58:59]
	s_xor_b64 s[90:91], exec, s[90:91]
	s_cbranch_execz .LBB2_8896
; %bb.8882:                             ;   in Loop: Header=BB2_8767 Depth=2
	s_and_saveexec_b64 s[92:93], s[6:7]
	s_cbranch_execz .LBB2_8895
; %bb.8883:                             ;   in Loop: Header=BB2_8767 Depth=2
	s_mov_b64 s[30:31], exec
	v_mbcnt_lo_u32_b32 v6, s30, 0
	v_mbcnt_hi_u32_b32 v6, s31, v6
	v_cmp_eq_u32_e32 vcc, 0, v6
	;;#ASMSTART
	s_waitcnt lgkmcnt(0) vmcnt(0)
	;;#ASMEND
	s_and_saveexec_b64 s[94:95], vcc
	s_cbranch_execz .LBB2_8885
; %bb.8884:                             ;   in Loop: Header=BB2_8767 Depth=2
	s_bcnt1_i32_b64 s45, s[30:31]
	v_mov_b32_e32 v6, s45
	v_mov_b32_e32 v7, v29
	s_waitcnt lgkmcnt(0)
	ds_add_u64 v0, v[6:7]
	s_trap 2
.LBB2_8885:                             ;   in Loop: Header=BB2_8767 Depth=2
	s_or_b64 exec, exec, s[94:95]
	s_trap 2
	ds_read_b64 v[6:7], v0
	s_waitcnt lgkmcnt(0)
	v_add_co_u32_e32 v12, vcc, v12, v14
	v_addc_co_u32_e32 v13, vcc, 0, v13, vcc
	v_cmp_lt_u64_e32 vcc, v[6:7], v[12:13]
	s_and_saveexec_b64 s[94:95], vcc
	s_cbranch_execz .LBB2_8894
; %bb.8886:                             ;   in Loop: Header=BB2_8767 Depth=2
	s_mov_b32 s45, 0
	s_mov_b64 s[30:31], 0
                                        ; implicit-def: $sgpr34_sgpr35
                                        ; implicit-def: $sgpr36_sgpr37
	s_branch .LBB2_8888
.LBB2_8887:                             ;   in Loop: Header=BB2_8888 Depth=3
	s_or_b64 exec, exec, s[48:49]
	s_and_b64 vcc, exec, vcc
	s_or_b64 s[30:31], vcc, s[30:31]
	s_andn2_b64 vcc, s[34:35], exec
	s_and_b64 s[34:35], s[36:37], exec
	s_or_b64 s[34:35], vcc, s[34:35]
	s_andn2_b64 exec, exec, s[30:31]
	s_cbranch_execz .LBB2_8892
.LBB2_8888:                             ;   Parent Loop BB2_47 Depth=1
                                        ;     Parent Loop BB2_8767 Depth=2
                                        ; =>    This Inner Loop Header: Depth=3
	s_add_i32 s45, s45, 1
	s_cmpk_lg_i32 s45, 0x2710
	s_cselect_b64 s[38:39], -1, 0
	s_and_b64 vcc, exec, s[38:39]
	s_cbranch_vccz .LBB2_8890
; %bb.8889:                             ;   in Loop: Header=BB2_8888 Depth=3
	s_mov_b64 vcc, -1
	s_or_b64 s[36:37], s[36:37], exec
	s_and_saveexec_b64 s[48:49], s[38:39]
	s_cbranch_execz .LBB2_8887
	s_branch .LBB2_8891
.LBB2_8890:                             ;   in Loop: Header=BB2_8888 Depth=3
	s_trap 2
	ds_read_b64 v[6:7], v0
	s_andn2_b64 s[38:39], s[38:39], exec
	s_mov_b32 s45, 0
	s_waitcnt vmcnt(0) lgkmcnt(0)
	flat_load_dword v6, v[6:7] glc
	s_waitcnt vmcnt(0) lgkmcnt(0)
	buffer_wbinvl1_vol
	v_cmp_eq_u32_e32 vcc, 0, v6
	s_and_b64 vcc, vcc, exec
	s_or_b64 s[38:39], s[38:39], vcc
	s_mov_b64 vcc, -1
	s_or_b64 s[36:37], s[36:37], exec
	s_and_saveexec_b64 s[48:49], s[38:39]
	s_cbranch_execz .LBB2_8887
.LBB2_8891:                             ;   in Loop: Header=BB2_8888 Depth=3
	s_sleep 1
	s_trap 2
	ds_read_b64 v[6:7], v0
	s_waitcnt lgkmcnt(0)
	s_andn2_b64 s[36:37], s[36:37], exec
	v_cmp_ge_u64_e32 vcc, v[6:7], v[12:13]
	s_orn2_b64 vcc, vcc, exec
	s_branch .LBB2_8887
.LBB2_8892:                             ;   in Loop: Header=BB2_8767 Depth=2
	s_or_b64 exec, exec, s[30:31]
	s_and_saveexec_b64 vcc, s[34:35]
	s_xor_b64 vcc, exec, vcc
	s_cbranch_execz .LBB2_8894
; %bb.8893:                             ;   in Loop: Header=BB2_8767 Depth=2
	v_mov_b32_e32 v6, 1
	ds_write_b32 v0, v6
	s_trap 2
.LBB2_8894:                             ;   in Loop: Header=BB2_8767 Depth=2
	s_or_b64 exec, exec, s[94:95]
	;;#ASMSTART
	s_wakeup
	;;#ASMEND
.LBB2_8895:                             ;   in Loop: Header=BB2_8767 Depth=2
	s_or_b64 exec, exec, s[92:93]
.LBB2_8896:                             ;   in Loop: Header=BB2_8767 Depth=2
	s_andn2_saveexec_b64 s[90:91], s[90:91]
	s_cbranch_execz .LBB2_8898
; %bb.8897:                             ;   in Loop: Header=BB2_8767 Depth=2
	;;#ASMSTART
	s_waitcnt lgkmcnt(0) vmcnt(0)
	;;#ASMEND
	s_waitcnt vmcnt(0) lgkmcnt(0)
	s_barrier
.LBB2_8898:                             ;   in Loop: Header=BB2_8767 Depth=2
	s_or_b64 exec, exec, s[90:91]
.LBB2_8899:                             ;   in Loop: Header=BB2_8767 Depth=2
	s_or_b64 exec, exec, s[26:27]
	v_and_b32_e32 v6, 32, v61
	v_cmp_ne_u32_e32 vcc, 0, v6
	s_and_saveexec_b64 s[26:27], vcc
	s_cbranch_execz .LBB2_8766
; %bb.8900:                             ;   in Loop: Header=BB2_8767 Depth=2
	v_add_co_u32_e32 v38, vcc, 2, v38
	v_addc_co_u32_e32 v39, vcc, 0, v39, vcc
	flat_store_dwordx2 v[20:21], v[38:39]
	s_branch .LBB2_8766
.LBB2_8901:                             ;   in Loop: Header=BB2_47 Depth=1
	s_or_b64 exec, exec, s[40:41]
.LBB2_8902:                             ;   in Loop: Header=BB2_47 Depth=1
	s_or_b64 exec, exec, s[28:29]
	v_cmp_gt_i32_e32 vcc, 2, v6
	s_and_saveexec_b64 s[28:29], vcc
	s_cbranch_execnz .LBB2_8903
; %bb.9015:                             ;   in Loop: Header=BB2_47 Depth=1
	s_getpc_b64 s[98:99]
.Lpost_getpc3:
	s_add_u32 s98, s98, (.LBB2_46-.Lpost_getpc3)&4294967295
	s_addc_u32 s99, s99, (.LBB2_46-.Lpost_getpc3)>>32
	s_setpc_b64 s[98:99]
.LBB2_8903:                             ;   in Loop: Header=BB2_47 Depth=1
	v_cmp_eq_u32_e64 s[42:43], 0, v6
	s_mov_b64 s[40:41], 0
	s_branch .LBB2_8905
.LBB2_8904:                             ;   in Loop: Header=BB2_8905 Depth=2
	s_or_b64 exec, exec, s[26:27]
	v_add_u32_e32 v2, v1, v2
	s_mov_b64 s[42:43], 0
	s_andn2_b64 exec, exec, s[40:41]
	s_cbranch_execnz .LBB2_8905
; %bb.9017:                             ;   in Loop: Header=BB2_47 Depth=1
	s_getpc_b64 s[98:99]
.Lpost_getpc4:
	s_add_u32 s98, s98, (.LBB2_45-.Lpost_getpc4)&4294967295
	s_addc_u32 s99, s99, (.LBB2_45-.Lpost_getpc4)>>32
	s_setpc_b64 s[98:99]
.LBB2_8905:                             ;   Parent Loop BB2_47 Depth=1
                                        ; =>  This Loop Header: Depth=2
                                        ;       Child Loop BB2_8911 Depth 3
                                        ;       Child Loop BB2_8935 Depth 3
	;; [unrolled: 1-line block ×3, first 2 shown]
	v_and_b32_e32 v3, 4, v61
	v_cmp_ne_u32_e32 vcc, 0, v3
	s_and_saveexec_b64 s[90:91], vcc
	s_cbranch_execz .LBB2_8927
; %bb.8906:                             ;   in Loop: Header=BB2_8905 Depth=2
	v_add_co_u32_e32 v8, vcc, 2, v38
	v_addc_co_u32_e32 v9, vcc, 0, v39, vcc
	s_waitcnt lgkmcnt(0)
	v_cmp_lt_u64_e32 vcc, v[26:27], v[8:9]
	s_and_saveexec_b64 s[92:93], vcc
	s_cbranch_execz .LBB2_8918
; %bb.8907:                             ;   in Loop: Header=BB2_8905 Depth=2
	v_and_b32_e32 v3, 64, v61
	s_mov_b32 s44, 0
	v_cmp_eq_u32_e32 vcc, 0, v3
	s_mov_b64 s[94:95], 0
                                        ; implicit-def: $sgpr30_sgpr31
                                        ; implicit-def: $sgpr34_sgpr35
                                        ; implicit-def: $sgpr36_sgpr37
	s_branch .LBB2_8911
.LBB2_8908:                             ;   in Loop: Header=BB2_8911 Depth=3
	s_waitcnt vmcnt(0) lgkmcnt(0)
	v_cmp_ge_u64_e64 s[26:27], v[26:27], v[8:9]
	s_or_b64 s[50:51], s[50:51], exec
	s_orn2_b64 s[48:49], s[26:27], exec
.LBB2_8909:                             ;   in Loop: Header=BB2_8911 Depth=3
	s_or_b64 exec, exec, s[54:55]
	s_andn2_b64 s[26:27], s[36:37], exec
	s_and_b64 s[36:37], s[50:51], exec
	s_or_b64 s[36:37], s[26:27], s[36:37]
	s_andn2_b64 s[26:27], s[34:35], exec
	s_and_b64 s[34:35], s[48:49], exec
	s_or_b64 s[34:35], s[26:27], s[34:35]
.LBB2_8910:                             ;   in Loop: Header=BB2_8911 Depth=3
	s_or_b64 exec, exec, s[38:39]
	s_and_b64 s[26:27], exec, s[34:35]
	s_or_b64 s[94:95], s[26:27], s[94:95]
	s_andn2_b64 s[26:27], s[30:31], exec
	s_and_b64 s[30:31], s[36:37], exec
	s_or_b64 s[30:31], s[26:27], s[30:31]
	s_andn2_b64 exec, exec, s[94:95]
	s_cbranch_execz .LBB2_8915
.LBB2_8911:                             ;   Parent Loop BB2_47 Depth=1
                                        ;     Parent Loop BB2_8905 Depth=2
                                        ; =>    This Inner Loop Header: Depth=3
	s_sleep 1
	s_waitcnt vmcnt(0) lgkmcnt(0)
	flat_load_dwordx2 v[26:27], v[20:21] glc
	s_or_b64 s[36:37], s[36:37], exec
	s_or_b64 s[34:35], s[34:35], exec
                                        ; implicit-def: $vgpr3
	s_and_saveexec_b64 s[38:39], vcc
	s_cbranch_execz .LBB2_8910
; %bb.8912:                             ;   in Loop: Header=BB2_8911 Depth=3
	s_cmpk_lt_i32 s44, 0x270f
	s_cselect_b64 s[52:53], -1, 0
	s_cmpk_gt_i32 s44, 0x270e
	s_mov_b64 s[48:49], -1
	s_cbranch_scc0 .LBB2_8914
; %bb.8913:                             ;   in Loop: Header=BB2_8911 Depth=3
	s_trap 2
	ds_read_b64 v[5:6], v0
	s_andn2_b64 s[52:53], s[52:53], exec
	s_mov_b32 s44, 0
	s_mov_b64 s[50:51], 0
	s_waitcnt vmcnt(0) lgkmcnt(0)
	flat_load_dword v3, v[5:6] glc
	s_waitcnt vmcnt(0) lgkmcnt(0)
	buffer_wbinvl1_vol
	v_cmp_eq_u32_e64 s[26:27], 0, v3
	s_and_b64 s[26:27], s[26:27], exec
	s_or_b64 s[52:53], s[52:53], s[26:27]
	s_and_saveexec_b64 s[54:55], s[52:53]
	s_cbranch_execz .LBB2_8909
	s_branch .LBB2_8908
.LBB2_8914:                             ;   in Loop: Header=BB2_8911 Depth=3
	s_add_i32 s44, s44, 1
	s_mov_b64 s[50:51], -1
                                        ; implicit-def: $vgpr3
	s_and_saveexec_b64 s[54:55], s[52:53]
	s_cbranch_execz .LBB2_8909
	s_branch .LBB2_8908
.LBB2_8915:                             ;   in Loop: Header=BB2_8905 Depth=2
	s_or_b64 exec, exec, s[94:95]
	s_xor_b64 s[26:27], s[30:31], -1
	s_and_saveexec_b64 s[44:45], s[26:27]
	s_xor_b64 s[26:27], exec, s[44:45]
	s_cbranch_execz .LBB2_8917
; %bb.8916:                             ;   in Loop: Header=BB2_8905 Depth=2
	v_or_b32_e32 v61, 64, v61
	s_waitcnt lgkmcnt(0)
	ds_write_b32 v0, v3
	s_trap 2
.LBB2_8917:                             ;   in Loop: Header=BB2_8905 Depth=2
	s_or_b64 exec, exec, s[26:27]
.LBB2_8918:                             ;   in Loop: Header=BB2_8905 Depth=2
	s_or_b64 exec, exec, s[92:93]
	v_and_b32_e32 v3, 0x100, v61
	v_cmp_ne_u32_e32 vcc, 0, v3
	v_and_b32_e32 v3, 7, v38
	s_mov_b64 s[26:27], -1
	;;#ASMSTART
	s_wakeup
	;;#ASMEND
                                        ; implicit-def: $vgpr10_vgpr11
	s_and_saveexec_b64 s[92:93], vcc
	s_cbranch_execz .LBB2_8922
; %bb.8919:                             ;   in Loop: Header=BB2_8905 Depth=2
	buffer_load_dword v22, off, s[0:3], s33 offset:80 ; 4-byte Folded Reload
	buffer_load_dword v23, off, s[0:3], s33 offset:84 ; 4-byte Folded Reload
	;; [unrolled: 1-line block ×4, first 2 shown]
                                        ; implicit-def: $vgpr10_vgpr11
	s_waitcnt vmcnt(0)
	v_mad_u64_u32 v[38:39], s[26:27], v3, 24, v[22:23]
	flat_load_dword v5, v[38:39]
	s_waitcnt vmcnt(0) lgkmcnt(0)
	v_cmp_ne_u32_e32 vcc, 1, v5
	v_cmp_eq_u32_e64 s[26:27], 1, v5
	s_and_saveexec_b64 s[94:95], s[26:27]
	s_cbranch_execz .LBB2_8921
; %bb.8920:                             ;   in Loop: Header=BB2_8905 Depth=2
	flat_load_dword v10, v[38:39] offset:4 glc
	s_waitcnt vmcnt(0) lgkmcnt(0)
	v_ashrrev_i32_e32 v11, 31, v10
.LBB2_8921:                             ;   in Loop: Header=BB2_8905 Depth=2
	s_or_b64 exec, exec, s[94:95]
	s_orn2_b64 s[26:27], vcc, exec
.LBB2_8922:                             ;   in Loop: Header=BB2_8905 Depth=2
	s_or_b64 exec, exec, s[92:93]
	s_and_saveexec_b64 s[92:93], s[26:27]
	s_cbranch_execz .LBB2_8924
; %bb.8923:                             ;   in Loop: Header=BB2_8905 Depth=2
	buffer_load_dword v5, off, s[0:3], s33 offset:104 ; 4-byte Folded Reload
	s_waitcnt vmcnt(0)
	v_mad_i64_i32 v[10:11], s[26:27], v3, v5, 0
.LBB2_8924:                             ;   in Loop: Header=BB2_8905 Depth=2
	s_or_b64 exec, exec, s[92:93]
	buffer_load_dword v5, off, s[0:3], s33 offset:72 ; 4-byte Folded Reload
	buffer_load_dword v6, off, s[0:3], s33 offset:76 ; 4-byte Folded Reload
	v_and_b32_e32 v3, 0x2000, v61
	s_waitcnt vmcnt(0)
	v_add_co_u32_e32 v5, vcc, v5, v10
	v_addc_co_u32_e32 v6, vcc, v6, v11, vcc
	v_cmp_ne_u32_e32 vcc, 0, v3
	ds_write_b64 v0, v[5:6] offset:720
	s_and_saveexec_b64 s[26:27], vcc
	s_cbranch_execz .LBB2_8926
; %bb.8925:                             ;   in Loop: Header=BB2_8905 Depth=2
	ds_read_b64 v[5:6], v0 offset:872
	s_waitcnt lgkmcnt(0)
	v_add_co_u32_e32 v5, vcc, 1, v5
	v_addc_co_u32_e32 v6, vcc, 0, v6, vcc
	ds_write_b64 v0, v[5:6] offset:872
.LBB2_8926:                             ;   in Loop: Header=BB2_8905 Depth=2
	s_or_b64 exec, exec, s[26:27]
	v_mov_b32_e32 v39, v9
	v_mov_b32_e32 v38, v8
.LBB2_8927:                             ;   in Loop: Header=BB2_8905 Depth=2
	s_or_b64 exec, exec, s[90:91]
	s_xor_b64 s[26:27], s[42:43], -1
	s_and_b64 s[26:27], exec, s[26:27]
	s_or_b64 s[40:41], s[26:27], s[40:41]
	s_and_saveexec_b64 s[26:27], s[12:13]
	s_cbranch_execz .LBB2_8946
; %bb.8928:                             ;   in Loop: Header=BB2_8905 Depth=2
	s_and_saveexec_b64 s[42:43], s[58:59]
	s_xor_b64 s[42:43], exec, s[42:43]
	s_cbranch_execz .LBB2_8943
; %bb.8929:                             ;   in Loop: Header=BB2_8905 Depth=2
	s_and_saveexec_b64 s[90:91], s[6:7]
	s_cbranch_execz .LBB2_8942
; %bb.8930:                             ;   in Loop: Header=BB2_8905 Depth=2
	s_mov_b64 s[94:95], exec
	v_mbcnt_lo_u32_b32 v3, s94, 0
	v_mbcnt_hi_u32_b32 v3, s95, v3
	v_cmp_eq_u32_e32 vcc, 0, v3
	s_waitcnt vmcnt(0) lgkmcnt(0)
	buffer_wbinvl1_vol
	s_and_saveexec_b64 s[92:93], vcc
	s_cbranch_execz .LBB2_8932
; %bb.8931:                             ;   in Loop: Header=BB2_8905 Depth=2
	s_bcnt1_i32_b64 s44, s[94:95]
	v_mov_b32_e32 v5, s44
	v_mov_b32_e32 v6, v29
	ds_add_u64 v0, v[5:6]
	s_trap 2
.LBB2_8932:                             ;   in Loop: Header=BB2_8905 Depth=2
	s_or_b64 exec, exec, s[92:93]
	s_trap 2
	ds_read_b64 v[5:6], v0
	s_waitcnt lgkmcnt(0)
	v_add_co_u32_e32 v12, vcc, v12, v14
	v_addc_co_u32_e32 v13, vcc, 0, v13, vcc
	v_cmp_lt_u64_e32 vcc, v[5:6], v[12:13]
	s_and_saveexec_b64 s[92:93], vcc
	s_cbranch_execz .LBB2_8941
; %bb.8933:                             ;   in Loop: Header=BB2_8905 Depth=2
	s_mov_b32 s44, 0
	s_mov_b64 s[94:95], 0
                                        ; implicit-def: $sgpr30_sgpr31
                                        ; implicit-def: $sgpr34_sgpr35
	s_branch .LBB2_8935
.LBB2_8934:                             ;   in Loop: Header=BB2_8935 Depth=3
	s_or_b64 exec, exec, s[38:39]
	s_and_b64 vcc, exec, vcc
	s_or_b64 s[94:95], vcc, s[94:95]
	s_andn2_b64 vcc, s[30:31], exec
	s_and_b64 s[30:31], s[34:35], exec
	s_or_b64 s[30:31], vcc, s[30:31]
	s_andn2_b64 exec, exec, s[94:95]
	s_cbranch_execz .LBB2_8939
.LBB2_8935:                             ;   Parent Loop BB2_47 Depth=1
                                        ;     Parent Loop BB2_8905 Depth=2
                                        ; =>    This Inner Loop Header: Depth=3
	s_add_i32 s44, s44, 1
	s_cmpk_lg_i32 s44, 0x2710
	s_cselect_b64 s[36:37], -1, 0
	s_and_b64 vcc, exec, s[36:37]
	s_cbranch_vccz .LBB2_8937
; %bb.8936:                             ;   in Loop: Header=BB2_8935 Depth=3
	s_mov_b64 vcc, -1
	s_or_b64 s[34:35], s[34:35], exec
	s_and_saveexec_b64 s[38:39], s[36:37]
	s_cbranch_execz .LBB2_8934
	s_branch .LBB2_8938
.LBB2_8937:                             ;   in Loop: Header=BB2_8935 Depth=3
	s_trap 2
	ds_read_b64 v[5:6], v0
	s_andn2_b64 s[36:37], s[36:37], exec
	s_mov_b32 s44, 0
	s_waitcnt lgkmcnt(0)
	flat_load_dword v3, v[5:6] glc
	s_waitcnt vmcnt(0) lgkmcnt(0)
	buffer_wbinvl1_vol
	v_cmp_eq_u32_e32 vcc, 0, v3
	s_and_b64 vcc, vcc, exec
	s_or_b64 s[36:37], s[36:37], vcc
	s_mov_b64 vcc, -1
	s_or_b64 s[34:35], s[34:35], exec
	s_and_saveexec_b64 s[38:39], s[36:37]
	s_cbranch_execz .LBB2_8934
.LBB2_8938:                             ;   in Loop: Header=BB2_8935 Depth=3
	s_sleep 1
	s_trap 2
	ds_read_b64 v[5:6], v0
	s_waitcnt lgkmcnt(0)
	s_andn2_b64 s[34:35], s[34:35], exec
	v_cmp_ge_u64_e32 vcc, v[5:6], v[12:13]
	s_orn2_b64 vcc, vcc, exec
	s_branch .LBB2_8934
.LBB2_8939:                             ;   in Loop: Header=BB2_8905 Depth=2
	s_or_b64 exec, exec, s[94:95]
	s_and_saveexec_b64 s[44:45], s[30:31]
	s_xor_b64 s[44:45], exec, s[44:45]
	s_cbranch_execz .LBB2_8941
; %bb.8940:                             ;   in Loop: Header=BB2_8905 Depth=2
	v_mov_b32_e32 v3, 1
	ds_write_b32 v0, v3
	s_trap 2
.LBB2_8941:                             ;   in Loop: Header=BB2_8905 Depth=2
	s_or_b64 exec, exec, s[92:93]
	;;#ASMSTART
	s_wakeup
	;;#ASMEND
.LBB2_8942:                             ;   in Loop: Header=BB2_8905 Depth=2
	s_or_b64 exec, exec, s[90:91]
.LBB2_8943:                             ;   in Loop: Header=BB2_8905 Depth=2
	s_andn2_saveexec_b64 s[42:43], s[42:43]
	s_cbranch_execz .LBB2_8945
; %bb.8944:                             ;   in Loop: Header=BB2_8905 Depth=2
	s_waitcnt vmcnt(0) lgkmcnt(0)
	buffer_wbinvl1_vol
	s_barrier
.LBB2_8945:                             ;   in Loop: Header=BB2_8905 Depth=2
	s_or_b64 exec, exec, s[42:43]
.LBB2_8946:                             ;   in Loop: Header=BB2_8905 Depth=2
	s_or_b64 exec, exec, s[26:27]
	v_sub_u32_e32 v3, v0, v2
	v_min_i32_e32 v1, v1, v3
	s_and_saveexec_b64 s[26:27], s[18:19]
	s_xor_b64 s[26:27], exec, s[26:27]
	s_cbranch_execz .LBB2_8950
; %bb.8947:                             ;   in Loop: Header=BB2_8905 Depth=2
	s_trap 2
	ds_read_b32 v3, v0
	v_cmp_lt_i32_e32 vcc, 0, v1
	s_waitcnt lgkmcnt(0)
	v_readfirstlane_b32 s42, v3
	s_cmp_eq_u32 s42, 0
	s_cselect_b64 s[42:43], -1, 0
	v_and_b32_e32 v3, 16, v61
	s_and_b64 s[42:43], vcc, s[42:43]
	v_cmp_ne_u32_e32 vcc, 0, v3
	s_and_b64 s[44:45], vcc, s[42:43]
	s_and_saveexec_b64 s[42:43], s[44:45]
	s_cbranch_execz .LBB2_8949
; %bb.8948:                             ;   in Loop: Header=BB2_8905 Depth=2
	s_waitcnt vmcnt(0)
	buffer_wbinvl1_vol
.LBB2_8949:                             ;   in Loop: Header=BB2_8905 Depth=2
	s_or_b64 exec, exec, s[42:43]
.LBB2_8950:                             ;   in Loop: Header=BB2_8905 Depth=2
	s_andn2_saveexec_b64 s[26:27], s[26:27]
	s_cbranch_execz .LBB2_8969
; %bb.8951:                             ;   in Loop: Header=BB2_8905 Depth=2
	s_and_saveexec_b64 s[42:43], s[58:59]
	s_xor_b64 s[42:43], exec, s[42:43]
	s_cbranch_execz .LBB2_8966
; %bb.8952:                             ;   in Loop: Header=BB2_8905 Depth=2
	s_and_saveexec_b64 s[90:91], s[6:7]
	s_cbranch_execz .LBB2_8965
; %bb.8953:                             ;   in Loop: Header=BB2_8905 Depth=2
	s_mov_b64 s[94:95], exec
	v_mbcnt_lo_u32_b32 v3, s94, 0
	v_mbcnt_hi_u32_b32 v3, s95, v3
	v_cmp_eq_u32_e32 vcc, 0, v3
	;;#ASMSTART
	s_waitcnt lgkmcnt(0) vmcnt(0)
	;;#ASMEND
	s_and_saveexec_b64 s[92:93], vcc
	s_cbranch_execz .LBB2_8955
; %bb.8954:                             ;   in Loop: Header=BB2_8905 Depth=2
	s_bcnt1_i32_b64 s44, s[94:95]
	v_mov_b32_e32 v5, s44
	v_mov_b32_e32 v6, v29
	s_waitcnt lgkmcnt(0)
	ds_add_u64 v0, v[5:6]
	s_trap 2
.LBB2_8955:                             ;   in Loop: Header=BB2_8905 Depth=2
	s_or_b64 exec, exec, s[92:93]
	s_trap 2
	ds_read_b64 v[5:6], v0
	s_waitcnt lgkmcnt(0)
	v_add_co_u32_e32 v12, vcc, v12, v14
	v_addc_co_u32_e32 v13, vcc, 0, v13, vcc
	v_cmp_lt_u64_e32 vcc, v[5:6], v[12:13]
	s_and_saveexec_b64 s[92:93], vcc
	s_cbranch_execz .LBB2_8964
; %bb.8956:                             ;   in Loop: Header=BB2_8905 Depth=2
	s_mov_b32 s44, 0
	s_mov_b64 s[94:95], 0
                                        ; implicit-def: $sgpr30_sgpr31
                                        ; implicit-def: $sgpr34_sgpr35
	s_branch .LBB2_8958
.LBB2_8957:                             ;   in Loop: Header=BB2_8958 Depth=3
	s_or_b64 exec, exec, s[38:39]
	s_and_b64 vcc, exec, vcc
	s_or_b64 s[94:95], vcc, s[94:95]
	s_andn2_b64 vcc, s[30:31], exec
	s_and_b64 s[30:31], s[34:35], exec
	s_or_b64 s[30:31], vcc, s[30:31]
	s_andn2_b64 exec, exec, s[94:95]
	s_cbranch_execz .LBB2_8962
.LBB2_8958:                             ;   Parent Loop BB2_47 Depth=1
                                        ;     Parent Loop BB2_8905 Depth=2
                                        ; =>    This Inner Loop Header: Depth=3
	s_add_i32 s44, s44, 1
	s_cmpk_lg_i32 s44, 0x2710
	s_cselect_b64 s[36:37], -1, 0
	s_and_b64 vcc, exec, s[36:37]
	s_cbranch_vccz .LBB2_8960
; %bb.8959:                             ;   in Loop: Header=BB2_8958 Depth=3
	s_mov_b64 vcc, -1
	s_or_b64 s[34:35], s[34:35], exec
	s_and_saveexec_b64 s[38:39], s[36:37]
	s_cbranch_execz .LBB2_8957
	s_branch .LBB2_8961
.LBB2_8960:                             ;   in Loop: Header=BB2_8958 Depth=3
	s_trap 2
	ds_read_b64 v[5:6], v0
	s_andn2_b64 s[36:37], s[36:37], exec
	s_mov_b32 s44, 0
	s_waitcnt vmcnt(0) lgkmcnt(0)
	flat_load_dword v3, v[5:6] glc
	s_waitcnt vmcnt(0) lgkmcnt(0)
	buffer_wbinvl1_vol
	v_cmp_eq_u32_e32 vcc, 0, v3
	s_and_b64 vcc, vcc, exec
	s_or_b64 s[36:37], s[36:37], vcc
	s_mov_b64 vcc, -1
	s_or_b64 s[34:35], s[34:35], exec
	s_and_saveexec_b64 s[38:39], s[36:37]
	s_cbranch_execz .LBB2_8957
.LBB2_8961:                             ;   in Loop: Header=BB2_8958 Depth=3
	s_sleep 1
	s_trap 2
	ds_read_b64 v[5:6], v0
	s_waitcnt lgkmcnt(0)
	s_andn2_b64 s[34:35], s[34:35], exec
	v_cmp_ge_u64_e32 vcc, v[5:6], v[12:13]
	s_orn2_b64 vcc, vcc, exec
	s_branch .LBB2_8957
.LBB2_8962:                             ;   in Loop: Header=BB2_8905 Depth=2
	s_or_b64 exec, exec, s[94:95]
	s_and_saveexec_b64 s[44:45], s[30:31]
	s_xor_b64 s[44:45], exec, s[44:45]
	s_cbranch_execz .LBB2_8964
; %bb.8963:                             ;   in Loop: Header=BB2_8905 Depth=2
	v_mov_b32_e32 v3, 1
	ds_write_b32 v0, v3
	s_trap 2
.LBB2_8964:                             ;   in Loop: Header=BB2_8905 Depth=2
	s_or_b64 exec, exec, s[92:93]
	;;#ASMSTART
	s_wakeup
	;;#ASMEND
.LBB2_8965:                             ;   in Loop: Header=BB2_8905 Depth=2
	s_or_b64 exec, exec, s[90:91]
.LBB2_8966:                             ;   in Loop: Header=BB2_8905 Depth=2
	s_andn2_saveexec_b64 s[42:43], s[42:43]
	s_cbranch_execz .LBB2_8968
; %bb.8967:                             ;   in Loop: Header=BB2_8905 Depth=2
	;;#ASMSTART
	s_waitcnt lgkmcnt(0) vmcnt(0)
	;;#ASMEND
	s_waitcnt vmcnt(0) lgkmcnt(0)
	s_barrier
.LBB2_8968:                             ;   in Loop: Header=BB2_8905 Depth=2
	s_or_b64 exec, exec, s[42:43]
.LBB2_8969:                             ;   in Loop: Header=BB2_8905 Depth=2
	s_or_b64 exec, exec, s[26:27]
	v_and_b32_e32 v3, 32, v61
	v_cmp_ne_u32_e32 vcc, 0, v3
	s_and_saveexec_b64 s[26:27], vcc
	s_cbranch_execz .LBB2_8904
; %bb.8970:                             ;   in Loop: Header=BB2_8905 Depth=2
	v_add_co_u32_e32 v38, vcc, 2, v38
	v_addc_co_u32_e32 v39, vcc, 0, v39, vcc
	flat_store_dwordx2 v[20:21], v[38:39]
	s_branch .LBB2_8904
.LBB2_8971:
	s_or_b64 exec, exec, s[60:61]
	buffer_load_dword v16, off, s[0:3], s33 offset:284 ; 4-byte Folded Reload
	buffer_load_dword v31, off, s[0:3], s33 offset:288 ; 4-byte Folded Reload
	;; [unrolled: 1-line block ×3, first 2 shown]
	v_readlane_b32 s28, v62, 2
	v_readlane_b32 s29, v62, 3
.LBB2_8972:
	v_readlane_b32 s4, v62, 0
	v_readlane_b32 s5, v62, 1
	s_or_b64 exec, exec, s[4:5]
	v_and_b32_e32 v0, 0x800, v61
	v_cmp_eq_u32_e32 vcc, 0, v0
	s_and_saveexec_b64 s[6:7], vcc
	s_cbranch_execz .LBB2_9005
; %bb.8973:
	v_and_b32_e32 v0, 48, v61
	v_cmp_ne_u32_e32 vcc, 0, v0
	s_and_saveexec_b64 s[4:5], vcc
	s_cbranch_execz .LBB2_8975
; %bb.8974:
	buffer_load_dword v0, off, s[0:3], s33 offset:276 ; 4-byte Folded Reload
	buffer_load_dword v1, off, s[0:3], s33 offset:280 ; 4-byte Folded Reload
	s_waitcnt vmcnt(0)
	flat_store_dwordx2 v[0:1], v[38:39] offset:104
.LBB2_8975:
	s_or_b64 exec, exec, s[4:5]
	s_movk_i32 s4, 0x88
	v_and_b32_e32 v0, 0x88, v61
	v_cmp_eq_u32_e32 vcc, s4, v0
	s_and_saveexec_b64 s[10:11], vcc
	s_cbranch_execz .LBB2_8985
; %bb.8976:
	buffer_load_dword v1, off, s[0:3], s33 offset:80 ; 4-byte Folded Reload
	buffer_load_dword v2, off, s[0:3], s33 offset:84 ; 4-byte Folded Reload
	;; [unrolled: 1-line block ×4, first 2 shown]
	v_add_u32_e32 v0, 6, v38
	v_and_b32_e32 v0, 7, v0
	s_waitcnt vmcnt(0)
	v_and_b32_e32 v4, 64, v61
	s_mov_b32 s22, 0
	v_mad_u64_u32 v[2:3], s[4:5], v0, 24, v[1:2]
	v_cmp_eq_u32_e64 s[4:5], 0, v4
	flat_load_dwordx2 v[0:1], v[2:3] offset:8 glc
	s_waitcnt vmcnt(0) lgkmcnt(0)
	v_cmp_ne_u64_e32 vcc, -1, v[0:1]
	s_and_b64 s[4:5], vcc, s[4:5]
	s_and_b64 exec, exec, s[4:5]
	s_cbranch_execz .LBB2_8985
; %bb.8977:
	s_mov_b64 s[4:5], 0
                                        ; implicit-def: $sgpr12_sgpr13
                                        ; implicit-def: $sgpr14_sgpr15
	s_branch .LBB2_8980
.LBB2_8978:                             ;   in Loop: Header=BB2_8980 Depth=1
	flat_load_dwordx2 v[4:5], v[2:3] offset:8 glc
	s_waitcnt vmcnt(0)
	s_andn2_b64 s[14:15], s[14:15], exec
	s_waitcnt lgkmcnt(0)
	v_cmp_eq_u64_e32 vcc, -1, v[4:5]
	s_orn2_b64 s[18:19], vcc, exec
.LBB2_8979:                             ;   in Loop: Header=BB2_8980 Depth=1
	s_or_b64 exec, exec, s[20:21]
	s_and_b64 s[16:17], exec, s[18:19]
	s_or_b64 s[4:5], s[16:17], s[4:5]
	s_andn2_b64 s[12:13], s[12:13], exec
	s_and_b64 s[16:17], s[14:15], exec
	s_or_b64 s[12:13], s[12:13], s[16:17]
	s_andn2_b64 exec, exec, s[4:5]
	s_cbranch_execz .LBB2_8983
.LBB2_8980:                             ; =>This Inner Loop Header: Depth=1
	s_cmpk_lt_i32 s22, 0x270f
	s_cselect_b64 s[16:17], -1, 0
	s_and_b64 vcc, exec, s[16:17]
	s_cbranch_vccnz .LBB2_8982
; %bb.8981:                             ;   in Loop: Header=BB2_8980 Depth=1
	s_trap 2
	ds_read_b64 v[0:1], v0
	s_andn2_b64 s[16:17], s[16:17], exec
	s_mov_b32 s22, 0
	s_waitcnt lgkmcnt(0)
	flat_load_dword v0, v[0:1] glc
	s_waitcnt vmcnt(0) lgkmcnt(0)
	buffer_wbinvl1_vol
	v_cmp_eq_u32_e32 vcc, 0, v0
	s_and_b64 s[18:19], vcc, exec
	s_or_b64 s[16:17], s[16:17], s[18:19]
	s_mov_b64 s[18:19], -1
	s_or_b64 s[14:15], s[14:15], exec
	s_and_saveexec_b64 s[20:21], s[16:17]
	s_cbranch_execz .LBB2_8979
	s_branch .LBB2_8978
.LBB2_8982:                             ;   in Loop: Header=BB2_8980 Depth=1
	s_add_i32 s22, s22, 1
                                        ; implicit-def: $vgpr0
	s_mov_b64 s[18:19], -1
	s_or_b64 s[14:15], s[14:15], exec
	s_and_saveexec_b64 s[20:21], s[16:17]
	s_cbranch_execz .LBB2_8979
	s_branch .LBB2_8978
.LBB2_8983:
	s_or_b64 exec, exec, s[4:5]
	s_and_saveexec_b64 s[4:5], s[12:13]
	s_xor_b64 s[4:5], exec, s[4:5]
	s_cbranch_execz .LBB2_8985
; %bb.8984:
	ds_write_b32 v0, v0
	s_trap 2
.LBB2_8985:
	s_or_b64 exec, exec, s[10:11]
	v_and_b32_e32 v0, 0x2000, v61
	v_cmp_ne_u32_e32 vcc, 0, v0
	s_and_saveexec_b64 s[4:5], vcc
	s_cbranch_execz .LBB2_8987
; %bb.8986:
	s_trap 2
	ds_read_b64 v[0:1], v0
	buffer_load_dword v2, off, s[0:3], s33 offset:296 ; 4-byte Folded Reload
	buffer_load_dword v3, off, s[0:3], s33 offset:300 ; 4-byte Folded Reload
	s_waitcnt vmcnt(0) lgkmcnt(0)
	flat_store_dwordx2 v[2:3], v[0:1] offset:16
.LBB2_8987:
	s_or_b64 exec, exec, s[4:5]
	s_waitcnt vmcnt(0)
	v_cmp_ne_u32_e32 vcc, 64, v16
	s_and_b64 exec, exec, vcc
	s_cbranch_execz .LBB2_9005
; %bb.8988:
	v_cmp_ne_u32_sdwa s[4:5], v16, v14 src0_sel:DWORD src1_sel:WORD_0
	s_and_saveexec_b64 s[10:11], s[4:5]
	s_xor_b64 s[4:5], exec, s[10:11]
	s_cbranch_execz .LBB2_9003
; %bb.8989:
	v_and_b32_e32 v0, 63, v31
	v_cmp_eq_u32_e32 vcc, 0, v0
	s_and_saveexec_b64 s[10:11], vcc
	s_cbranch_execz .LBB2_9002
; %bb.8990:
	s_mov_b64 s[14:15], exec
	v_mbcnt_lo_u32_b32 v0, s14, 0
	v_mbcnt_hi_u32_b32 v0, s15, v0
	v_cmp_eq_u32_e32 vcc, 0, v0
	s_waitcnt lgkmcnt(0)
	buffer_wbinvl1_vol
	s_and_saveexec_b64 s[12:13], vcc
	s_cbranch_execz .LBB2_8992
; %bb.8991:
	s_bcnt1_i32_b64 s14, s[14:15]
	v_mov_b32_e32 v0, s14
	v_mov_b32_e32 v1, 0
	ds_add_u64 v0, v[0:1]
	s_trap 2
.LBB2_8992:
	s_or_b64 exec, exec, s[12:13]
	v_lshrrev_b32_e32 v0, 6, v16
	s_trap 2
	ds_read_b64 v[2:3], v0
	s_waitcnt lgkmcnt(0)
	v_add_co_u32_e32 v0, vcc, v12, v0
	v_addc_co_u32_e32 v1, vcc, 0, v13, vcc
	v_cmp_lt_u64_e32 vcc, v[2:3], v[0:1]
	s_and_saveexec_b64 s[12:13], vcc
	s_cbranch_execz .LBB2_9001
; %bb.8993:
	s_mov_b32 s26, 0
	s_mov_b64 s[14:15], 0
                                        ; implicit-def: $sgpr16_sgpr17
                                        ; implicit-def: $sgpr18_sgpr19
	s_branch .LBB2_8995
.LBB2_8994:                             ;   in Loop: Header=BB2_8995 Depth=1
	s_or_b64 exec, exec, s[22:23]
	s_and_b64 s[20:21], exec, s[24:25]
	s_or_b64 s[14:15], s[20:21], s[14:15]
	s_andn2_b64 s[16:17], s[16:17], exec
	s_and_b64 s[20:21], s[18:19], exec
	s_or_b64 s[16:17], s[16:17], s[20:21]
	s_andn2_b64 exec, exec, s[14:15]
	s_cbranch_execz .LBB2_8999
.LBB2_8995:                             ; =>This Inner Loop Header: Depth=1
	s_add_i32 s26, s26, 1
	s_cmpk_lg_i32 s26, 0x2710
	s_cselect_b64 s[20:21], -1, 0
	s_and_b64 vcc, exec, s[20:21]
	s_cbranch_vccz .LBB2_8997
; %bb.8996:                             ;   in Loop: Header=BB2_8995 Depth=1
	s_mov_b64 s[24:25], -1
	s_or_b64 s[18:19], s[18:19], exec
	s_and_saveexec_b64 s[22:23], s[20:21]
	s_cbranch_execz .LBB2_8994
	s_branch .LBB2_8998
.LBB2_8997:                             ;   in Loop: Header=BB2_8995 Depth=1
	s_trap 2
	ds_read_b64 v[2:3], v0
	s_andn2_b64 s[20:21], s[20:21], exec
	s_mov_b32 s26, 0
	s_waitcnt lgkmcnt(0)
	flat_load_dword v2, v[2:3] glc
	s_waitcnt vmcnt(0) lgkmcnt(0)
	buffer_wbinvl1_vol
	v_cmp_eq_u32_e32 vcc, 0, v2
	s_and_b64 s[22:23], vcc, exec
	s_or_b64 s[20:21], s[20:21], s[22:23]
	s_mov_b64 s[24:25], -1
	s_or_b64 s[18:19], s[18:19], exec
	s_and_saveexec_b64 s[22:23], s[20:21]
	s_cbranch_execz .LBB2_8994
.LBB2_8998:                             ;   in Loop: Header=BB2_8995 Depth=1
	s_sleep 1
	s_trap 2
	ds_read_b64 v[2:3], v0
	s_waitcnt lgkmcnt(0)
	s_andn2_b64 s[18:19], s[18:19], exec
	v_cmp_ge_u64_e32 vcc, v[2:3], v[0:1]
	s_orn2_b64 s[24:25], vcc, exec
	s_branch .LBB2_8994
.LBB2_8999:
	s_or_b64 exec, exec, s[14:15]
	s_and_saveexec_b64 s[14:15], s[16:17]
	s_xor_b64 s[14:15], exec, s[14:15]
	s_cbranch_execz .LBB2_9001
; %bb.9000:
	v_mov_b32_e32 v0, 1
	ds_write_b32 v0, v0
	s_trap 2
.LBB2_9001:
	s_or_b64 exec, exec, s[12:13]
	;;#ASMSTART
	s_wakeup
	;;#ASMEND
.LBB2_9002:
	s_or_b64 exec, exec, s[10:11]
.LBB2_9003:
	s_andn2_saveexec_b64 s[4:5], s[4:5]
	s_cbranch_execz .LBB2_9005
; %bb.9004:
	s_waitcnt lgkmcnt(0)
	buffer_wbinvl1_vol
	s_barrier
.LBB2_9005:
	s_or_b64 exec, exec, s[6:7]
.LBB2_9006:
	s_andn2_saveexec_b64 s[26:27], s[28:29]
	s_cbranch_execz .LBB2_9008
; %bb.9007:
	s_getpc_b64 s[4:5]
	s_add_u32 s4, s4, __PRETTY_FUNCTION__._ZN10PrimitivesI14__hip_fp8_e4m313FuncPreMulSumIS0_E12FanSymmetricILi1EELi0E11ProtoSimpleILi2ELi2ELi0ELi1ELi0ELi0EELi0ELb0ELi0ELi0ELi0EEC2EiiPKiS9_PKvPvmhhhP15ncclDevWorkCollP14ncclDevWorkP2pii@rel32@lo+4
	s_addc_u32 s5, s5, __PRETTY_FUNCTION__._ZN10PrimitivesI14__hip_fp8_e4m313FuncPreMulSumIS0_E12FanSymmetricILi1EELi0E11ProtoSimpleILi2ELi2ELi0ELi1ELi0ELi0EELi0ELb0ELi0ELi0ELi0EEC2EiiPKiS9_PKvPvmhhhP15ncclDevWorkCollP14ncclDevWorkP2pii@rel32@hi+12
	s_getpc_b64 s[6:7]
	s_add_u32 s6, s6, __assert_fail@rel32@lo+4
	s_addc_u32 s7, s7, __assert_fail@rel32@hi+12
	v_mov_b32_e32 v0, s4
	v_mov_b32_e32 v1, s5
	s_swappc_b64 s[30:31], s[6:7]
	; divergent unreachable
.LBB2_9008:
	s_or_b64 exec, exec, s[26:27]
	buffer_load_dword v61, off, s[0:3], s33 ; 4-byte Folded Reload
	buffer_load_dword v60, off, s[0:3], s33 offset:4 ; 4-byte Folded Reload
	buffer_load_dword v59, off, s[0:3], s33 offset:8 ; 4-byte Folded Reload
	;; [unrolled: 1-line block ×13, first 2 shown]
	v_readlane_b32 s30, v63, 32
	v_readlane_b32 s31, v63, 33
	;; [unrolled: 1-line block ×34, first 2 shown]
	s_mov_b32 s32, s33
	v_readlane_b32 s4, v63, 34
	s_or_saveexec_b64 s[6:7], -1
	buffer_load_dword v63, off, s[0:3], s33 offset:304 ; 4-byte Folded Reload
	buffer_load_dword v62, off, s[0:3], s33 offset:308 ; 4-byte Folded Reload
	s_mov_b64 exec, s[6:7]
	s_mov_b32 s33, s4
	s_waitcnt vmcnt(0) lgkmcnt(0)
	s_setpc_b64 s[30:31]
.Lfunc_end2:
	.size	_ZN12_GLOBAL__N_17runRingI14__hip_fp8_e4m313FuncPreMulSumIS1_E11ProtoSimpleILi2ELi2ELi0ELi1ELi0ELi0EELi0ELi0ELi1ELi0EEEviiP15ncclDevWorkColl, .Lfunc_end2-_ZN12_GLOBAL__N_17runRingI14__hip_fp8_e4m313FuncPreMulSumIS1_E11ProtoSimpleILi2ELi2ELi0ELi1ELi0ELi0EELi0ELi0ELi1ELi0EEEviiP15ncclDevWorkColl
                                        ; -- End function
	.set .L_ZN12_GLOBAL__N_17runRingI14__hip_fp8_e4m313FuncPreMulSumIS1_E11ProtoSimpleILi2ELi2ELi0ELi1ELi0ELi0EELi0ELi0ELi1ELi0EEEviiP15ncclDevWorkColl.num_vgpr, max(64, .L__assert_fail.num_vgpr)
	.set .L_ZN12_GLOBAL__N_17runRingI14__hip_fp8_e4m313FuncPreMulSumIS1_E11ProtoSimpleILi2ELi2ELi0ELi1ELi0ELi0EELi0ELi0ELi1ELi0EEEviiP15ncclDevWorkColl.num_agpr, max(0, .L__assert_fail.num_agpr)
	.set .L_ZN12_GLOBAL__N_17runRingI14__hip_fp8_e4m313FuncPreMulSumIS1_E11ProtoSimpleILi2ELi2ELi0ELi1ELi0ELi0EELi0ELi0ELi1ELi0EEEviiP15ncclDevWorkColl.numbered_sgpr, max(100, .L__assert_fail.numbered_sgpr)
	.set .L_ZN12_GLOBAL__N_17runRingI14__hip_fp8_e4m313FuncPreMulSumIS1_E11ProtoSimpleILi2ELi2ELi0ELi1ELi0ELi0EELi0ELi0ELi1ELi0EEEviiP15ncclDevWorkColl.num_named_barrier, max(0, .L__assert_fail.num_named_barrier)
	.set .L_ZN12_GLOBAL__N_17runRingI14__hip_fp8_e4m313FuncPreMulSumIS1_E11ProtoSimpleILi2ELi2ELi0ELi1ELi0ELi0EELi0ELi0ELi1ELi0EEEviiP15ncclDevWorkColl.private_seg_size, 320+max(.L__assert_fail.private_seg_size)
	.set .L_ZN12_GLOBAL__N_17runRingI14__hip_fp8_e4m313FuncPreMulSumIS1_E11ProtoSimpleILi2ELi2ELi0ELi1ELi0ELi0EELi0ELi0ELi1ELi0EEEviiP15ncclDevWorkColl.uses_vcc, or(1, .L__assert_fail.uses_vcc)
	.set .L_ZN12_GLOBAL__N_17runRingI14__hip_fp8_e4m313FuncPreMulSumIS1_E11ProtoSimpleILi2ELi2ELi0ELi1ELi0ELi0EELi0ELi0ELi1ELi0EEEviiP15ncclDevWorkColl.uses_flat_scratch, or(0, .L__assert_fail.uses_flat_scratch)
	.set .L_ZN12_GLOBAL__N_17runRingI14__hip_fp8_e4m313FuncPreMulSumIS1_E11ProtoSimpleILi2ELi2ELi0ELi1ELi0ELi0EELi0ELi0ELi1ELi0EEEviiP15ncclDevWorkColl.has_dyn_sized_stack, or(0, .L__assert_fail.has_dyn_sized_stack)
	.set .L_ZN12_GLOBAL__N_17runRingI14__hip_fp8_e4m313FuncPreMulSumIS1_E11ProtoSimpleILi2ELi2ELi0ELi1ELi0ELi0EELi0ELi0ELi1ELi0EEEviiP15ncclDevWorkColl.has_recursion, or(1, .L__assert_fail.has_recursion)
	.set .L_ZN12_GLOBAL__N_17runRingI14__hip_fp8_e4m313FuncPreMulSumIS1_E11ProtoSimpleILi2ELi2ELi0ELi1ELi0ELi0EELi0ELi0ELi1ELi0EEEviiP15ncclDevWorkColl.has_indirect_call, or(0, .L__assert_fail.has_indirect_call)
	.section	.AMDGPU.csdata,"",@progbits
; Function info:
; codeLenInByte = 254464
; TotalNumSgprs: 104
; NumVgprs: 64
; ScratchSize: 384
; MemoryBound: 1
	.text
	.p2align	2                               ; -- Begin function _Z56ncclDevFunc_AllReduce_RING_SIMPLE_PreMulSum_f8e4m3_0_0_1v
	.type	_Z56ncclDevFunc_AllReduce_RING_SIMPLE_PreMulSum_f8e4m3_0_0_1v,@function
_Z56ncclDevFunc_AllReduce_RING_SIMPLE_PreMulSum_f8e4m3_0_0_1v: ; @_Z56ncclDevFunc_AllReduce_RING_SIMPLE_PreMulSum_f8e4m3_0_0_1v
; %bb.0:
	s_waitcnt vmcnt(0) expcnt(0) lgkmcnt(0)
	s_mov_b32 s4, s33
	s_mov_b32 s33, s32
	s_or_saveexec_b64 s[6:7], -1
	buffer_store_dword v43, off, s[0:3], s33 offset:20 ; 4-byte Folded Spill
	buffer_store_dword v44, off, s[0:3], s33 offset:24 ; 4-byte Folded Spill
	s_mov_b64 exec, s[6:7]
	v_writelane_b32 v44, s4, 38
	v_writelane_b32 v44, s100, 36
	;; [unrolled: 1-line block ×3, first 2 shown]
	s_addk_i32 s32, 0x800
	buffer_store_dword v40, off, s[0:3], s33 offset:12 ; 4-byte Folded Spill
	buffer_store_dword v41, off, s[0:3], s33 offset:8 ; 4-byte Folded Spill
	;; [unrolled: 1-line block ×3, first 2 shown]
	buffer_store_dword v62, off, s[0:3], s33 ; 4-byte Folded Spill
	v_writelane_b32 v44, s34, 0
	v_writelane_b32 v44, s35, 1
	;; [unrolled: 1-line block ×36, first 2 shown]
	s_trap 2
	ds_read_b32 v0, v0
	v_mov_b32_e32 v40, v31
                                        ; implicit-def: $vgpr43 : SGPR spill to VGPR lane
	v_and_b32_e32 v41, 0x3ff, v40
	v_writelane_b32 v43, s12, 0
	v_writelane_b32 v43, s8, 1
	s_waitcnt lgkmcnt(0)
	v_cmp_lt_i32_e32 vcc, v41, v0
	v_writelane_b32 v43, s9, 2
	s_and_saveexec_b64 s[4:5], vcc
	s_cbranch_execz .LBB3_5
; %bb.1:
	v_readlane_b32 s8, v43, 1
	v_readlane_b32 s9, v43, 2
	s_load_dword s6, s[8:9], 0x0
	v_readlane_b32 s7, v43, 0
	v_mov_b32_e32 v1, 0
	s_mov_b32 s10, 0
	v_mov_b32_e32 v4, v41
	s_waitcnt lgkmcnt(0)
	s_cmp_lt_u32 s7, s6
	s_cselect_b32 s6, 12, 18
	s_add_u32 s6, s8, s6
	s_addc_u32 s7, s9, 0
	global_load_ushort v1, v1, s[6:7]
	s_trap 2
	ds_read_b32 v2, v0
	s_mov_b64 s[6:7], 0
                                        ; implicit-def: $vgpr3
	s_waitcnt vmcnt(0) lgkmcnt(0)
	v_mul_lo_u32 v2, v2, v1
	s_branch .LBB3_3
.LBB3_2:                                ;   in Loop: Header=BB3_3 Depth=1
	s_or_b64 exec, exec, s[8:9]
	v_add_u32_e32 v4, v4, v1
	v_cmp_ge_i32_e32 vcc, v4, v0
	s_or_b64 s[6:7], vcc, s[6:7]
	v_add_u32_e32 v3, v3, v2
	s_andn2_b64 exec, exec, s[6:7]
	s_cbranch_execz .LBB3_5
.LBB3_3:                                ; =>This Inner Loop Header: Depth=1
	ds_read_b32 v5, v3
	s_waitcnt lgkmcnt(0)
	v_and_b32_e32 v5, 0x1000000, v5
	v_cmp_ne_u32_e32 vcc, 0, v5
	s_and_saveexec_b64 s[8:9], vcc
	s_cbranch_execz .LBB3_2
; %bb.4:                                ;   in Loop: Header=BB3_3 Depth=1
	ds_read_b64 v[5:6], v3 offset:104
	s_waitcnt lgkmcnt(0)
	flat_load_ubyte v5, v[5:6]
	v_mov_b32_e32 v6, s10
	s_waitcnt vmcnt(0) lgkmcnt(0)
	v_and_b32_e32 v5, 0xffff, v5
	ds_write_b64 v3, v[5:6] offset:104
	s_branch .LBB3_2
.LBB3_5:
	s_or_b64 exec, exec, s[4:5]
	s_waitcnt vmcnt(0) lgkmcnt(0)
	s_barrier
	s_trap 2
	ds_read_b32 v0, v0
	s_waitcnt lgkmcnt(0)
	v_cmp_gt_i32_e32 vcc, 1, v0
	s_cbranch_vccnz .LBB3_13
; %bb.6:
	s_mov_b32 s6, 0
	v_mov_b32_e32 v42, 6
	s_branch .LBB3_8
.LBB3_7:                                ;   in Loop: Header=BB3_8 Depth=1
	s_or_b64 exec, exec, s[8:9]
	s_trap 2
	ds_read_b32 v0, v0
	s_add_i32 s6, s6, 1
	s_waitcnt lgkmcnt(0)
	v_cmp_lt_i32_e32 vcc, s6, v0
	s_cbranch_vccz .LBB3_13
.LBB3_8:                                ; =>This Inner Loop Header: Depth=1
	s_trap 2
	ds_read_b32 v0, v0
	s_cmp_eq_u32 s6, 0
	s_cbranch_scc1 .LBB3_11
; %bb.9:                                ;   in Loop: Header=BB3_8 Depth=1
	s_trap 2
	s_waitcnt lgkmcnt(0)
	ds_read_b32 v1, v0
	s_waitcnt lgkmcnt(0)
	v_xor_b32_e32 v1, v1, v0
	v_and_b32_e32 v1, 0xff0000, v1
	v_cmp_eq_u32_e32 vcc, 0, v1
	s_cbranch_vccnz .LBB3_11
; %bb.10:                               ;   in Loop: Header=BB3_8 Depth=1
	s_barrier
	ds_read_b32 v0, v0
.LBB3_11:                               ;   in Loop: Header=BB3_8 Depth=1
	s_waitcnt lgkmcnt(0)
	v_lshlrev_b32_sdwa v1, v42, v0 dst_sel:DWORD dst_unused:UNUSED_PAD src0_sel:DWORD src1_sel:BYTE_2
	v_cmp_lt_u32_e32 vcc, v41, v1
	s_and_saveexec_b64 s[8:9], vcc
	s_cbranch_execz .LBB3_7
; %bb.12:                               ;   in Loop: Header=BB3_8 Depth=1
	v_writelane_b32 v43, s6, 3
	v_writelane_b32 v43, s8, 4
	s_mov_b64 s[4:5], src_shared_base
	s_getpc_b64 s[6:7]
	s_add_u32 s6, s6, _ZN12_GLOBAL__N_17runRingI14__hip_fp8_e4m313FuncPreMulSumIS1_E11ProtoSimpleILi2ELi2ELi0ELi1ELi0ELi0EELi0ELi0ELi1ELi0EEEviiP15ncclDevWorkColl@rel32@lo+4
	s_addc_u32 s7, s7, _ZN12_GLOBAL__N_17runRingI14__hip_fp8_e4m313FuncPreMulSumIS1_E11ProtoSimpleILi2ELi2ELi0ELi1ELi0ELi0EELi0ELi0ELi1ELi0EEEviiP15ncclDevWorkColl@rel32@hi+12
	v_writelane_b32 v43, s9, 5
	s_or_saveexec_b64 s[100:101], -1
	buffer_store_dword v43, off, s[0:3], s33 offset:16 ; 4-byte Folded Spill
	s_mov_b64 exec, s[100:101]
	v_readlane_b32 s8, v43, 1
	v_readlane_b32 s9, v43, 2
	;; [unrolled: 1-line block ×3, first 2 shown]
	v_mov_b32_e32 v31, v40
	v_mov_b32_e32 v0, v41
	;; [unrolled: 1-line block ×3, first 2 shown]
	s_swappc_b64 s[30:31], s[6:7]
	s_or_saveexec_b64 s[100:101], -1
	buffer_load_dword v43, off, s[0:3], s33 offset:16 ; 4-byte Folded Reload
	s_mov_b64 exec, s[100:101]
	s_waitcnt vmcnt(0)
	v_readlane_b32 s8, v43, 4
	v_readlane_b32 s9, v43, 5
	;; [unrolled: 1-line block ×3, first 2 shown]
	s_branch .LBB3_7
.LBB3_13:
	buffer_load_dword v62, off, s[0:3], s33 ; 4-byte Folded Reload
	buffer_load_dword v42, off, s[0:3], s33 offset:4 ; 4-byte Folded Reload
	buffer_load_dword v41, off, s[0:3], s33 offset:8 ; 4-byte Folded Reload
	buffer_load_dword v40, off, s[0:3], s33 offset:12 ; 4-byte Folded Reload
	v_readlane_b32 s30, v44, 34
	v_readlane_b32 s31, v44, 35
	;; [unrolled: 1-line block ×36, first 2 shown]
	s_mov_b32 s32, s33
	v_readlane_b32 s4, v44, 38
	v_readlane_b32 s100, v44, 36
	;; [unrolled: 1-line block ×3, first 2 shown]
	s_or_saveexec_b64 s[6:7], -1
	buffer_load_dword v43, off, s[0:3], s33 offset:20 ; 4-byte Folded Reload
	buffer_load_dword v44, off, s[0:3], s33 offset:24 ; 4-byte Folded Reload
	s_mov_b64 exec, s[6:7]
	s_mov_b32 s33, s4
	s_waitcnt vmcnt(0)
	s_setpc_b64 s[30:31]
.Lfunc_end3:
	.size	_Z56ncclDevFunc_AllReduce_RING_SIMPLE_PreMulSum_f8e4m3_0_0_1v, .Lfunc_end3-_Z56ncclDevFunc_AllReduce_RING_SIMPLE_PreMulSum_f8e4m3_0_0_1v
                                        ; -- End function
	.set .L_Z56ncclDevFunc_AllReduce_RING_SIMPLE_PreMulSum_f8e4m3_0_0_1v.num_vgpr, max(63, .L_ZN12_GLOBAL__N_17runRingI14__hip_fp8_e4m313FuncPreMulSumIS1_E11ProtoSimpleILi2ELi2ELi0ELi1ELi0ELi0EELi0ELi0ELi1ELi0EEEviiP15ncclDevWorkColl.num_vgpr)
	.set .L_Z56ncclDevFunc_AllReduce_RING_SIMPLE_PreMulSum_f8e4m3_0_0_1v.num_agpr, max(0, .L_ZN12_GLOBAL__N_17runRingI14__hip_fp8_e4m313FuncPreMulSumIS1_E11ProtoSimpleILi2ELi2ELi0ELi1ELi0ELi0EELi0ELi0ELi1ELi0EEEviiP15ncclDevWorkColl.num_agpr)
	.set .L_Z56ncclDevFunc_AllReduce_RING_SIMPLE_PreMulSum_f8e4m3_0_0_1v.numbered_sgpr, max(102, .L_ZN12_GLOBAL__N_17runRingI14__hip_fp8_e4m313FuncPreMulSumIS1_E11ProtoSimpleILi2ELi2ELi0ELi1ELi0ELi0EELi0ELi0ELi1ELi0EEEviiP15ncclDevWorkColl.numbered_sgpr)
	.set .L_Z56ncclDevFunc_AllReduce_RING_SIMPLE_PreMulSum_f8e4m3_0_0_1v.num_named_barrier, max(0, .L_ZN12_GLOBAL__N_17runRingI14__hip_fp8_e4m313FuncPreMulSumIS1_E11ProtoSimpleILi2ELi2ELi0ELi1ELi0ELi0EELi0ELi0ELi1ELi0EEEviiP15ncclDevWorkColl.num_named_barrier)
	.set .L_Z56ncclDevFunc_AllReduce_RING_SIMPLE_PreMulSum_f8e4m3_0_0_1v.private_seg_size, 32+max(.L_ZN12_GLOBAL__N_17runRingI14__hip_fp8_e4m313FuncPreMulSumIS1_E11ProtoSimpleILi2ELi2ELi0ELi1ELi0ELi0EELi0ELi0ELi1ELi0EEEviiP15ncclDevWorkColl.private_seg_size)
	.set .L_Z56ncclDevFunc_AllReduce_RING_SIMPLE_PreMulSum_f8e4m3_0_0_1v.uses_vcc, or(1, .L_ZN12_GLOBAL__N_17runRingI14__hip_fp8_e4m313FuncPreMulSumIS1_E11ProtoSimpleILi2ELi2ELi0ELi1ELi0ELi0EELi0ELi0ELi1ELi0EEEviiP15ncclDevWorkColl.uses_vcc)
	.set .L_Z56ncclDevFunc_AllReduce_RING_SIMPLE_PreMulSum_f8e4m3_0_0_1v.uses_flat_scratch, or(0, .L_ZN12_GLOBAL__N_17runRingI14__hip_fp8_e4m313FuncPreMulSumIS1_E11ProtoSimpleILi2ELi2ELi0ELi1ELi0ELi0EELi0ELi0ELi1ELi0EEEviiP15ncclDevWorkColl.uses_flat_scratch)
	.set .L_Z56ncclDevFunc_AllReduce_RING_SIMPLE_PreMulSum_f8e4m3_0_0_1v.has_dyn_sized_stack, or(0, .L_ZN12_GLOBAL__N_17runRingI14__hip_fp8_e4m313FuncPreMulSumIS1_E11ProtoSimpleILi2ELi2ELi0ELi1ELi0ELi0EELi0ELi0ELi1ELi0EEEviiP15ncclDevWorkColl.has_dyn_sized_stack)
	.set .L_Z56ncclDevFunc_AllReduce_RING_SIMPLE_PreMulSum_f8e4m3_0_0_1v.has_recursion, or(1, .L_ZN12_GLOBAL__N_17runRingI14__hip_fp8_e4m313FuncPreMulSumIS1_E11ProtoSimpleILi2ELi2ELi0ELi1ELi0ELi0EELi0ELi0ELi1ELi0EEEviiP15ncclDevWorkColl.has_recursion)
	.set .L_Z56ncclDevFunc_AllReduce_RING_SIMPLE_PreMulSum_f8e4m3_0_0_1v.has_indirect_call, or(0, .L_ZN12_GLOBAL__N_17runRingI14__hip_fp8_e4m313FuncPreMulSumIS1_E11ProtoSimpleILi2ELi2ELi0ELi1ELi0ELi0EELi0ELi0ELi1ELi0EEEviiP15ncclDevWorkColl.has_indirect_call)
	.section	.AMDGPU.csdata,"",@progbits
; Function info:
; codeLenInByte = 1372
; TotalNumSgprs: 106
; NumVgprs: 64
; ScratchSize: 416
; MemoryBound: 0
	.text
	.p2align	2                               ; -- Begin function _ZN12_GLOBAL__N_17runRingI14__hip_fp8_e4m313FuncPreMulSumIS1_E11ProtoSimpleILi2ELi2ELi0ELi2ELi0ELi0EELi0ELi0ELi2ELi0EEEviiP15ncclDevWorkColl
	.type	_ZN12_GLOBAL__N_17runRingI14__hip_fp8_e4m313FuncPreMulSumIS1_E11ProtoSimpleILi2ELi2ELi0ELi2ELi0ELi0EELi0ELi0ELi2ELi0EEEviiP15ncclDevWorkColl,@function
_ZN12_GLOBAL__N_17runRingI14__hip_fp8_e4m313FuncPreMulSumIS1_E11ProtoSimpleILi2ELi2ELi0ELi2ELi0ELi0EELi0ELi0ELi2ELi0EEEviiP15ncclDevWorkColl: ; @_ZN12_GLOBAL__N_17runRingI14__hip_fp8_e4m313FuncPreMulSumIS1_E11ProtoSimpleILi2ELi2ELi0ELi2ELi0ELi0EELi0ELi0ELi2ELi0EEEviiP15ncclDevWorkColl
; %bb.0:
	s_waitcnt vmcnt(0) expcnt(0) lgkmcnt(0)
	s_mov_b32 s4, s33
	s_mov_b32 s33, s32
	s_or_saveexec_b64 s[6:7], -1
	buffer_store_dword v63, off, s[0:3], s33 offset:456 ; 4-byte Folded Spill
	buffer_store_dword v62, off, s[0:3], s33 offset:460 ; 4-byte Folded Spill
	s_mov_b64 exec, s[6:7]
	v_writelane_b32 v63, s4, 34
	s_addk_i32 s32, 0x7800
	buffer_store_dword v40, off, s[0:3], s33 offset:52 ; 4-byte Folded Spill
	buffer_store_dword v41, off, s[0:3], s33 offset:48 ; 4-byte Folded Spill
	;; [unrolled: 1-line block ×13, first 2 shown]
	buffer_store_dword v61, off, s[0:3], s33 ; 4-byte Folded Spill
	v_writelane_b32 v63, s34, 0
	v_writelane_b32 v63, s35, 1
	;; [unrolled: 1-line block ×34, first 2 shown]
	buffer_store_dword v31, off, s[0:3], s33 offset:440 ; 4-byte Folded Spill
	buffer_store_dword v1, off, s[0:3], s33 offset:428 ; 4-byte Folded Spill
	;; [unrolled: 1-line block ×3, first 2 shown]
	s_trap 2
	flat_load_dword v1, v[2:3]
	ds_read_b32 v4, v0
                                        ; implicit-def: $vgpr14_vgpr15
                                        ; implicit-def: $vgpr5_vgpr6
                                        ; kill: killed $vgpr5_vgpr6
                                        ; implicit-def: $vgpr8_vgpr9
	s_waitcnt lgkmcnt(0)
	v_readfirstlane_b32 s66, v4
	s_waitcnt vmcnt(0)
	v_cmp_ne_u32_sdwa s[4:5], v4, v1 src0_sel:DWORD src1_sel:BYTE_0
	s_and_saveexec_b64 s[6:7], s[4:5]
	s_xor_b64 s[4:5], exec, s[6:7]
	s_cbranch_execz .LBB4_6
; %bb.1:
	v_not_b32_sdwa v0, v1 dst_sel:DWORD dst_unused:UNUSED_PAD src0_sel:BYTE_0
	v_cmp_ne_u32_sdwa s[6:7], v4, v1 src0_sel:DWORD src1_sel:BYTE_1
                                        ; implicit-def: $vgpr14_vgpr15
                                        ; implicit-def: $vgpr5_vgpr6
                                        ; kill: killed $vgpr5_vgpr6
                                        ; implicit-def: $vgpr8_vgpr9
	s_and_saveexec_b64 s[10:11], s[6:7]
	s_xor_b64 s[6:7], exec, s[10:11]
	s_cbranch_execz .LBB4_3
; %bb.2:
	flat_load_dwordx4 v[5:8], v[2:3] offset:72
	flat_load_dwordx2 v[9:10], v[2:3] offset:96
	v_add_u32_e32 v0, v4, v0
	v_ashrrev_i32_e32 v1, 31, v0
	s_waitcnt vmcnt(0) lgkmcnt(0)
	v_mul_lo_u32 v1, v7, v1
	v_mad_u64_u32 v[4:5], s[10:11], v7, v0, v[5:6]
	v_mul_lo_u32 v0, v8, v0
	v_lshrrev_b64 v[14:15], 12, v[9:10]
	v_mov_b32_e32 v9, v8
	v_mov_b32_e32 v8, v7
	v_add3_u32 v5, v0, v5, v1
	buffer_store_dword v4, off, s[0:3], s33 offset:412 ; 4-byte Folded Spill
	s_nop 0
	buffer_store_dword v5, off, s[0:3], s33 offset:416 ; 4-byte Folded Spill
                                        ; implicit-def: $vgpr1
                                        ; implicit-def: $vgpr0
.LBB4_3:
	s_andn2_saveexec_b64 s[6:7], s[6:7]
	s_cbranch_execz .LBB4_5
; %bb.4:
	flat_load_dwordx4 v[4:7], v[2:3] offset:72
	flat_load_dwordx4 v[8:11], v[2:3] offset:88
	v_add_u32_sdwa v0, v1, v0 dst_sel:DWORD dst_unused:UNUSED_PAD src0_sel:BYTE_1 src1_sel:DWORD
	v_ashrrev_i32_e32 v1, 31, v0
	s_waitcnt vmcnt(0) lgkmcnt(0)
	v_mul_lo_u32 v1, v6, v1
	v_mad_u64_u32 v[4:5], s[10:11], v6, v0, v[4:5]
	v_mul_lo_u32 v0, v7, v0
	v_lshrrev_b32_e32 v14, 1, v11
	v_add3_u32 v5, v0, v5, v1
	buffer_store_dword v4, off, s[0:3], s33 offset:412 ; 4-byte Folded Spill
	s_nop 0
	buffer_store_dword v5, off, s[0:3], s33 offset:416 ; 4-byte Folded Spill
.LBB4_5:
	s_or_b64 exec, exec, s[6:7]
.LBB4_6:
	s_andn2_saveexec_b64 s[4:5], s[4:5]
	s_cbranch_execz .LBB4_8
; %bb.7:
	flat_load_dwordx2 v[0:1], v[2:3] offset:96
	flat_load_dwordx2 v[8:9], v[2:3] offset:72
	s_waitcnt vmcnt(0) lgkmcnt(0)
	v_lshlrev_b64 v[14:15], 9, v[0:1]
	v_mov_b32_e32 v0, 0
	v_mov_b32_e32 v1, 0
	buffer_store_dword v0, off, s[0:3], s33 offset:412 ; 4-byte Folded Spill
	s_nop 0
	buffer_store_dword v1, off, s[0:3], s33 offset:416 ; 4-byte Folded Spill
.LBB4_8:
	s_or_b64 exec, exec, s[4:5]
	s_trap 2
	buffer_load_dword v5, off, s[0:3], s33 offset:428 ; 4-byte Folded Reload
	ds_read_b64 v[0:1], v0
	s_waitcnt lgkmcnt(0)
	v_cmp_ne_u32_e32 vcc, -1, v0
	v_cndmask_b32_e64 v0, 0, 1, vcc
	v_cmp_ne_u32_e32 vcc, -1, v1
	v_addc_co_u32_e64 v1, s[4:5], 0, v0, vcc
	v_lshlrev_b32_e32 v4, 1, v1
	s_waitcnt vmcnt(0)
	v_cmp_le_u32_e64 s[4:5], v4, v5
	s_and_saveexec_b64 s[6:7], s[4:5]
	s_xor_b64 s[28:29], exec, s[6:7]
	s_cbranch_execnz .LBB4_9
; %bb.13714:
	s_getpc_b64 s[98:99]
.Lpost_getpc8:
	s_add_u32 s98, s98, (.LBB4_13705-.Lpost_getpc8)&4294967295
	s_addc_u32 s99, s99, (.LBB4_13705-.Lpost_getpc8)>>32
	s_setpc_b64 s[98:99]
.LBB4_9:
	buffer_store_dword v8, off, s[0:3], s33 offset:396 ; 4-byte Folded Spill
	s_nop 0
	buffer_store_dword v9, off, s[0:3], s33 offset:400 ; 4-byte Folded Spill
	buffer_store_dword v10, off, s[0:3], s33 offset:404 ; 4-byte Folded Spill
	;; [unrolled: 1-line block ×3, first 2 shown]
	flat_load_dwordx4 v[10:13], v[2:3] offset:16
	s_nop 0
	flat_load_dwordx2 v[28:29], v[2:3] offset:104
	flat_load_ushort v7, v[2:3] offset:8
	flat_load_dword v6, v[2:3] offset:4
	s_trap 2
	s_load_dword s4, s[8:9], 0x0
	v_mov_b32_e32 v4, 0
	v_mov_b32_e32 v19, 4
	s_waitcnt lgkmcnt(0)
	s_cmp_lt_u32 s12, s4
	s_cselect_b32 s4, 12, 18
	s_add_u32 s4, s8, s4
	s_addc_u32 s5, s9, 0
	global_load_ushort v4, v4, s[4:5]
	s_waitcnt vmcnt(0)
	buffer_store_dword v4, off, s[0:3], s33 offset:444 ; 4-byte Folded Spill
	ds_read_b32 v4, v0
	s_waitcnt lgkmcnt(0)
	v_readfirstlane_b32 s26, v4
	buffer_load_dword v4, off, s[0:3], s33 offset:176 ; 4-byte Folded Reload
	s_waitcnt vmcnt(0)
	v_cmp_ge_u32_e64 s[4:5], v4, v0
	s_and_saveexec_b64 s[6:7], s[4:5]
	s_cbranch_execz .LBB4_19
; %bb.10:
	buffer_load_dword v4, off, s[0:3], s33 offset:176 ; 4-byte Folded Reload
                                        ; implicit-def: $vgpr19
	s_waitcnt vmcnt(0)
	v_cmp_ge_u32_e64 s[4:5], v4, v1
	s_and_saveexec_b64 s[10:11], s[4:5]
	s_xor_b64 s[4:5], exec, s[10:11]
	s_cbranch_execz .LBB4_16
; %bb.11:
	buffer_load_dword v5, off, s[0:3], s33 offset:428 ; 4-byte Folded Reload
	v_cndmask_b32_e64 v4, 0, 1, vcc
	s_waitcnt vmcnt(0)
	v_sub_u32_e32 v4, v5, v4
	buffer_load_dword v5, off, s[0:3], s33 offset:176 ; 4-byte Folded Reload
	s_waitcnt vmcnt(0)
	v_cmp_ge_u32_e32 vcc, v5, v4
	s_and_saveexec_b64 s[10:11], vcc
	s_xor_b64 s[10:11], exec, s[10:11]
; %bb.12:
                                        ; implicit-def: $vgpr1
; %bb.13:
	s_or_saveexec_b64 s[10:11], s[10:11]
	v_mov_b32_e32 v19, 16
	s_xor_b64 exec, exec, s[10:11]
	s_cbranch_execz .LBB4_15
; %bb.14:
	buffer_load_dword v4, off, s[0:3], s33 offset:428 ; 4-byte Folded Reload
	s_waitcnt vmcnt(0)
	v_sub_u32_e32 v1, v4, v1
	buffer_load_dword v4, off, s[0:3], s33 offset:176 ; 4-byte Folded Reload
	s_waitcnt vmcnt(0)
	v_cmp_lt_i32_e32 vcc, v4, v1
	v_cndmask_b32_e64 v19, 32, 0, vcc
.LBB4_15:
	s_or_b64 exec, exec, s[10:11]
.LBB4_16:
	s_andn2_saveexec_b64 s[4:5], s[4:5]
; %bb.17:
	v_mov_b32_e32 v19, 8
; %bb.18:
	s_or_b64 exec, exec, s[4:5]
.LBB4_19:
	s_or_b64 exec, exec, s[6:7]
	v_and_b32_e32 v1, 36, v19
	v_cmp_ne_u32_e32 vcc, 0, v1
	v_mov_b32_e32 v8, -1
	s_and_saveexec_b64 s[4:5], vcc
	s_cbranch_execz .LBB4_21
; %bb.20:
	s_trap 2
	ds_read_b32 v8, v0
.LBB4_21:
	s_or_b64 exec, exec, s[4:5]
	v_and_b32_e32 v1, 24, v19
	v_cmp_ne_u32_e64 s[4:5], 0, v1
	s_and_saveexec_b64 s[6:7], s[4:5]
	s_cbranch_execz .LBB4_23
; %bb.22:
	s_trap 2
	s_waitcnt lgkmcnt(0)
	ds_read_b32 v8, v0
.LBB4_23:
	s_or_b64 exec, exec, s[6:7]
	v_lshrrev_b64 v[4:5], 31, v[6:7]
	v_mov_b32_e32 v5, 0
	v_mov_b32_e32 v6, 0
	buffer_store_dword v5, off, s[0:3], s33 offset:432 ; 4-byte Folded Spill
	s_nop 0
	buffer_store_dword v6, off, s[0:3], s33 offset:436 ; 4-byte Folded Spill
	v_mov_b32_e32 v5, 0
	v_mov_b32_e32 v6, 0
	buffer_store_dword v5, off, s[0:3], s33 offset:120 ; 4-byte Folded Spill
	s_nop 0
	buffer_store_dword v6, off, s[0:3], s33 offset:124 ; 4-byte Folded Spill
	buffer_store_dword v7, off, s[0:3], s33 offset:128 ; 4-byte Folded Spill
	s_waitcnt lgkmcnt(0)
	buffer_store_dword v8, off, s[0:3], s33 offset:132 ; 4-byte Folded Spill
	v_and_b32_e32 v1, 3, v4
                                        ; implicit-def: $vgpr4_vgpr5
                                        ; kill: killed $vgpr4_vgpr5
                                        ; implicit-def: $vgpr4
                                        ; kill: killed $vgpr4
                                        ; implicit-def: $vgpr4_vgpr5
                                        ; kill: killed $vgpr4_vgpr5
                                        ; implicit-def: $vgpr4_vgpr5
                                        ; kill: killed $vgpr4_vgpr5
	;; [unrolled: 2-line block ×4, first 2 shown]
	s_and_saveexec_b64 s[4:5], vcc
	s_cbranch_execz .LBB4_33
; %bb.24:
	s_trap 2
	ds_read_b64 v[4:5], v0
	v_ashrrev_i32_e32 v9, 31, v8
	v_lshlrev_b64 v[6:7], 3, v[8:9]
	s_movk_i32 s6, 0xa8
	s_waitcnt lgkmcnt(0)
	v_add_co_u32_e32 v4, vcc, v4, v6
	v_addc_co_u32_e32 v5, vcc, v5, v7, vcc
	flat_load_dwordx2 v[4:5], v[4:5]
	v_and_b32_e32 v6, 0xffff, v1
	s_waitcnt vmcnt(0) lgkmcnt(0)
	v_mad_u64_u32 v[26:27], s[6:7], v6, s6, v[4:5]
	flat_load_dword v4, v[26:27] offset:640
	s_waitcnt vmcnt(0) lgkmcnt(0)
	v_cmp_eq_u32_e32 vcc, 1, v4
                                        ; implicit-def: $vgpr4_vgpr5
                                        ; kill: killed $vgpr4_vgpr5
	s_and_saveexec_b64 s[6:7], vcc
	s_cbranch_execz .LBB4_26
; %bb.25:
	flat_load_dwordx2 v[6:7], v[26:27] offset:648
	v_or_b32_e32 v19, 0x2000, v19
	s_waitcnt vmcnt(0) lgkmcnt(0)
	flat_load_dwordx2 v[4:5], v[6:7]
	s_trap 2
	s_waitcnt vmcnt(0) lgkmcnt(0)
	ds_write_b64 v0, v[4:5]
	flat_load_dwordx2 v[4:5], v[6:7] offset:8
	s_waitcnt vmcnt(0) lgkmcnt(0)
	ds_write_b64 v0, v[4:5]
	buffer_store_dword v6, off, s[0:3], s33 offset:448 ; 4-byte Folded Spill
	s_nop 0
	buffer_store_dword v7, off, s[0:3], s33 offset:452 ; 4-byte Folded Spill
	flat_load_dwordx2 v[4:5], v[6:7] offset:16
	s_waitcnt vmcnt(0) lgkmcnt(0)
	ds_write_b64 v0, v[4:5]
.LBB4_26:
	s_or_b64 exec, exec, s[6:7]
	flat_load_dwordx2 v[4:5], v[26:27] offset:608
	v_and_b32_e32 v6, 32, v19
	s_waitcnt vmcnt(0) lgkmcnt(0)
	v_add_co_u32_e32 v4, vcc, 3, v4
	v_addc_co_u32_e32 v5, vcc, 0, v5, vcc
	v_and_b32_e32 v4, -4, v4
	buffer_store_dword v4, off, s[0:3], s33 offset:80 ; 4-byte Folded Spill
	s_nop 0
	buffer_store_dword v5, off, s[0:3], s33 offset:84 ; 4-byte Folded Spill
	v_cmp_ne_u32_e32 vcc, 0, v6
                                        ; implicit-def: $vgpr4_vgpr5
                                        ; kill: killed $vgpr4_vgpr5
	s_and_saveexec_b64 s[6:7], vcc
	s_cbranch_execz .LBB4_28
; %bb.27:
	flat_load_dwordx2 v[4:5], v[26:27] offset:560
	s_waitcnt vmcnt(0) lgkmcnt(0)
	buffer_store_dword v4, off, s[0:3], s33 offset:64 ; 4-byte Folded Spill
	s_nop 0
	buffer_store_dword v5, off, s[0:3], s33 offset:68 ; 4-byte Folded Spill
	buffer_load_dword v6, off, s[0:3], s33 offset:80 ; 4-byte Folded Reload
	buffer_load_dword v7, off, s[0:3], s33 offset:84 ; 4-byte Folded Reload
	s_waitcnt vmcnt(0)
	flat_store_dwordx2 v[4:5], v[6:7]
.LBB4_28:
	s_or_b64 exec, exec, s[6:7]
	v_add_co_u32_e32 v4, vcc, 0x1f8, v26
	v_addc_co_u32_e32 v5, vcc, 0, v27, vcc
	buffer_store_dword v4, off, s[0:3], s33 offset:432 ; 4-byte Folded Spill
	s_nop 0
	buffer_store_dword v5, off, s[0:3], s33 offset:436 ; 4-byte Folded Spill
	v_mov_b32_e32 v5, 0
	v_and_b32_e32 v4, 4, v19
	v_mov_b32_e32 v6, 0
	buffer_store_dword v5, off, s[0:3], s33 offset:120 ; 4-byte Folded Spill
	s_nop 0
	buffer_store_dword v6, off, s[0:3], s33 offset:124 ; 4-byte Folded Spill
	buffer_store_dword v7, off, s[0:3], s33 offset:128 ; 4-byte Folded Spill
	;; [unrolled: 1-line block ×3, first 2 shown]
	v_cmp_ne_u32_e32 vcc, 0, v4
                                        ; implicit-def: $vgpr4
                                        ; kill: killed $vgpr4
                                        ; implicit-def: $vgpr4_vgpr5
                                        ; kill: killed $vgpr4_vgpr5
                                        ; implicit-def: $vgpr4_vgpr5
                                        ; kill: killed $vgpr4_vgpr5
	s_and_saveexec_b64 s[6:7], vcc
	s_cbranch_execz .LBB4_32
; %bb.29:
	v_and_b32_e32 v4, 0x800, v19
	v_cmp_eq_u32_e32 vcc, 0, v4
	s_and_saveexec_b64 s[10:11], vcc
	s_cbranch_execz .LBB4_31
; %bb.30:
	s_trap 2
	buffer_load_dword v4, off, s[0:3], s33 offset:432 ; 4-byte Folded Reload
	buffer_load_dword v5, off, s[0:3], s33 offset:436 ; 4-byte Folded Reload
	s_waitcnt vmcnt(0)
	ds_write_b64 v0, v[4:5]
.LBB4_31:
	s_or_b64 exec, exec, s[10:11]
	flat_load_dwordx2 v[4:5], v[26:27] offset:552
	s_waitcnt vmcnt(0) lgkmcnt(0)
	buffer_store_dword v4, off, s[0:3], s33 offset:64 ; 4-byte Folded Spill
	s_nop 0
	buffer_store_dword v5, off, s[0:3], s33 offset:68 ; 4-byte Folded Spill
	flat_load_dwordx2 v[4:5], v[4:5] glc
	s_waitcnt vmcnt(0) lgkmcnt(0)
	buffer_store_dword v4, off, s[0:3], s33 offset:56 ; 4-byte Folded Spill
	s_nop 0
	buffer_store_dword v5, off, s[0:3], s33 offset:60 ; 4-byte Folded Spill
	flat_load_dwordx2 v[15:16], v[26:27] offset:600
	s_nop 0
	flat_load_dword v4, v[26:27] offset:576
	s_waitcnt vmcnt(0) lgkmcnt(0)
	v_cmp_eq_u64_e32 vcc, 0, v[15:16]
	buffer_store_dword v4, off, s[0:3], s33 offset:152 ; 4-byte Folded Spill
	flat_load_dwordx2 v[4:5], v[26:27] offset:520
	s_waitcnt vmcnt(0) lgkmcnt(0)
	buffer_store_dword v4, off, s[0:3], s33 offset:112 ; 4-byte Folded Spill
	s_nop 0
	buffer_store_dword v5, off, s[0:3], s33 offset:116 ; 4-byte Folded Spill
	v_or_b32_e32 v4, 0x100, v19
	v_mov_b32_e32 v5, v15
	v_mov_b32_e32 v6, v16
	v_cndmask_b32_e32 v19, v4, v19, vcc
	buffer_store_dword v5, off, s[0:3], s33 offset:120 ; 4-byte Folded Spill
	s_nop 0
	buffer_store_dword v6, off, s[0:3], s33 offset:124 ; 4-byte Folded Spill
	buffer_store_dword v7, off, s[0:3], s33 offset:128 ; 4-byte Folded Spill
	;; [unrolled: 1-line block ×3, first 2 shown]
.LBB4_32:
	s_or_b64 exec, exec, s[6:7]
.LBB4_33:
	s_or_b64 exec, exec, s[4:5]
	v_and_b32_e32 v4, 24, v19
	v_cmp_ne_u32_e32 vcc, 0, v4
                                        ; implicit-def: $vgpr4_vgpr5
                                        ; kill: killed $vgpr4_vgpr5
	s_and_saveexec_b64 s[4:5], vcc
	s_cbranch_execz .LBB4_41
; %bb.34:
	s_trap 2
	ds_read_b64 v[4:5], v0
	v_ashrrev_i32_e32 v9, 31, v8
	v_lshlrev_b64 v[6:7], 3, v[8:9]
	v_and_b32_e32 v1, 0xffff, v1
	s_movk_i32 s6, 0xa8
	s_waitcnt lgkmcnt(0)
	v_add_co_u32_e32 v4, vcc, v4, v6
	v_addc_co_u32_e32 v5, vcc, v5, v7, vcc
	flat_load_dwordx2 v[4:5], v[4:5]
	s_waitcnt vmcnt(0) lgkmcnt(0)
	v_mad_u64_u32 v[4:5], s[6:7], v1, s6, v[4:5]
	buffer_store_dword v4, off, s[0:3], s33 offset:432 ; 4-byte Folded Spill
	s_nop 0
	buffer_store_dword v5, off, s[0:3], s33 offset:436 ; 4-byte Folded Spill
	v_or_b32_e32 v1, 0x100, v19
	flat_load_dwordx4 v[4:7], v[4:5] offset:96
	s_waitcnt vmcnt(0) lgkmcnt(0)
	buffer_store_dword v4, off, s[0:3], s33 offset:120 ; 4-byte Folded Spill
	s_nop 0
	buffer_store_dword v5, off, s[0:3], s33 offset:124 ; 4-byte Folded Spill
	buffer_store_dword v6, off, s[0:3], s33 offset:128 ; 4-byte Folded Spill
	buffer_store_dword v7, off, s[0:3], s33 offset:132 ; 4-byte Folded Spill
	v_cmp_eq_u64_e32 vcc, 0, v[4:5]
                                        ; implicit-def: $vgpr4_vgpr5
                                        ; kill: killed $vgpr4_vgpr5
	v_cndmask_b32_e32 v19, v1, v19, vcc
	v_and_b32_e32 v1, 16, v19
	v_cmp_ne_u32_e32 vcc, 0, v1
	s_and_saveexec_b64 s[6:7], vcc
	s_cbranch_execz .LBB4_36
; %bb.35:
	buffer_load_dword v4, off, s[0:3], s33 offset:432 ; 4-byte Folded Reload
	buffer_load_dword v5, off, s[0:3], s33 offset:436 ; 4-byte Folded Reload
	s_waitcnt vmcnt(0)
	flat_load_dwordx2 v[6:7], v[4:5] offset:48
	s_waitcnt vmcnt(0) lgkmcnt(0)
	buffer_store_dword v6, off, s[0:3], s33 offset:64 ; 4-byte Folded Spill
	s_nop 0
	buffer_store_dword v7, off, s[0:3], s33 offset:68 ; 4-byte Folded Spill
	flat_load_dwordx2 v[6:7], v[4:5] offset:120
	s_waitcnt vmcnt(0) lgkmcnt(0)
	buffer_store_dword v6, off, s[0:3], s33 offset:136 ; 4-byte Folded Spill
	s_nop 0
	buffer_store_dword v7, off, s[0:3], s33 offset:140 ; 4-byte Folded Spill
	;; [unrolled: 5-line block ×3, first 2 shown]
.LBB4_36:
	s_or_b64 exec, exec, s[6:7]
	buffer_load_dword v4, off, s[0:3], s33 offset:120 ; 4-byte Folded Reload
	buffer_load_dword v5, off, s[0:3], s33 offset:124 ; 4-byte Folded Reload
	;; [unrolled: 1-line block ×4, first 2 shown]
	s_waitcnt vmcnt(1)
	v_add_co_u32_e32 v1, vcc, 3, v6
	s_waitcnt vmcnt(0)
	v_addc_co_u32_e32 v5, vcc, 0, v7, vcc
	v_and_b32_e32 v4, -4, v1
	v_and_b32_e32 v1, 8, v19
	v_cmp_ne_u32_e32 vcc, 0, v1
	buffer_store_dword v4, off, s[0:3], s33 offset:80 ; 4-byte Folded Spill
	s_nop 0
	buffer_store_dword v5, off, s[0:3], s33 offset:84 ; 4-byte Folded Spill
	s_and_saveexec_b64 s[6:7], vcc
	s_cbranch_execz .LBB4_40
; %bb.37:
	v_and_b32_e32 v1, 0x800, v19
	v_cmp_eq_u32_e32 vcc, 0, v1
	s_and_saveexec_b64 s[10:11], vcc
	s_cbranch_execz .LBB4_39
; %bb.38:
	s_trap 2
	buffer_load_dword v4, off, s[0:3], s33 offset:432 ; 4-byte Folded Reload
	buffer_load_dword v5, off, s[0:3], s33 offset:436 ; 4-byte Folded Reload
	s_waitcnt vmcnt(0)
	ds_write_b64 v0, v[4:5]
.LBB4_39:
	s_or_b64 exec, exec, s[10:11]
	buffer_load_dword v4, off, s[0:3], s33 offset:432 ; 4-byte Folded Reload
	buffer_load_dword v5, off, s[0:3], s33 offset:436 ; 4-byte Folded Reload
	s_waitcnt vmcnt(0)
	flat_load_dwordx2 v[6:7], v[4:5] offset:56
	s_waitcnt vmcnt(0) lgkmcnt(0)
	buffer_store_dword v6, off, s[0:3], s33 offset:64 ; 4-byte Folded Spill
	s_nop 0
	buffer_store_dword v7, off, s[0:3], s33 offset:68 ; 4-byte Folded Spill
	flat_load_dwordx2 v[6:7], v[6:7] glc
	s_waitcnt vmcnt(0) lgkmcnt(0)
	buffer_store_dword v6, off, s[0:3], s33 offset:56 ; 4-byte Folded Spill
	s_nop 0
	buffer_store_dword v7, off, s[0:3], s33 offset:60 ; 4-byte Folded Spill
	flat_load_dword v1, v[4:5] offset:72
	s_nop 0
	flat_load_dwordx2 v[4:5], v[4:5] offset:16
	s_waitcnt vmcnt(0) lgkmcnt(0)
	buffer_store_dword v1, off, s[0:3], s33 offset:152 ; 4-byte Folded Spill
	buffer_store_dword v4, off, s[0:3], s33 offset:112 ; 4-byte Folded Spill
	s_nop 0
	buffer_store_dword v5, off, s[0:3], s33 offset:116 ; 4-byte Folded Spill
.LBB4_40:
	s_or_b64 exec, exec, s[6:7]
.LBB4_41:
	s_or_b64 exec, exec, s[4:5]
	buffer_load_dword v1, off, s[0:3], s33 offset:176 ; 4-byte Folded Reload
	s_waitcnt vmcnt(0)
	v_cmp_eq_u32_e64 s[4:5], 0, v1
	s_and_saveexec_b64 s[6:7], s[4:5]
	s_cbranch_execz .LBB4_43
; %bb.42:
	flat_load_dwordx2 v[4:5], v[2:3] offset:32
	v_mov_b32_e32 v6, v12
	v_mov_b32_e32 v7, v13
	v_mov_b32_e32 v8, v10
	v_mov_b32_e32 v9, v11
	ds_write2_b64 v0, v[6:7], v[8:9] offset1:1
	s_trap 2
	s_waitcnt vmcnt(0) lgkmcnt(0)
	ds_write_b64 v0, v[4:5]
	ds_write_b64 v0, v[28:29]
.LBB4_43:
	s_or_b64 exec, exec, s[6:7]
	v_mov_b32_e32 v4, 0
	v_mov_b32_e32 v5, 0
	buffer_store_dword v4, off, s[0:3], s33 offset:72 ; 4-byte Folded Spill
	s_nop 0
	buffer_store_dword v5, off, s[0:3], s33 offset:76 ; 4-byte Folded Spill
	buffer_load_dword v4, off, s[0:3], s33 offset:396 ; 4-byte Folded Reload
	s_nop 0
	buffer_load_dword v5, off, s[0:3], s33 offset:400 ; 4-byte Folded Reload
	buffer_load_dword v6, off, s[0:3], s33 offset:404 ; 4-byte Folded Reload
	;; [unrolled: 1-line block ×3, first 2 shown]
	s_waitcnt vmcnt(0)
	v_cmp_lt_i64_e32 vcc, 0, v[4:5]
	s_mov_b64 s[6:7], exec
                                        ; implicit-def: $vgpr62 : SGPR spill to VGPR lane
	v_writelane_b32 v62, s6, 0
	v_writelane_b32 v62, s7, 1
	s_and_b64 s[6:7], s[6:7], vcc
	s_mov_b64 exec, s[6:7]
	s_cbranch_execnz .LBB4_44
; %bb.13716:
	s_getpc_b64 s[98:99]
.Lpost_getpc9:
	s_add_u32 s98, s98, (.LBB4_13671-.Lpost_getpc9)&4294967295
	s_addc_u32 s99, s99, (.LBB4_13671-.Lpost_getpc9)>>32
	s_setpc_b64 s[98:99]
.LBB4_44:
	flat_load_dword v1, v[2:3] offset:4
	buffer_load_dword v4, off, s[0:3], s33 offset:428 ; 4-byte Folded Reload
	buffer_load_dword v5, off, s[0:3], s33 offset:176 ; 4-byte Folded Reload
	;; [unrolled: 1-line block ×3, first 2 shown]
	s_ashr_i32 s67, s66, 31
	buffer_load_dword v2, off, s[0:3], s33 offset:440 ; 4-byte Folded Reload
	v_writelane_b32 v62, s28, 2
	s_add_u32 s82, s66, -1
	v_writelane_b32 v62, s29, 3
	s_movk_i32 s27, 0x400
	s_addc_u32 s83, s67, -1
	s_add_i32 s84, s66, s66
	s_not_b32 s28, s66
	s_cmp_gt_i32 s66, 0
	v_mov_b32_e32 v3, 0
	s_cselect_b32 s28, s28, -1
	s_ashr_i32 s29, s26, 31
	v_and_b32_e32 v10, 0x3ffffe00, v14
	v_mov_b32_e32 v11, v3
	s_add_i32 s85, s28, s84
	s_ashr_i32 s86, s85, 31
	s_mov_b32 s56, -1
	v_mov_b32_e32 v12, 0
	s_mov_b32 s57, 0xffffff
	s_mov_b64 s[60:61], 0
	s_movk_i32 s68, 0x7f
	s_movk_i32 s69, 0xff
	;; [unrolled: 1-line block ×3, first 2 shown]
	s_mov_b64 s[62:63], 0x7f800000
	s_mov_b64 s[72:73], 0x43e00001
	s_movk_i32 s71, 0x7a
	s_mov_b64 s[74:75], 0xffffff
	s_movk_i32 s80, 0xffc0
	s_movk_i32 s81, 0x108
	v_mov_b32_e32 v13, 0
	s_waitcnt vmcnt(0)
	v_cmp_eq_u32_e64 s[6:7], 64, v4
	v_cmp_ge_u32_e32 vcc, v5, v4
	v_ashrrev_i32_e32 v6, 31, v6
	buffer_store_dword v6, off, s[0:3], s33 offset:172 ; 4-byte Folded Spill
	s_trap 2
	buffer_load_dword v6, off, s[0:3], s33 offset:444 ; 4-byte Folded Reload
	v_cmp_ne_u32_e64 s[10:11], 64, v4
	v_and_b32_e32 v7, 63, v5
	v_lshrrev_b32_e32 v8, 6, v5
	v_and_b32_e32 v9, 0x3fc0, v4
	v_and_b32_e32 v2, 63, v2
	v_cmp_eq_u32_e64 s[16:17], 0, v2
	v_cmp_lt_u32_e64 s[20:21], v7, v0
	v_lshlrev_b32_e32 v2, 4, v7
	v_cmp_le_u32_e64 s[22:23], v7, v0
	v_cmp_eq_u32_e64 s[18:19], 0, v7
	s_waitcnt vmcnt(0)
	v_cmp_ne_u32_sdwa s[58:59], v4, v6 src0_sel:DWORD src1_sel:WORD_0
	v_lshrrev_b32_e32 v6, 6, v4
	buffer_load_dword v4, off, s[0:3], s33 offset:136 ; 4-byte Folded Reload
	buffer_load_dword v5, off, s[0:3], s33 offset:140 ; 4-byte Folded Reload
	v_lshlrev_b32_e32 v0, 11, v6
	buffer_store_dword v7, off, s[0:3], s33 offset:336 ; 4-byte Folded Spill
	buffer_store_dword v6, off, s[0:3], s33 offset:88 ; 4-byte Folded Spill
	s_waitcnt vmcnt(0)
	v_cmp_eq_u64_e64 s[12:13], 0, v[4:5]
	v_cmp_ne_u64_e64 s[14:15], 0, v[4:5]
	v_lshlrev_b32_e32 v4, 12, v6
	buffer_store_dword v4, off, s[0:3], s33 offset:332 ; 4-byte Folded Spill
	v_lshlrev_b32_e32 v4, 10, v6
	buffer_store_dword v0, off, s[0:3], s33 offset:108 ; 4-byte Folded Spill
	buffer_store_dword v9, off, s[0:3], s33 offset:104 ; 4-byte Folded Spill
	v_subrev_u32_e32 v0, 64, v9
	v_lshl_or_b32 v6, v8, 11, v2
	buffer_store_dword v6, off, s[0:3], s33 offset:356 ; 4-byte Folded Spill
	buffer_store_dword v4, off, s[0:3], s33 offset:92 ; 4-byte Folded Spill
	v_ashrrev_i32_e32 v6, 31, v0
	v_lshl_or_b32 v2, v8, 12, v2
	buffer_store_dword v0, off, s[0:3], s33 offset:156 ; 4-byte Folded Spill
	v_add_co_u32_e64 v0, s[24:25], 64, v0
	v_add_u32_e32 v4, 0xfffffc00, v4
	buffer_store_dword v8, off, s[0:3], s33 offset:212 ; 4-byte Folded Spill
	buffer_store_dword v2, off, s[0:3], s33 offset:216 ; 4-byte Folded Spill
	;; [unrolled: 1-line block ×4, first 2 shown]
	v_addc_co_u32_e64 v0, s[24:25], 0, v6, s[24:25]
	v_ashrrev_i32_e32 v2, 31, v4
	buffer_store_dword v0, off, s[0:3], s33 offset:168 ; 4-byte Folded Spill
	v_add_co_u32_e64 v0, s[24:25], s27, v4
	buffer_store_dword v4, off, s[0:3], s33 offset:180 ; 4-byte Folded Spill
	buffer_store_dword v0, off, s[0:3], s33 offset:188 ; 4-byte Folded Spill
	;; [unrolled: 1-line block ×3, first 2 shown]
	v_addc_co_u32_e64 v0, s[24:25], 0, v2, s[24:25]
	buffer_store_dword v0, off, s[0:3], s33 offset:192 ; 4-byte Folded Spill
	s_lshr_b32 s24, s29, 25
	s_waitcnt lgkmcnt(0)
	v_and_b32_e32 v0, 1, v1
	s_add_i32 s26, s26, s24
	v_cmp_eq_u32_e64 s[24:25], 1, v0
	buffer_store_dword v10, off, s[0:3], s33 offset:348 ; 4-byte Folded Spill
	s_nop 0
	buffer_store_dword v11, off, s[0:3], s33 offset:352 ; 4-byte Folded Spill
	v_mov_b32_e32 v0, 0
	v_mov_b32_e32 v1, 0
	buffer_store_dword v0, off, s[0:3], s33 offset:72 ; 4-byte Folded Spill
	s_nop 0
	buffer_store_dword v1, off, s[0:3], s33 offset:76 ; 4-byte Folded Spill
	buffer_load_dword v6, off, s[0:3], s33 offset:396 ; 4-byte Folded Reload
	buffer_load_dword v7, off, s[0:3], s33 offset:400 ; 4-byte Folded Reload
	buffer_load_dword v8, off, s[0:3], s33 offset:404 ; 4-byte Folded Reload
	buffer_load_dword v9, off, s[0:3], s33 offset:408 ; 4-byte Folded Reload
	s_ashr_i32 s87, s26, 7
	s_cmp_gt_i32 s66, 2
	s_cselect_b64 s[76:77], -1, 0
	s_add_i32 s26, s66, 1
	s_xor_b64 s[78:79], s[24:25], -1
	s_cmp_ge_i32 s26, s66
	s_cselect_b32 s27, s66, 0
	s_sub_i32 s97, s26, s27
	v_bfrev_b32_e32 v5, 60
	s_add_i32 s96, s66, -2
	s_xor_b64 s[88:89], vcc, -1
	s_ashr_i32 s46, s97, 31
	v_mad_i64_i32 v[10:11], s[26:27], v10, s66, 0
	buffer_store_dword v10, off, s[0:3], s33 offset:420 ; 4-byte Folded Spill
	s_nop 0
	buffer_store_dword v11, off, s[0:3], s33 offset:424 ; 4-byte Folded Spill
	s_waitcnt vmcnt(4)
	v_mov_b32_e32 v0, v6
	v_mov_b32_e32 v1, v7
	s_branch .LBB4_47
.LBB4_45:                               ;   in Loop: Header=BB4_47 Depth=1
	s_or_b64 exec, exec, s[40:41]
.LBB4_46:                               ;   in Loop: Header=BB4_47 Depth=1
	s_or_b64 exec, exec, s[28:29]
	buffer_load_dword v10, off, s[0:3], s33 offset:420 ; 4-byte Folded Reload
	buffer_load_dword v11, off, s[0:3], s33 offset:424 ; 4-byte Folded Reload
	;; [unrolled: 1-line block ×8, first 2 shown]
	s_waitcnt vmcnt(0)
	v_mov_b32_e32 v0, v6
	v_add_co_u32_e32 v12, vcc, v12, v10
	v_addc_co_u32_e32 v13, vcc, v13, v11, vcc
	v_mov_b32_e32 v1, v7
	v_cmp_ge_i64_e32 vcc, v[12:13], v[0:1]
	s_or_b64 s[60:61], vcc, s[60:61]
	s_andn2_b64 exec, exec, s[60:61]
	s_cbranch_execnz .LBB4_47
; %bb.13718:
	s_getpc_b64 s[98:99]
.Lpost_getpc10:
	s_add_u32 s98, s98, (.LBB4_13670-.Lpost_getpc10)&4294967295
	s_addc_u32 s99, s99, (.LBB4_13670-.Lpost_getpc10)>>32
	s_setpc_b64 s[98:99]
.LBB4_47:                               ; =>This Loop Header: Depth=1
                                        ;     Child Loop BB4_57 Depth 2
                                        ;       Child Loop BB4_65 Depth 3
                                        ;       Child Loop BB4_89 Depth 3
	;; [unrolled: 1-line block ×9, first 2 shown]
                                        ;     Child Loop BB4_2426 Depth 2
                                        ;       Child Loop BB4_2432 Depth 3
                                        ;       Child Loop BB4_2456 Depth 3
	;; [unrolled: 1-line block ×3, first 2 shown]
                                        ;     Child Loop BB4_2498 Depth 2
                                        ;       Child Loop BB4_2501 Depth 3
                                        ;         Child Loop BB4_2509 Depth 4
                                        ;         Child Loop BB4_2537 Depth 4
	;; [unrolled: 1-line block ×9, first 2 shown]
                                        ;       Child Loop BB4_6057 Depth 3
                                        ;         Child Loop BB4_6063 Depth 4
                                        ;         Child Loop BB4_6091 Depth 4
	;; [unrolled: 1-line block ×3, first 2 shown]
                                        ;     Child Loop BB4_6132 Depth 2
                                        ;       Child Loop BB4_6140 Depth 3
                                        ;       Child Loop BB4_6168 Depth 3
	;; [unrolled: 1-line block ×9, first 2 shown]
                                        ;         Child Loop BB4_8617 Depth 4
                                        ;       Child Loop BB4_8645 Depth 3
                                        ;       Child Loop BB4_9582 Depth 3
                                        ;         Child Loop BB4_9646 Depth 4
                                        ;       Child Loop BB4_13095 Depth 3
                                        ;       Child Loop BB4_13114 Depth 3
                                        ;     Child Loop BB4_13132 Depth 2
                                        ;       Child Loop BB4_13138 Depth 3
                                        ;       Child Loop BB4_13166 Depth 3
	;; [unrolled: 1-line block ×3, first 2 shown]
                                        ;     Child Loop BB4_13208 Depth 2
                                        ;       Child Loop BB4_13211 Depth 3
                                        ;         Child Loop BB4_13219 Depth 4
                                        ;         Child Loop BB4_13247 Depth 4
                                        ;         Child Loop BB4_13266 Depth 4
                                        ;         Child Loop BB4_13325 Depth 4
                                        ;         Child Loop BB4_13330 Depth 4
                                        ;         Child Loop BB4_13336 Depth 4
                                        ;         Child Loop BB4_13341 Depth 4
                                        ;         Child Loop BB4_13295 Depth 4
                                        ;         Child Loop BB4_13300 Depth 4
                                        ;           Child Loop BB4_13301 Depth 5
                                        ;         Child Loop BB4_13308 Depth 4
                                        ;         Child Loop BB4_13313 Depth 4
                                        ;           Child Loop BB4_13314 Depth 5
                                        ;         Child Loop BB4_13350 Depth 4
                                        ;         Child Loop BB4_13369 Depth 4
                                        ;       Child Loop BB4_13387 Depth 3
                                        ;         Child Loop BB4_13393 Depth 4
                                        ;         Child Loop BB4_13421 Depth 4
	;; [unrolled: 1-line block ×3, first 2 shown]
                                        ;     Child Loop BB4_13466 Depth 2
                                        ;       Child Loop BB4_13474 Depth 3
                                        ;       Child Loop BB4_13498 Depth 3
	;; [unrolled: 1-line block ×9, first 2 shown]
                                        ;     Child Loop BB4_13604 Depth 2
                                        ;       Child Loop BB4_13610 Depth 3
                                        ;       Child Loop BB4_13634 Depth 3
	;; [unrolled: 1-line block ×3, first 2 shown]
	v_sub_co_u32_e32 v0, vcc, v0, v12
	buffer_store_dword v12, off, s[0:3], s33 offset:372 ; 4-byte Folded Spill
	s_nop 0
	buffer_store_dword v13, off, s[0:3], s33 offset:376 ; 4-byte Folded Spill
	v_subb_co_u32_e32 v1, vcc, v1, v13, vcc
	buffer_store_dword v0, off, s[0:3], s33 offset:340 ; 4-byte Folded Spill
	s_nop 0
	buffer_store_dword v1, off, s[0:3], s33 offset:344 ; 4-byte Folded Spill
	v_cmp_lt_i64_e32 vcc, v[0:1], v[10:11]
	s_and_saveexec_b64 s[28:29], vcc
	s_cbranch_execz .LBB4_53
; %bb.48:                               ;   in Loop: Header=BB4_47 Depth=1
	buffer_load_dword v6, off, s[0:3], s33 offset:340 ; 4-byte Folded Reload
	buffer_load_dword v7, off, s[0:3], s33 offset:344 ; 4-byte Folded Reload
	v_mov_b32_e32 v1, s83
                                        ; implicit-def: $vgpr8_vgpr9
	s_waitcnt vmcnt(0)
	v_add_co_u32_e32 v0, vcc, s82, v6
	s_waitcnt vmcnt(0)
	v_addc_co_u32_e32 v1, vcc, v1, v7, vcc
	v_or_b32_e32 v7, s67, v1
	v_mov_b32_e32 v6, v3
	v_cmp_ne_u64_e32 vcc, 0, v[6:7]
	s_and_saveexec_b64 s[26:27], vcc
	s_xor_b64 s[40:41], exec, s[26:27]
	s_cbranch_execz .LBB4_50
; %bb.49:                               ;   in Loop: Header=BB4_47 Depth=1
	s_ashr_i32 s42, s67, 31
	s_add_u32 s26, s66, s42
	s_mov_b32 s43, s42
	s_addc_u32 s27, s67, s42
	s_xor_b64 s[90:91], s[26:27], s[42:43]
	v_cvt_f32_u32_e32 v2, s90
	v_cvt_f32_u32_e32 v4, s91
	s_sub_u32 s43, 0, s90
	s_subb_u32 s44, 0, s91
	v_mac_f32_e32 v2, 0x4f800000, v4
	v_rcp_f32_e32 v2, v2
	v_mul_f32_e32 v2, 0x5f7ffffc, v2
	v_mul_f32_e32 v4, 0x2f800000, v2
	v_trunc_f32_e32 v4, v4
	v_mac_f32_e32 v2, 0xcf800000, v4
	v_cvt_u32_f32_e32 v4, v4
	v_cvt_u32_f32_e32 v2, v2
	v_readfirstlane_b32 s45, v4
	v_readfirstlane_b32 s26, v2
	s_mul_i32 s27, s43, s45
	s_mul_hi_u32 s92, s43, s26
	s_mul_i32 s47, s44, s26
	s_add_i32 s27, s92, s27
	s_add_i32 s27, s27, s47
	s_mul_i32 s93, s43, s26
	s_mul_i32 s92, s26, s27
	s_mul_hi_u32 s94, s26, s93
	s_mul_hi_u32 s47, s26, s27
	s_add_u32 s92, s94, s92
	s_addc_u32 s47, 0, s47
	s_mul_hi_u32 s95, s45, s93
	s_mul_i32 s93, s45, s93
	s_add_u32 s92, s92, s93
	s_mul_hi_u32 s94, s45, s27
	s_addc_u32 s47, s47, s95
	s_addc_u32 s92, s94, 0
	s_mul_i32 s27, s45, s27
	s_add_u32 s27, s47, s27
	s_addc_u32 s47, 0, s92
	s_add_u32 s92, s26, s27
	s_cselect_b64 s[26:27], -1, 0
	s_cmp_lg_u64 s[26:27], 0
	s_addc_u32 s45, s45, s47
	s_mul_i32 s26, s43, s45
	s_mul_hi_u32 s27, s43, s92
	s_add_i32 s26, s27, s26
	s_mul_i32 s44, s44, s92
	s_add_i32 s26, s26, s44
	s_mul_i32 s43, s43, s92
	s_mul_hi_u32 s44, s45, s43
	s_mul_i32 s47, s45, s43
	s_mul_i32 s94, s92, s26
	s_mul_hi_u32 s43, s92, s43
	s_mul_hi_u32 s93, s92, s26
	s_add_u32 s43, s43, s94
	s_addc_u32 s93, 0, s93
	s_add_u32 s43, s43, s47
	s_mul_hi_u32 s27, s45, s26
	s_addc_u32 s43, s93, s44
	s_addc_u32 s27, s27, 0
	s_mul_i32 s26, s45, s26
	s_add_u32 s26, s43, s26
	s_addc_u32 s43, 0, s27
	s_add_u32 s44, s92, s26
	s_cselect_b64 s[26:27], -1, 0
	v_ashrrev_i32_e32 v2, 31, v1
	s_cmp_lg_u64 s[26:27], 0
	v_add_co_u32_e32 v0, vcc, v0, v2
	s_addc_u32 s43, s45, s43
	v_xor_b32_e32 v8, v0, v2
	v_addc_co_u32_e32 v4, vcc, v1, v2, vcc
	v_mad_u64_u32 v[0:1], s[26:27], v8, s43, 0
	v_mul_hi_u32 v6, v8, s44
	v_xor_b32_e32 v4, v4, v2
	v_xor_b32_e32 v2, s42, v2
	v_add_co_u32_e32 v9, vcc, v6, v0
	v_addc_co_u32_e32 v10, vcc, 0, v1, vcc
	v_mad_u64_u32 v[0:1], s[26:27], v4, s44, 0
	v_mad_u64_u32 v[6:7], s[26:27], v4, s43, 0
	v_add_co_u32_e32 v0, vcc, v9, v0
	v_addc_co_u32_e32 v0, vcc, v10, v1, vcc
	v_addc_co_u32_e32 v1, vcc, 0, v7, vcc
	v_add_co_u32_e32 v6, vcc, v0, v6
	v_addc_co_u32_e32 v7, vcc, 0, v1, vcc
	v_mul_lo_u32 v9, s91, v6
	v_mul_lo_u32 v10, s90, v7
	v_mad_u64_u32 v[0:1], s[26:27], s90, v6, 0
	v_add3_u32 v1, v1, v10, v9
	v_sub_u32_e32 v9, v4, v1
	v_mov_b32_e32 v10, s91
	v_sub_co_u32_e32 v0, vcc, v8, v0
	v_subb_co_u32_e64 v8, s[26:27], v9, v10, vcc
	v_subrev_co_u32_e64 v9, s[26:27], s90, v0
	v_subbrev_co_u32_e64 v8, s[26:27], 0, v8, s[26:27]
	v_cmp_le_u32_e64 s[26:27], s91, v8
	v_cndmask_b32_e64 v10, 0, -1, s[26:27]
	v_cmp_le_u32_e64 s[26:27], s90, v9
	v_cndmask_b32_e64 v9, 0, -1, s[26:27]
	v_cmp_eq_u32_e64 s[26:27], s91, v8
	v_cndmask_b32_e64 v8, v10, v9, s[26:27]
	v_add_co_u32_e64 v9, s[26:27], 2, v6
	v_subb_co_u32_e32 v1, vcc, v4, v1, vcc
	v_addc_co_u32_e64 v10, s[26:27], 0, v7, s[26:27]
	v_cmp_le_u32_e32 vcc, s91, v1
	v_add_co_u32_e64 v11, s[26:27], 1, v6
	v_cndmask_b32_e64 v4, 0, -1, vcc
	v_cmp_le_u32_e32 vcc, s90, v0
	v_addc_co_u32_e64 v12, s[26:27], 0, v7, s[26:27]
	v_cndmask_b32_e64 v0, 0, -1, vcc
	v_cmp_eq_u32_e32 vcc, s91, v1
	v_cmp_ne_u32_e64 s[26:27], 0, v8
	v_cndmask_b32_e32 v0, v4, v0, vcc
	v_cmp_ne_u32_e32 vcc, 0, v0
	v_cndmask_b32_e64 v1, v11, v9, s[26:27]
	v_cndmask_b32_e64 v8, v12, v10, s[26:27]
	v_cndmask_b32_e32 v1, v6, v1, vcc
	v_cndmask_b32_e32 v0, v7, v8, vcc
	v_xor_b32_e32 v1, v1, v2
	v_xor_b32_e32 v0, v0, v2
	v_sub_co_u32_e32 v8, vcc, v1, v2
	v_subb_co_u32_e32 v9, vcc, v0, v2, vcc
                                        ; implicit-def: $vgpr0
.LBB4_50:                               ;   in Loop: Header=BB4_47 Depth=1
	s_andn2_saveexec_b64 s[40:41], s[40:41]
	s_cbranch_execz .LBB4_52
; %bb.51:                               ;   in Loop: Header=BB4_47 Depth=1
	v_cvt_f32_u32_e32 v1, s66
	s_sub_i32 s26, 0, s66
	v_mov_b32_e32 v9, v3
	v_rcp_iflag_f32_e32 v1, v1
	v_mul_f32_e32 v1, 0x4f7ffffe, v1
	v_cvt_u32_f32_e32 v1, v1
	v_mul_lo_u32 v2, s26, v1
	v_mul_hi_u32 v2, v1, v2
	v_add_u32_e32 v1, v1, v2
	v_mul_hi_u32 v1, v0, v1
	v_mul_lo_u32 v2, v1, s66
	v_sub_u32_e32 v0, v0, v2
	v_cmp_le_u32_e32 vcc, s66, v0
	v_subrev_u32_e32 v2, s66, v0
	v_cndmask_b32_e32 v0, v0, v2, vcc
	v_cmp_le_u32_e64 s[26:27], s66, v0
	v_add_u32_e32 v0, 1, v1
	v_cndmask_b32_e32 v0, v1, v0, vcc
	v_add_u32_e32 v1, 1, v0
	v_cndmask_b32_e64 v8, v0, v1, s[26:27]
.LBB4_52:                               ;   in Loop: Header=BB4_47 Depth=1
	s_or_b64 exec, exec, s[40:41]
	v_add_co_u32_e32 v0, vcc, 15, v8
	v_addc_co_u32_e32 v1, vcc, 0, v9, vcc
	v_and_b32_e32 v0, -16, v0
	buffer_store_dword v0, off, s[0:3], s33 offset:348 ; 4-byte Folded Spill
	s_nop 0
	buffer_store_dword v1, off, s[0:3], s33 offset:352 ; 4-byte Folded Spill
.LBB4_53:                               ;   in Loop: Header=BB4_47 Depth=1
	s_or_b64 exec, exec, s[28:29]
	buffer_load_dword v8, off, s[0:3], s33 offset:348 ; 4-byte Folded Reload
	buffer_load_dword v9, off, s[0:3], s33 offset:352 ; 4-byte Folded Reload
	v_mov_b32_e32 v50, 0
	s_waitcnt vmcnt(0)
	v_mul_lo_u32 v1, v8, s86
	s_waitcnt vmcnt(0)
	v_mul_lo_u32 v0, v9, s85
	v_mad_u64_u32 v[43:44], s[26:27], v8, s85, 0
	v_add3_u32 v44, v44, v1, v0
	buffer_load_dword v0, off, s[0:3], s33 offset:412 ; 4-byte Folded Reload
	buffer_load_dword v1, off, s[0:3], s33 offset:416 ; 4-byte Folded Reload
	buffer_load_dword v6, off, s[0:3], s33 offset:372 ; 4-byte Folded Reload
	buffer_load_dword v7, off, s[0:3], s33 offset:376 ; 4-byte Folded Reload
	s_waitcnt vmcnt(0)
	v_add_co_u32_e32 v0, vcc, v6, v0
	buffer_store_dword v0, off, s[0:3], s33 offset:196 ; 4-byte Folded Spill
	s_waitcnt vmcnt(1)
	v_addc_co_u32_e32 v0, vcc, v7, v1, vcc
	buffer_store_dword v0, off, s[0:3], s33 offset:200 ; 4-byte Folded Spill
	buffer_load_dword v0, off, s[0:3], s33 offset:340 ; 4-byte Folded Reload
	s_nop 0
	buffer_load_dword v1, off, s[0:3], s33 offset:344 ; 4-byte Folded Reload
	s_waitcnt vmcnt(0)
	v_sub_co_u32_e32 v0, vcc, v0, v43
	s_waitcnt vmcnt(0)
	v_subb_co_u32_e32 v1, vcc, v1, v44, vcc
	v_cmp_lt_i64_e32 vcc, v[8:9], v[0:1]
	v_cndmask_b32_e32 v1, v0, v8, vcc
	v_max_i32_e32 v16, 0, v1
	v_add_u32_e32 v2, 31, v16
	v_lshrrev_b32_e32 v2, 1, v2
	v_and_b32_e32 v2, 0x3ffffff0, v2
	v_cmp_lt_i32_e32 vcc, 0, v1
	v_mov_b32_e32 v0, 0
	v_max_i32_e32 v33, s87, v2
	s_and_b64 s[26:27], s[88:89], vcc
	s_and_saveexec_b64 s[40:41], s[26:27]
	s_cbranch_execz .LBB4_2422
; %bb.54:                               ;   in Loop: Header=BB4_47 Depth=1
	s_mov_b32 s44, 1
	s_mov_b64 s[90:91], -1
	v_mov_b32_e32 v50, 0
	s_mov_b64 s[42:43], 0
	buffer_store_dword v43, off, s[0:3], s33 offset:388 ; 4-byte Folded Spill
	s_nop 0
	buffer_store_dword v44, off, s[0:3], s33 offset:392 ; 4-byte Folded Spill
	buffer_store_dword v16, off, s[0:3], s33 offset:368 ; 4-byte Folded Spill
	s_branch .LBB4_57
.LBB4_55:                               ;   in Loop: Header=BB4_57 Depth=2
	s_or_b64 exec, exec, s[28:29]
	buffer_load_dword v6, off, s[0:3], s33 offset:80 ; 4-byte Folded Reload
	buffer_load_dword v7, off, s[0:3], s33 offset:84 ; 4-byte Folded Reload
	;; [unrolled: 1-line block ×4, first 2 shown]
	s_waitcnt vmcnt(0)
	v_add_co_u32_e32 v6, vcc, 2, v6
	v_addc_co_u32_e32 v7, vcc, 0, v7, vcc
	buffer_store_dword v6, off, s[0:3], s33 offset:80 ; 4-byte Folded Spill
	s_nop 0
	buffer_store_dword v7, off, s[0:3], s33 offset:84 ; 4-byte Folded Spill
	flat_store_dwordx2 v[0:1], v[6:7]
.LBB4_56:                               ;   in Loop: Header=BB4_57 Depth=2
	s_or_b64 exec, exec, s[26:27]
	v_add_u32_e32 v50, v33, v50
	s_waitcnt vmcnt(0)
	v_cmp_ge_i32_e32 vcc, v50, v16
	s_xor_b64 s[26:27], s[90:91], -1
	s_or_b64 s[26:27], s[26:27], vcc
	s_and_b64 s[26:27], exec, s[26:27]
	s_or_b64 s[42:43], s[26:27], s[42:43]
	s_mov_b64 s[90:91], 0
	v_mov_b32_e32 v0, s44
	s_mov_b32 s44, 2
	s_andn2_b64 exec, exec, s[42:43]
	s_cbranch_execz .LBB4_2421
.LBB4_57:                               ;   Parent Loop BB4_47 Depth=1
                                        ; =>  This Loop Header: Depth=2
                                        ;       Child Loop BB4_65 Depth 3
                                        ;       Child Loop BB4_89 Depth 3
	;; [unrolled: 1-line block ×9, first 2 shown]
	s_and_saveexec_b64 s[26:27], s[4:5]
	s_cbranch_execz .LBB4_59
; %bb.58:                               ;   in Loop: Header=BB4_57 Depth=2
	s_trap 2
	buffer_load_dword v2, off, s[0:3], s33 offset:196 ; 4-byte Folded Reload
	ds_read_b64 v[0:1], v0
	s_waitcnt vmcnt(0) lgkmcnt(0)
	v_add_co_u32_e32 v0, vcc, v0, v2
	buffer_load_dword v2, off, s[0:3], s33 offset:200 ; 4-byte Folded Reload
	s_waitcnt vmcnt(0)
	v_addc_co_u32_e32 v1, vcc, v1, v2, vcc
	v_add_co_u32_e32 v0, vcc, v0, v43
	v_addc_co_u32_e32 v1, vcc, v1, v44, vcc
	v_ashrrev_i32_e32 v2, 31, v50
	v_add_co_u32_e32 v0, vcc, v0, v50
	v_addc_co_u32_e32 v1, vcc, v1, v2, vcc
	ds_write_b64 v0, v[0:1]
	v_mov_b32_e32 v0, v3
	v_mov_b32_e32 v1, v3
	ds_write_b64 v0, v[0:1]
.LBB4_59:                               ;   in Loop: Header=BB4_57 Depth=2
	s_or_b64 exec, exec, s[26:27]
	v_sub_u32_e32 v0, v16, v50
	v_min_i32_e32 v33, v33, v0
	v_and_b32_e32 v0, 8, v19
	v_cmp_ne_u32_e32 vcc, 0, v0
	s_and_saveexec_b64 s[28:29], vcc
	s_cbranch_execz .LBB4_81
; %bb.60:                               ;   in Loop: Header=BB4_57 Depth=2
	buffer_load_dword v0, off, s[0:3], s33 offset:56 ; 4-byte Folded Reload
	buffer_load_dword v1, off, s[0:3], s33 offset:60 ; 4-byte Folded Reload
	;; [unrolled: 1-line block ×4, first 2 shown]
	s_waitcnt vmcnt(0)
	v_add_co_u32_e32 v0, vcc, 8, v0
	s_waitcnt vmcnt(2)
	v_addc_co_u32_e32 v1, vcc, 0, v1, vcc
	s_waitcnt vmcnt(1)
	v_add_co_u32_e32 v8, vcc, 2, v6
	s_waitcnt vmcnt(0)
	v_addc_co_u32_e32 v9, vcc, 0, v7, vcc
	v_cmp_lt_u64_e32 vcc, v[0:1], v[8:9]
	s_and_saveexec_b64 s[92:93], vcc
	s_cbranch_execz .LBB4_72
; %bb.61:                               ;   in Loop: Header=BB4_57 Depth=2
	v_and_b32_e32 v0, 64, v19
	s_mov_b32 s45, 0
	v_cmp_eq_u32_e32 vcc, 0, v0
	s_mov_b64 s[94:95], 0
                                        ; implicit-def: $sgpr30_sgpr31
                                        ; implicit-def: $sgpr34_sgpr35
                                        ; implicit-def: $sgpr36_sgpr37
	s_branch .LBB4_65
.LBB4_62:                               ;   in Loop: Header=BB4_65 Depth=3
	buffer_load_dword v1, off, s[0:3], s33 offset:56 ; 4-byte Folded Reload
	buffer_load_dword v2, off, s[0:3], s33 offset:60 ; 4-byte Folded Reload
	s_or_b64 s[50:51], s[50:51], exec
	s_waitcnt vmcnt(1)
	v_add_co_u32_e64 v1, s[26:27], 8, v1
	s_waitcnt vmcnt(0)
	v_addc_co_u32_e64 v2, s[26:27], 0, v2, s[26:27]
	v_cmp_ge_u64_e64 s[26:27], v[1:2], v[8:9]
	s_orn2_b64 s[48:49], s[26:27], exec
.LBB4_63:                               ;   in Loop: Header=BB4_65 Depth=3
	s_or_b64 exec, exec, s[54:55]
	s_andn2_b64 s[26:27], s[36:37], exec
	s_and_b64 s[36:37], s[50:51], exec
	s_or_b64 s[36:37], s[26:27], s[36:37]
	s_andn2_b64 s[26:27], s[34:35], exec
	s_and_b64 s[34:35], s[48:49], exec
	s_or_b64 s[34:35], s[26:27], s[34:35]
.LBB4_64:                               ;   in Loop: Header=BB4_65 Depth=3
	s_or_b64 exec, exec, s[38:39]
	s_and_b64 s[26:27], exec, s[34:35]
	s_or_b64 s[94:95], s[26:27], s[94:95]
	s_andn2_b64 s[26:27], s[30:31], exec
	s_and_b64 s[30:31], s[36:37], exec
	s_or_b64 s[30:31], s[26:27], s[30:31]
	s_andn2_b64 exec, exec, s[94:95]
	s_cbranch_execz .LBB4_69
.LBB4_65:                               ;   Parent Loop BB4_47 Depth=1
                                        ;     Parent Loop BB4_57 Depth=2
                                        ; =>    This Inner Loop Header: Depth=3
	s_sleep 1
	buffer_load_dword v0, off, s[0:3], s33 offset:64 ; 4-byte Folded Reload
	buffer_load_dword v1, off, s[0:3], s33 offset:68 ; 4-byte Folded Reload
	s_or_b64 s[36:37], s[36:37], exec
	s_or_b64 s[34:35], s[34:35], exec
	s_waitcnt vmcnt(0)
	flat_load_dwordx2 v[0:1], v[0:1] glc
	s_waitcnt vmcnt(0) lgkmcnt(0)
	buffer_store_dword v0, off, s[0:3], s33 offset:56 ; 4-byte Folded Spill
	s_nop 0
	buffer_store_dword v1, off, s[0:3], s33 offset:60 ; 4-byte Folded Spill
                                        ; implicit-def: $vgpr0
	s_and_saveexec_b64 s[38:39], vcc
	s_cbranch_execz .LBB4_64
; %bb.66:                               ;   in Loop: Header=BB4_65 Depth=3
	s_cmpk_lt_i32 s45, 0x270f
	s_cselect_b64 s[52:53], -1, 0
	s_cmpk_gt_i32 s45, 0x270e
	s_mov_b64 s[48:49], -1
	s_cbranch_scc0 .LBB4_68
; %bb.67:                               ;   in Loop: Header=BB4_65 Depth=3
	s_trap 2
	ds_read_b64 v[0:1], v0
	s_andn2_b64 s[52:53], s[52:53], exec
	s_mov_b32 s45, 0
	s_mov_b64 s[50:51], 0
	s_waitcnt vmcnt(0) lgkmcnt(0)
	flat_load_dword v0, v[0:1] glc
	s_waitcnt vmcnt(0) lgkmcnt(0)
	buffer_wbinvl1_vol
	v_cmp_eq_u32_e64 s[26:27], 0, v0
	s_and_b64 s[26:27], s[26:27], exec
	s_or_b64 s[52:53], s[52:53], s[26:27]
	s_and_saveexec_b64 s[54:55], s[52:53]
	s_cbranch_execz .LBB4_63
	s_branch .LBB4_62
.LBB4_68:                               ;   in Loop: Header=BB4_65 Depth=3
	s_add_i32 s45, s45, 1
	s_mov_b64 s[50:51], -1
                                        ; implicit-def: $vgpr0
	s_and_saveexec_b64 s[54:55], s[52:53]
	s_cbranch_execz .LBB4_63
	s_branch .LBB4_62
.LBB4_69:                               ;   in Loop: Header=BB4_57 Depth=2
	s_or_b64 exec, exec, s[94:95]
	s_xor_b64 s[26:27], s[30:31], -1
	s_and_saveexec_b64 s[94:95], s[26:27]
	s_xor_b64 s[26:27], exec, s[94:95]
	s_cbranch_execz .LBB4_71
; %bb.70:                               ;   in Loop: Header=BB4_57 Depth=2
	v_or_b32_e32 v19, 64, v19
	ds_write_b32 v0, v0
	s_trap 2
.LBB4_71:                               ;   in Loop: Header=BB4_57 Depth=2
	s_or_b64 exec, exec, s[26:27]
.LBB4_72:                               ;   in Loop: Header=BB4_57 Depth=2
	s_or_b64 exec, exec, s[92:93]
	v_and_b32_e32 v0, 0x100, v19
	;;#ASMSTART
	s_wakeup
	;;#ASMEND
	v_cmp_ne_u32_e32 vcc, 0, v0
	buffer_load_dword v0, off, s[0:3], s33 offset:80 ; 4-byte Folded Reload
	buffer_load_dword v1, off, s[0:3], s33 offset:84 ; 4-byte Folded Reload
	s_mov_b64 s[26:27], -1
                                        ; implicit-def: $vgpr10_vgpr11
	s_waitcnt vmcnt(0)
	v_and_b32_e32 v0, 7, v0
	s_and_saveexec_b64 s[92:93], vcc
	s_cbranch_execz .LBB4_76
; %bb.73:                               ;   in Loop: Header=BB4_57 Depth=2
	buffer_load_dword v10, off, s[0:3], s33 offset:120 ; 4-byte Folded Reload
	buffer_load_dword v11, off, s[0:3], s33 offset:124 ; 4-byte Folded Reload
	;; [unrolled: 1-line block ×4, first 2 shown]
	v_ashrrev_i32_e32 v34, 31, v33
	s_waitcnt vmcnt(0)
	v_mad_u64_u32 v[48:49], s[26:27], v0, 24, v[10:11]
                                        ; implicit-def: $vgpr10_vgpr11
	flat_load_dword v1, v[48:49]
	s_nop 0
	flat_store_dwordx2 v[48:49], v[33:34] offset:8
	s_waitcnt vmcnt(0) lgkmcnt(0)
	v_cmp_ne_u32_e32 vcc, 1, v1
	v_cmp_eq_u32_e64 s[26:27], 1, v1
	s_and_saveexec_b64 s[94:95], s[26:27]
	s_cbranch_execz .LBB4_75
; %bb.74:                               ;   in Loop: Header=BB4_57 Depth=2
	flat_load_dword v10, v[48:49] offset:4 glc
	s_waitcnt vmcnt(0) lgkmcnt(0)
	v_ashrrev_i32_e32 v11, 31, v10
.LBB4_75:                               ;   in Loop: Header=BB4_57 Depth=2
	s_or_b64 exec, exec, s[94:95]
	s_orn2_b64 s[26:27], vcc, exec
.LBB4_76:                               ;   in Loop: Header=BB4_57 Depth=2
	s_or_b64 exec, exec, s[92:93]
	s_and_saveexec_b64 s[92:93], s[26:27]
	s_cbranch_execz .LBB4_78
; %bb.77:                               ;   in Loop: Header=BB4_57 Depth=2
	buffer_load_dword v1, off, s[0:3], s33 offset:152 ; 4-byte Folded Reload
	s_waitcnt vmcnt(0)
	v_mad_i64_i32 v[10:11], s[26:27], v0, v1, 0
.LBB4_78:                               ;   in Loop: Header=BB4_57 Depth=2
	s_or_b64 exec, exec, s[92:93]
	buffer_load_dword v0, off, s[0:3], s33 offset:112 ; 4-byte Folded Reload
	buffer_load_dword v1, off, s[0:3], s33 offset:116 ; 4-byte Folded Reload
	s_waitcnt vmcnt(0)
	v_add_co_u32_e32 v0, vcc, v0, v10
	s_waitcnt vmcnt(0)
	v_addc_co_u32_e32 v1, vcc, v1, v11, vcc
	ds_write_b64 v0, v[0:1] offset:784
	v_and_b32_e32 v0, 0x2000, v19
	v_cmp_ne_u32_e32 vcc, 0, v0
	s_and_saveexec_b64 s[26:27], vcc
	s_cbranch_execz .LBB4_80
; %bb.79:                               ;   in Loop: Header=BB4_57 Depth=2
	ds_read_b64 v[0:1], v0 offset:872
	s_waitcnt lgkmcnt(0)
	v_add_co_u32_e32 v0, vcc, 1, v0
	v_addc_co_u32_e32 v1, vcc, 0, v1, vcc
	ds_write_b64 v0, v[0:1] offset:872
.LBB4_80:                               ;   in Loop: Header=BB4_57 Depth=2
	s_or_b64 exec, exec, s[26:27]
	buffer_store_dword v8, off, s[0:3], s33 offset:80 ; 4-byte Folded Spill
	s_nop 0
	buffer_store_dword v9, off, s[0:3], s33 offset:84 ; 4-byte Folded Spill
.LBB4_81:                               ;   in Loop: Header=BB4_57 Depth=2
	s_or_b64 exec, exec, s[28:29]
	s_and_saveexec_b64 s[26:27], s[10:11]
	s_cbranch_execz .LBB4_100
; %bb.82:                               ;   in Loop: Header=BB4_57 Depth=2
	s_and_saveexec_b64 s[28:29], s[58:59]
	s_xor_b64 s[28:29], exec, s[28:29]
	s_cbranch_execz .LBB4_97
; %bb.83:                               ;   in Loop: Header=BB4_57 Depth=2
	s_and_saveexec_b64 s[92:93], s[16:17]
	s_cbranch_execz .LBB4_96
; %bb.84:                               ;   in Loop: Header=BB4_57 Depth=2
	s_mov_b64 s[30:31], exec
	v_mbcnt_lo_u32_b32 v0, s30, 0
	v_mbcnt_hi_u32_b32 v0, s31, v0
	v_cmp_eq_u32_e32 vcc, 0, v0
	s_waitcnt vmcnt(0) lgkmcnt(0)
	buffer_wbinvl1_vol
	s_and_saveexec_b64 s[94:95], vcc
	s_cbranch_execz .LBB4_86
; %bb.85:                               ;   in Loop: Header=BB4_57 Depth=2
	s_bcnt1_i32_b64 s45, s[30:31]
	v_mov_b32_e32 v0, s45
	v_mov_b32_e32 v1, v3
	ds_add_u64 v0, v[0:1]
	s_trap 2
.LBB4_86:                               ;   in Loop: Header=BB4_57 Depth=2
	s_or_b64 exec, exec, s[94:95]
	s_trap 2
	ds_read_b64 v[0:1], v0
	s_waitcnt lgkmcnt(0)
	buffer_load_dword v6, off, s[0:3], s33 offset:72 ; 4-byte Folded Reload
	buffer_load_dword v7, off, s[0:3], s33 offset:76 ; 4-byte Folded Reload
	;; [unrolled: 1-line block ×3, first 2 shown]
	s_waitcnt vmcnt(0)
	v_add_co_u32_e32 v6, vcc, v6, v2
	v_addc_co_u32_e32 v7, vcc, 0, v7, vcc
	buffer_store_dword v6, off, s[0:3], s33 offset:72 ; 4-byte Folded Spill
	s_nop 0
	buffer_store_dword v7, off, s[0:3], s33 offset:76 ; 4-byte Folded Spill
	v_cmp_lt_u64_e32 vcc, v[0:1], v[6:7]
	s_and_saveexec_b64 s[94:95], vcc
	s_cbranch_execz .LBB4_95
; %bb.87:                               ;   in Loop: Header=BB4_57 Depth=2
	s_mov_b32 s45, 0
	s_mov_b64 s[30:31], 0
                                        ; implicit-def: $sgpr34_sgpr35
                                        ; implicit-def: $sgpr36_sgpr37
	s_branch .LBB4_89
.LBB4_88:                               ;   in Loop: Header=BB4_89 Depth=3
	s_or_b64 exec, exec, s[48:49]
	s_and_b64 vcc, exec, vcc
	s_or_b64 s[30:31], vcc, s[30:31]
	s_andn2_b64 vcc, s[34:35], exec
	s_and_b64 s[34:35], s[36:37], exec
	s_or_b64 s[34:35], vcc, s[34:35]
	s_andn2_b64 exec, exec, s[30:31]
	s_cbranch_execz .LBB4_93
.LBB4_89:                               ;   Parent Loop BB4_47 Depth=1
                                        ;     Parent Loop BB4_57 Depth=2
                                        ; =>    This Inner Loop Header: Depth=3
	s_add_i32 s45, s45, 1
	s_cmpk_lg_i32 s45, 0x2710
	s_cselect_b64 s[38:39], -1, 0
	s_and_b64 vcc, exec, s[38:39]
	s_cbranch_vccz .LBB4_91
; %bb.90:                               ;   in Loop: Header=BB4_89 Depth=3
	s_mov_b64 vcc, -1
	s_or_b64 s[36:37], s[36:37], exec
	s_and_saveexec_b64 s[48:49], s[38:39]
	s_cbranch_execz .LBB4_88
	s_branch .LBB4_92
.LBB4_91:                               ;   in Loop: Header=BB4_89 Depth=3
	s_trap 2
	ds_read_b64 v[0:1], v0
	s_andn2_b64 s[38:39], s[38:39], exec
	s_mov_b32 s45, 0
	s_waitcnt vmcnt(0) lgkmcnt(0)
	flat_load_dword v0, v[0:1] glc
	s_waitcnt vmcnt(0) lgkmcnt(0)
	buffer_wbinvl1_vol
	v_cmp_eq_u32_e32 vcc, 0, v0
	s_and_b64 vcc, vcc, exec
	s_or_b64 s[38:39], s[38:39], vcc
	s_mov_b64 vcc, -1
	s_or_b64 s[36:37], s[36:37], exec
	s_and_saveexec_b64 s[48:49], s[38:39]
	s_cbranch_execz .LBB4_88
.LBB4_92:                               ;   in Loop: Header=BB4_89 Depth=3
	s_sleep 1
	s_trap 2
	ds_read_b64 v[0:1], v0
	s_waitcnt lgkmcnt(0)
	buffer_load_dword v6, off, s[0:3], s33 offset:72 ; 4-byte Folded Reload
	buffer_load_dword v7, off, s[0:3], s33 offset:76 ; 4-byte Folded Reload
	s_andn2_b64 s[36:37], s[36:37], exec
	s_waitcnt vmcnt(0)
	v_cmp_ge_u64_e32 vcc, v[0:1], v[6:7]
	s_orn2_b64 vcc, vcc, exec
	s_branch .LBB4_88
.LBB4_93:                               ;   in Loop: Header=BB4_57 Depth=2
	s_or_b64 exec, exec, s[30:31]
	s_and_saveexec_b64 vcc, s[34:35]
	s_xor_b64 vcc, exec, vcc
	s_cbranch_execz .LBB4_95
; %bb.94:                               ;   in Loop: Header=BB4_57 Depth=2
	v_mov_b32_e32 v0, 1
	ds_write_b32 v0, v0
	s_trap 2
.LBB4_95:                               ;   in Loop: Header=BB4_57 Depth=2
	s_or_b64 exec, exec, s[94:95]
	;;#ASMSTART
	s_wakeup
	;;#ASMEND
.LBB4_96:                               ;   in Loop: Header=BB4_57 Depth=2
	s_or_b64 exec, exec, s[92:93]
.LBB4_97:                               ;   in Loop: Header=BB4_57 Depth=2
	s_andn2_saveexec_b64 s[28:29], s[28:29]
	s_cbranch_execz .LBB4_99
; %bb.98:                               ;   in Loop: Header=BB4_57 Depth=2
	s_waitcnt vmcnt(0) lgkmcnt(0)
	buffer_wbinvl1_vol
	s_barrier
.LBB4_99:                               ;   in Loop: Header=BB4_57 Depth=2
	s_or_b64 exec, exec, s[28:29]
.LBB4_100:                              ;   in Loop: Header=BB4_57 Depth=2
	s_or_b64 exec, exec, s[26:27]
	s_trap 2
	ds_read_b32 v0, v0
	v_and_b32_e32 v1, 0x4000, v19
	v_cmp_ne_u32_e32 vcc, 0, v1
	s_xor_b64 s[26:27], s[6:7], -1
	s_and_b64 s[28:29], s[26:27], vcc
	s_and_saveexec_b64 s[26:27], s[28:29]
	s_cbranch_execz .LBB4_119
; %bb.101:                              ;   in Loop: Header=BB4_57 Depth=2
	s_and_saveexec_b64 s[28:29], s[58:59]
	s_xor_b64 s[28:29], exec, s[28:29]
	s_cbranch_execz .LBB4_116
; %bb.102:                              ;   in Loop: Header=BB4_57 Depth=2
	s_and_saveexec_b64 s[92:93], s[16:17]
	s_cbranch_execz .LBB4_115
; %bb.103:                              ;   in Loop: Header=BB4_57 Depth=2
	s_mov_b64 s[30:31], exec
	v_mbcnt_lo_u32_b32 v1, s30, 0
	v_mbcnt_hi_u32_b32 v1, s31, v1
	v_cmp_eq_u32_e32 vcc, 0, v1
	s_waitcnt vmcnt(0) lgkmcnt(0)
	buffer_wbinvl1_vol
	s_and_saveexec_b64 s[94:95], vcc
	s_cbranch_execz .LBB4_105
; %bb.104:                              ;   in Loop: Header=BB4_57 Depth=2
	s_bcnt1_i32_b64 s45, s[30:31]
	v_mov_b32_e32 v1, s45
	v_mov_b32_e32 v2, v3
	ds_add_u64 v0, v[1:2]
	s_trap 2
.LBB4_105:                              ;   in Loop: Header=BB4_57 Depth=2
	s_or_b64 exec, exec, s[94:95]
	s_trap 2
	ds_read_b64 v[1:2], v0
	s_waitcnt lgkmcnt(0)
	buffer_load_dword v6, off, s[0:3], s33 offset:72 ; 4-byte Folded Reload
	buffer_load_dword v7, off, s[0:3], s33 offset:76 ; 4-byte Folded Reload
	buffer_load_dword v4, off, s[0:3], s33 offset:88 ; 4-byte Folded Reload
	s_waitcnt vmcnt(0)
	v_add_co_u32_e32 v6, vcc, v6, v4
	v_addc_co_u32_e32 v7, vcc, 0, v7, vcc
	buffer_store_dword v6, off, s[0:3], s33 offset:72 ; 4-byte Folded Spill
	s_nop 0
	buffer_store_dword v7, off, s[0:3], s33 offset:76 ; 4-byte Folded Spill
	v_cmp_lt_u64_e32 vcc, v[1:2], v[6:7]
	s_and_saveexec_b64 s[94:95], vcc
	s_cbranch_execz .LBB4_114
; %bb.106:                              ;   in Loop: Header=BB4_57 Depth=2
	s_mov_b32 s45, 0
	s_mov_b64 s[30:31], 0
                                        ; implicit-def: $sgpr34_sgpr35
                                        ; implicit-def: $sgpr36_sgpr37
	s_branch .LBB4_108
.LBB4_107:                              ;   in Loop: Header=BB4_108 Depth=3
	s_or_b64 exec, exec, s[48:49]
	s_and_b64 vcc, exec, vcc
	s_or_b64 s[30:31], vcc, s[30:31]
	s_andn2_b64 vcc, s[34:35], exec
	s_and_b64 s[34:35], s[36:37], exec
	s_or_b64 s[34:35], vcc, s[34:35]
	s_andn2_b64 exec, exec, s[30:31]
	s_cbranch_execz .LBB4_112
.LBB4_108:                              ;   Parent Loop BB4_47 Depth=1
                                        ;     Parent Loop BB4_57 Depth=2
                                        ; =>    This Inner Loop Header: Depth=3
	s_add_i32 s45, s45, 1
	s_cmpk_lg_i32 s45, 0x2710
	s_cselect_b64 s[38:39], -1, 0
	s_and_b64 vcc, exec, s[38:39]
	s_cbranch_vccz .LBB4_110
; %bb.109:                              ;   in Loop: Header=BB4_108 Depth=3
	s_mov_b64 vcc, -1
	s_or_b64 s[36:37], s[36:37], exec
	s_and_saveexec_b64 s[48:49], s[38:39]
	s_cbranch_execz .LBB4_107
	s_branch .LBB4_111
.LBB4_110:                              ;   in Loop: Header=BB4_108 Depth=3
	s_trap 2
	ds_read_b64 v[1:2], v0
	s_andn2_b64 s[38:39], s[38:39], exec
	s_mov_b32 s45, 0
	s_waitcnt vmcnt(0) lgkmcnt(0)
	flat_load_dword v1, v[1:2] glc
	s_waitcnt vmcnt(0) lgkmcnt(0)
	buffer_wbinvl1_vol
	v_cmp_eq_u32_e32 vcc, 0, v1
	s_and_b64 vcc, vcc, exec
	s_or_b64 s[38:39], s[38:39], vcc
	s_mov_b64 vcc, -1
	s_or_b64 s[36:37], s[36:37], exec
	s_and_saveexec_b64 s[48:49], s[38:39]
	s_cbranch_execz .LBB4_107
.LBB4_111:                              ;   in Loop: Header=BB4_108 Depth=3
	s_sleep 1
	s_trap 2
	ds_read_b64 v[1:2], v0
	s_waitcnt lgkmcnt(0)
	buffer_load_dword v6, off, s[0:3], s33 offset:72 ; 4-byte Folded Reload
	buffer_load_dword v7, off, s[0:3], s33 offset:76 ; 4-byte Folded Reload
	s_andn2_b64 s[36:37], s[36:37], exec
	s_waitcnt vmcnt(0)
	v_cmp_ge_u64_e32 vcc, v[1:2], v[6:7]
	s_orn2_b64 vcc, vcc, exec
	s_branch .LBB4_107
.LBB4_112:                              ;   in Loop: Header=BB4_57 Depth=2
	s_or_b64 exec, exec, s[30:31]
	s_and_saveexec_b64 vcc, s[34:35]
	s_xor_b64 vcc, exec, vcc
	s_cbranch_execz .LBB4_114
; %bb.113:                              ;   in Loop: Header=BB4_57 Depth=2
	v_mov_b32_e32 v1, 1
	ds_write_b32 v0, v1
	s_trap 2
.LBB4_114:                              ;   in Loop: Header=BB4_57 Depth=2
	s_or_b64 exec, exec, s[94:95]
	;;#ASMSTART
	s_wakeup
	;;#ASMEND
.LBB4_115:                              ;   in Loop: Header=BB4_57 Depth=2
	s_or_b64 exec, exec, s[92:93]
.LBB4_116:                              ;   in Loop: Header=BB4_57 Depth=2
	s_andn2_saveexec_b64 s[28:29], s[28:29]
	s_cbranch_execz .LBB4_118
; %bb.117:                              ;   in Loop: Header=BB4_57 Depth=2
	s_waitcnt vmcnt(0) lgkmcnt(0)
	buffer_wbinvl1_vol
	s_barrier
.LBB4_118:                              ;   in Loop: Header=BB4_57 Depth=2
	s_or_b64 exec, exec, s[28:29]
.LBB4_119:                              ;   in Loop: Header=BB4_57 Depth=2
	s_or_b64 exec, exec, s[26:27]
	s_trap 2
	s_waitcnt lgkmcnt(0)
	ds_read_b64 v[52:53], v0
	s_waitcnt lgkmcnt(0)
	v_cmp_eq_u64_e32 vcc, 0, v[52:53]
	s_cbranch_vccnz .LBB4_127
; %bb.120:                              ;   in Loop: Header=BB4_57 Depth=2
	s_trap 2
	ds_read_b64 v[54:55], v0
	s_waitcnt lgkmcnt(0)
	v_cmp_eq_u64_e32 vcc, 0, v[54:55]
	s_cbranch_vccnz .LBB4_133
; %bb.121:                              ;   in Loop: Header=BB4_57 Depth=2
	s_mov_b64 s[28:29], -1
	s_and_saveexec_b64 s[26:27], s[18:19]
	s_cbranch_execz .LBB4_123
; %bb.122:                              ;   in Loop: Header=BB4_57 Depth=2
	ds_read_b32 v1, v0 offset:720
	s_waitcnt lgkmcnt(0)
	v_and_b32_e32 v1, 15, v1
	v_cmp_eq_u32_e32 vcc, 0, v1
	s_orn2_b64 s[28:29], vcc, exec
.LBB4_123:                              ;   in Loop: Header=BB4_57 Depth=2
	s_or_b64 exec, exec, s[26:27]
	s_and_saveexec_b64 s[26:27], s[20:21]
	s_cbranch_execz .LBB4_125
; %bb.124:                              ;   in Loop: Header=BB4_57 Depth=2
	ds_read_b32 v1, v0 offset:784
	s_waitcnt lgkmcnt(0)
	v_and_b32_e32 v1, 15, v1
	v_cmp_eq_u32_e32 vcc, 0, v1
	s_and_b64 s[92:93], s[28:29], vcc
	s_andn2_b64 s[28:29], s[28:29], exec
	s_and_b64 s[92:93], s[92:93], exec
	s_or_b64 s[28:29], s[28:29], s[92:93]
.LBB4_125:                              ;   in Loop: Header=BB4_57 Depth=2
	s_or_b64 exec, exec, s[26:27]
	buffer_load_dword v4, off, s[0:3], s33 offset:176 ; 4-byte Folded Reload
	s_xor_b64 s[28:29], s[28:29], -1
	v_cmp_eq_u32_e32 vcc, 0, v0
	v_cndmask_b32_e64 v0, 0, 1, s[28:29]
	v_cndmask_b32_e32 v1, 0, v33, vcc
	s_mov_b64 s[26:27], -1
	v_cmp_ne_u32_e32 vcc, 0, v0
	v_mov_b32_e32 v0, 0
	buffer_store_dword v1, off, s[0:3], s33 offset:364 ; 4-byte Folded Spill
	s_cbranch_vccz .LBB4_134
; %bb.126:                              ;   in Loop: Header=BB4_57 Depth=2
	s_and_saveexec_b64 s[28:29], s[26:27]
	s_cbranch_execnz .LBB4_1921
	s_branch .LBB4_2381
.LBB4_127:                              ;   in Loop: Header=BB4_57 Depth=2
	s_mov_b64 s[26:27], 0
	s_and_saveexec_b64 s[28:29], s[10:11]
	s_cbranch_execnz .LBB4_2382
.LBB4_128:                              ;   in Loop: Header=BB4_57 Depth=2
	s_or_b64 exec, exec, s[28:29]
                                        ; implicit-def: $vgpr0
	s_and_saveexec_b64 s[28:29], s[24:25]
	s_xor_b64 s[28:29], exec, s[28:29]
	s_cbranch_execz .LBB4_2400
.LBB4_129:                              ;   in Loop: Header=BB4_57 Depth=2
	v_and_b32_e32 v1, 16, v19
	v_cmp_ne_u32_e32 vcc, 0, v1
	v_and_b32_e32 v0, 16, v19
	s_and_b64 s[92:93], vcc, s[26:27]
	s_and_saveexec_b64 s[26:27], s[92:93]
	s_cbranch_execz .LBB4_131
; %bb.130:                              ;   in Loop: Header=BB4_57 Depth=2
	v_mov_b32_e32 v0, 1
	s_waitcnt vmcnt(0) lgkmcnt(0)
	buffer_wbinvl1_vol
.LBB4_131:                              ;   in Loop: Header=BB4_57 Depth=2
	s_or_b64 exec, exec, s[26:27]
	s_andn2_saveexec_b64 s[26:27], s[28:29]
	s_cbranch_execnz .LBB4_2401
.LBB4_132:                              ;   in Loop: Header=BB4_57 Depth=2
	s_or_b64 exec, exec, s[26:27]
	v_cmp_ne_u32_e32 vcc, 0, v0
	s_and_saveexec_b64 s[26:27], vcc
	s_cbranch_execz .LBB4_56
	s_branch .LBB4_2419
.LBB4_133:                              ;   in Loop: Header=BB4_57 Depth=2
	buffer_load_dword v16, off, s[0:3], s33 offset:368 ; 4-byte Folded Reload
	s_mov_b64 s[26:27], 0
	s_and_saveexec_b64 s[28:29], s[10:11]
	s_cbranch_execnz .LBB4_2382
	s_branch .LBB4_128
.LBB4_134:                              ;   in Loop: Header=BB4_57 Depth=2
	buffer_load_dword v1, off, s[0:3], s33 offset:364 ; 4-byte Folded Reload
	s_waitcnt vmcnt(0)
	v_ashrrev_i32_e32 v0, 31, v1
	v_lshrrev_b32_e32 v0, 20, v0
	v_add_u32_e32 v0, v1, v0
	v_ashrrev_i32_e32 v1, 12, v0
	buffer_load_dword v0, off, s[0:3], s33 offset:212 ; 4-byte Folded Reload
	s_waitcnt vmcnt(0)
	v_sub_u32_e32 v38, v1, v0
	v_cmp_lt_i32_e32 vcc, 0, v38
	s_and_saveexec_b64 s[28:29], vcc
	s_cbranch_execz .LBB4_1554
; %bb.135:                              ;   in Loop: Header=BB4_57 Depth=2
	buffer_store_dword v1, off, s[0:3], s33 offset:384 ; 4-byte Folded Spill
	buffer_store_dword v50, off, s[0:3], s33 offset:380 ; 4-byte Folded Spill
	s_trap 2
	ds_read_b64 v[0:1], v0
	v_mov_b32_e32 v40, v54
	v_mov_b32_e32 v42, v52
	;; [unrolled: 1-line block ×4, first 2 shown]
	s_waitcnt lgkmcnt(0)
	v_readfirstlane_b32 s26, v0
	s_and_b32 s27, s26, 7
	s_flbit_i32_b32 s27, s27
	s_min_u32 s27, s27, 32
	s_and_b32 s45, s26, 0x7f
	s_bfe_u32 s47, s26, 0x40003
	s_sub_i32 s92, s27, 28
	s_sub_i32 s27, 29, s27
	s_cmp_lt_u32 s45, 8
	s_cselect_b32 s92, s92, 0
	s_cselect_b32 s27, s27, s47
	v_lshlrev_b64 v[0:1], s92, v[0:1]
	s_lshl_b32 s47, s26, 24
	s_lshl_b32 s27, s27, 23
	s_and_b32 s47, s47, 0x80000000
	s_add_i32 s27, s27, 0x3c000000
	v_lshlrev_b32_e32 v0, 20, v0
	s_or_b32 s27, s47, s27
	v_and_b32_e32 v0, 0x700000, v0
	s_cmpk_lg_i32 s45, 0x7f
	v_or_b32_e32 v0, s27, v0
	s_cselect_b64 vcc, -1, 0
	v_mov_b32_e32 v1, 0x7f800001
	v_cndmask_b32_e32 v0, v1, v0, vcc
	s_mov_b64 s[92:93], 0
	s_and_b32 s45, s26, 0xff
	buffer_store_dword v0, off, s[0:3], s33 offset:360 ; 4-byte Folded Spill
	s_branch .LBB4_137
.LBB4_136:                              ;   in Loop: Header=BB4_137 Depth=3
	s_or_b64 exec, exec, s[26:27]
	v_lshl_or_b32 v0, v36, 8, v34
	v_lshl_or_b32 v8, v30, 8, v17
	v_lshlrev_b32_e32 v9, 16, v37
	v_lshlrev_b32_e32 v10, 24, v48
	;; [unrolled: 1-line block ×4, first 2 shown]
	v_or3_b32 v9, v0, v9, v10
	v_or3_b32 v8, v8, v11, v17
	v_lshl_or_b32 v0, v50, 8, v49
	v_lshlrev_b32_e32 v10, 16, v56
	v_lshlrev_b32_e32 v11, 24, v57
	v_or3_b32 v10, v0, v10, v11
	v_lshl_or_b32 v0, v26, 8, v16
	v_lshlrev_b32_e32 v11, 24, v27
	v_lshlrev_b32_e32 v16, 16, v47
	v_or3_b32 v11, v0, v16, v11
	buffer_load_dword v0, off, s[0:3], s33 offset:296 ; 4-byte Folded Reload
	buffer_load_dword v16, off, s[0:3], s33 offset:300 ; 4-byte Folded Reload
	v_lshlrev_b32_e32 v4, 16, v4
	v_lshlrev_b32_e32 v12, 24, v12
	;; [unrolled: 1-line block ×3, first 2 shown]
	buffer_load_dword v17, off, s[0:3], s33 offset:308 ; 4-byte Folded Reload
	s_waitcnt vmcnt(1)
	v_lshl_or_b32 v0, v16, 8, v0
	buffer_load_dword v16, off, s[0:3], s33 offset:304 ; 4-byte Folded Reload
	s_waitcnt vmcnt(1)
	v_lshlrev_b32_e32 v17, 24, v17
	s_waitcnt vmcnt(0)
	v_lshlrev_b32_e32 v16, 16, v16
	v_or3_b32 v26, v0, v16, v17
	buffer_load_dword v0, off, s[0:3], s33 offset:284 ; 4-byte Folded Reload
	buffer_load_dword v16, off, s[0:3], s33 offset:288 ; 4-byte Folded Reload
	;; [unrolled: 1-line block ×3, first 2 shown]
	s_waitcnt vmcnt(2)
	v_lshl_or_b32 v0, v0, 8, v25
	s_waitcnt vmcnt(1)
	v_lshlrev_b32_e32 v16, 16, v16
	s_waitcnt vmcnt(0)
	v_lshlrev_b32_e32 v17, 24, v17
	v_or3_b32 v25, v0, v16, v17
	buffer_load_dword v0, off, s[0:3], s33 offset:312 ; 4-byte Folded Reload
	buffer_load_dword v16, off, s[0:3], s33 offset:316 ; 4-byte Folded Reload
	buffer_load_dword v17, off, s[0:3], s33 offset:324 ; 4-byte Folded Reload
	s_waitcnt vmcnt(1)
	v_lshl_or_b32 v0, v16, 8, v0
	buffer_load_dword v16, off, s[0:3], s33 offset:320 ; 4-byte Folded Reload
	s_waitcnt vmcnt(1)
	v_lshlrev_b32_e32 v17, 24, v17
	s_waitcnt vmcnt(0)
	v_lshlrev_b32_e32 v16, 16, v16
	v_or3_b32 v27, v0, v16, v17
	buffer_load_dword v16, off, s[0:3], s33 offset:328 ; 4-byte Folded Reload
	v_lshlrev_b32_e32 v0, 24, v21
	s_waitcnt vmcnt(0)
	v_lshl_or_b32 v1, v1, 8, v16
	v_or3_b32 v28, v1, v4, v0
	buffer_load_dword v0, off, s[0:3], s33 offset:204 ; 4-byte Folded Reload
	buffer_load_dword v1, off, s[0:3], s33 offset:220 ; 4-byte Folded Reload
	;; [unrolled: 1-line block ×3, first 2 shown]
	s_waitcnt vmcnt(1)
	v_lshl_or_b32 v0, v1, 8, v0
	buffer_load_dword v1, off, s[0:3], s33 offset:228 ; 4-byte Folded Reload
	s_waitcnt vmcnt(1)
	v_lshlrev_b32_e32 v4, 24, v4
	s_waitcnt vmcnt(0)
	v_lshlrev_b32_e32 v1, 16, v1
	v_or3_b32 v35, v0, v1, v4
	buffer_load_dword v0, off, s[0:3], s33 offset:96 ; 4-byte Folded Reload
	buffer_load_dword v1, off, s[0:3], s33 offset:144 ; 4-byte Folded Reload
	;; [unrolled: 1-line block ×3, first 2 shown]
	s_waitcnt vmcnt(2)
	v_lshl_or_b32 v0, v0, 8, v24
	s_waitcnt vmcnt(1)
	v_lshlrev_b32_e32 v1, 16, v1
	s_waitcnt vmcnt(0)
	v_lshlrev_b32_e32 v4, 24, v4
	v_or3_b32 v34, v0, v1, v4
	buffer_load_dword v0, off, s[0:3], s33 offset:244 ; 4-byte Folded Reload
	buffer_load_dword v1, off, s[0:3], s33 offset:248 ; 4-byte Folded Reload
	buffer_load_dword v4, off, s[0:3], s33 offset:260 ; 4-byte Folded Reload
	s_waitcnt vmcnt(1)
	v_lshl_or_b32 v0, v1, 8, v0
	buffer_load_dword v1, off, s[0:3], s33 offset:256 ; 4-byte Folded Reload
	s_waitcnt vmcnt(1)
	v_lshlrev_b32_e32 v4, 24, v4
	s_waitcnt vmcnt(0)
	v_lshlrev_b32_e32 v1, 16, v1
	v_or3_b32 v36, v0, v1, v4
	buffer_load_dword v0, off, s[0:3], s33 offset:280 ; 4-byte Folded Reload
	buffer_load_dword v1, off, s[0:3], s33 offset:276 ; 4-byte Folded Reload
	;; [unrolled: 1-line block ×4, first 2 shown]
	s_waitcnt vmcnt(3)
	v_lshlrev_b32_e32 v0, 24, v0
	s_waitcnt vmcnt(2)
	v_lshlrev_b32_e32 v1, 16, v1
	s_waitcnt vmcnt(0)
	v_lshl_or_b32 v4, v16, 8, v4
	v_or3_b32 v37, v4, v1, v0
	buffer_load_dword v0, off, s[0:3], s33 offset:216 ; 4-byte Folded Reload
	v_lshl_or_b32 v4, v13, 8, v31
	v_lshlrev_b32_e32 v13, 16, v46
	v_or3_b32 v13, v4, v13, v12
	v_lshl_or_b32 v4, v6, 8, v18
	v_lshlrev_b32_e32 v6, 16, v7
	v_lshlrev_b32_e32 v7, 24, v20
	v_or3_b32 v12, v4, v6, v7
	v_lshl_or_b32 v4, v61, 8, v59
	v_lshlrev_b32_e32 v6, 16, v39
	v_lshlrev_b32_e32 v7, 24, v14
	v_or3_b32 v14, v4, v6, v7
	v_lshlrev_b32_e32 v4, 16, v44
	v_lshl_or_b32 v6, v58, 8, v15
	v_or3_b32 v15, v6, v4, v2
	s_waitcnt vmcnt(0)
	v_add_co_u32_e32 v0, vcc, v0, v40
	v_addc_co_u32_e32 v1, vcc, 0, v41, vcc
	global_store_dwordx4 v[0:1], v[34:37], off glc slc
	global_store_dwordx4 v[0:1], v[25:28], off offset:1024 glc slc
	global_store_dwordx4 v[0:1], v[8:11], off offset:2048 glc slc
	;; [unrolled: 1-line block ×3, first 2 shown]
	buffer_load_dword v0, off, s[0:3], s33 offset:88 ; 4-byte Folded Reload
	s_waitcnt vmcnt(0)
	v_sub_u32_e32 v38, v38, v0
	buffer_load_dword v0, off, s[0:3], s33 offset:332 ; 4-byte Folded Reload
	s_waitcnt vmcnt(0)
	v_add_co_u32_e32 v42, vcc, v42, v0
	v_addc_co_u32_e32 v43, vcc, 0, v43, vcc
	v_cmp_gt_i32_e32 vcc, 1, v38
	s_or_b64 s[92:93], vcc, s[92:93]
	v_add_co_u32_e32 v40, vcc, v40, v0
	v_addc_co_u32_e32 v41, vcc, 0, v41, vcc
	s_andn2_b64 exec, exec, s[92:93]
	s_cbranch_execz .LBB4_1553
.LBB4_137:                              ;   Parent Loop BB4_47 Depth=1
                                        ;     Parent Loop BB4_57 Depth=2
                                        ; =>    This Inner Loop Header: Depth=3
	buffer_load_dword v0, off, s[0:3], s33 offset:216 ; 4-byte Folded Reload
	s_cmpk_lt_i32 s45, 0x80
	s_cbranch_scc1 .LBB4_141
; %bb.138:                              ;   in Loop: Header=BB4_137 Depth=3
	s_and_b32 s47, 0xffff, s45
	s_mov_b64 s[26:27], -1
	s_cmpk_eq_i32 s47, 0x80
	s_cbranch_scc0 .LBB4_140
; %bb.139:                              ;   in Loop: Header=BB4_137 Depth=3
	s_mov_b64 s[26:27], 0
.LBB4_140:                              ;   in Loop: Header=BB4_137 Depth=3
	s_brev_b32 s47, 1
	s_branch .LBB4_143
.LBB4_141:                              ;   in Loop: Header=BB4_137 Depth=3
	s_mov_b64 s[26:27], 0
	s_brev_b32 s47, 1
	s_cbranch_execz .LBB4_143
; %bb.142:                              ;   in Loop: Header=BB4_137 Depth=3
	s_and_b32 s26, 0xffff, s45
	s_cmp_lg_u32 s26, 0
	s_mov_b32 s47, 0
	s_cselect_b64 s[26:27], -1, 0
.LBB4_143:                              ;   in Loop: Header=BB4_137 Depth=3
	s_andn2_b64 vcc, exec, s[26:27]
	v_mov_b32_e32 v60, s47
	s_cbranch_vccnz .LBB4_145
; %bb.144:                              ;   in Loop: Header=BB4_137 Depth=3
	buffer_load_dword v60, off, s[0:3], s33 offset:360 ; 4-byte Folded Reload
.LBB4_145:                              ;   in Loop: Header=BB4_137 Depth=3
	s_waitcnt vmcnt(0)
	v_add_co_u32_e32 v44, vcc, v0, v42
	v_addc_co_u32_e32 v45, vcc, 0, v43, vcc
	global_load_dwordx4 v[8:11], v[44:45], off glc slc
	v_mov_b32_e32 v0, 0
	s_waitcnt vmcnt(0)
	v_cmp_ne_u16_sdwa s[94:95], v8, v3 src0_sel:BYTE_0 src1_sel:DWORD
	s_and_saveexec_b64 s[26:27], s[94:95]
	s_cbranch_execz .LBB4_151
; %bb.146:                              ;   in Loop: Header=BB4_137 Depth=3
	v_cmp_ne_u16_sdwa vcc, v8, s70 src0_sel:BYTE_0 src1_sel:DWORD
	v_bfrev_b32_e32 v0, 1
	s_and_saveexec_b64 s[94:95], vcc
	s_cbranch_execz .LBB4_150
; %bb.147:                              ;   in Loop: Header=BB4_137 Depth=3
	v_and_b32_e32 v1, 0x7f, v8
	v_cmp_ne_u32_e32 vcc, s68, v1
	v_mov_b32_e32 v0, 0x7f800001
	s_and_saveexec_b64 s[30:31], vcc
	s_cbranch_execz .LBB4_149
; %bb.148:                              ;   in Loop: Header=BB4_137 Depth=3
	v_and_b32_e32 v0, 7, v8
	v_ffbh_u32_e32 v0, v0
	v_min_u32_e32 v0, 32, v0
	v_lshrrev_b32_e32 v2, 3, v1
	v_cmp_gt_u32_e32 vcc, 8, v1
	v_subrev_u32_e32 v1, 28, v0
	v_sub_u32_e32 v0, 29, v0
	v_cndmask_b32_e32 v2, v2, v0, vcc
	v_cndmask_b32_e32 v0, 0, v1, vcc
	v_lshlrev_b64 v[0:1], v0, v[8:9]
	v_lshlrev_b32_e32 v1, 24, v8
	v_lshlrev_b32_e32 v0, 20, v0
	v_and_b32_e32 v0, 0x700000, v0
	v_and_b32_e32 v1, 0x80000000, v1
	v_lshl_add_u32 v2, v2, 23, v5
	v_or3_b32 v0, v1, v2, v0
.LBB4_149:                              ;   in Loop: Header=BB4_137 Depth=3
	s_or_b64 exec, exec, s[30:31]
.LBB4_150:                              ;   in Loop: Header=BB4_137 Depth=3
	s_or_b64 exec, exec, s[94:95]
.LBB4_151:                              ;   in Loop: Header=BB4_137 Depth=3
	s_or_b64 exec, exec, s[26:27]
	v_mul_f32_e32 v1, v60, v0
	v_and_b32_e32 v2, 0x7f800000, v1
	v_cmp_ne_u64_e32 vcc, s[62:63], v[2:3]
                                        ; implicit-def: $vgpr24
	s_and_saveexec_b64 s[26:27], vcc
	s_xor_b64 s[94:95], exec, s[26:27]
	s_cbranch_execz .LBB4_165
; %bb.152:                              ;   in Loop: Header=BB4_137 Depth=3
	v_and_b32_e32 v2, 0x7fffffff, v1
	v_cmp_gt_u64_e32 vcc, s[72:73], v[2:3]
	v_and_b32_sdwa v0, v1, s70 dst_sel:DWORD dst_unused:UNUSED_PAD src0_sel:BYTE_3 src1_sel:DWORD
                                        ; implicit-def: $vgpr24
	s_and_saveexec_b64 s[26:27], vcc
	s_xor_b64 s[30:31], exec, s[26:27]
	s_cbranch_execz .LBB4_162
; %bb.153:                              ;   in Loop: Header=BB4_137 Depth=3
	v_mov_b32_e32 v24, 0
	v_cmp_ne_u32_e32 vcc, 0, v1
	s_and_saveexec_b64 s[34:35], vcc
	s_cbranch_execz .LBB4_161
; %bb.154:                              ;   in Loop: Header=BB4_137 Depth=3
	v_and_b32_e32 v2, 0x7fffff, v1
	v_bfe_u32 v1, v1, 23, 8
	v_cmp_gt_u32_e64 s[26:27], s71, v1
	v_sub_u32_e32 v4, 0x79, v1
	v_cmp_eq_u32_e32 vcc, 0, v1
	v_cndmask_b32_e64 v4, 0, v4, s[26:27]
	v_mov_b32_e32 v7, 0x78
	v_or_b32_e32 v6, 0x800000, v2
	v_cndmask_b32_e32 v4, v4, v7, vcc
	v_cndmask_b32_e32 v2, v6, v2, vcc
	v_add_u32_e32 v6, 20, v4
	v_lshlrev_b64 v[6:7], v6, -1
	v_add_u32_e32 v12, 19, v4
	v_lshlrev_b64 v[12:13], v12, 1
	v_lshrrev_b64 v[46:47], v4, v[2:3]
	v_bfi_b32 v7, v7, 0, 0
	v_bfi_b32 v6, v6, 0, v2
	v_cmp_eq_u64_e64 s[26:27], v[6:7], v[12:13]
	v_mov_b32_e32 v57, v47
	v_mov_b32_e32 v56, v46
	s_and_saveexec_b64 s[36:37], s[26:27]
; %bb.155:                              ;   in Loop: Header=BB4_137 Depth=3
	v_bfe_u32 v2, v46, 20, 1
	v_add_co_u32_e64 v2, s[26:27], v46, v2
	v_add_co_u32_e64 v56, s[26:27], -1, v2
; %bb.156:                              ;   in Loop: Header=BB4_137 Depth=3
	s_or_b64 exec, exec, s[36:37]
	v_add_u32_e32 v1, 0xffffff81, v1
	v_mov_b32_e32 v2, 0xffffff82
	v_cndmask_b32_e32 v1, v1, v2, vcc
	v_lshrrev_b32_e32 v2, 23, v46
	v_add3_u32 v6, v4, v1, v2
	v_add_u32_e32 v4, 6, v6
	v_and_b32_e32 v1, 0xfffff, v56
	v_add_u32_e32 v2, v1, v46
	v_cmp_ne_u32_e32 vcc, 0, v4
                                        ; implicit-def: $vgpr46_vgpr47
                                        ; implicit-def: $vgpr1
	s_and_saveexec_b64 s[26:27], vcc
	s_xor_b64 s[26:27], exec, s[26:27]
; %bb.157:                              ;   in Loop: Header=BB4_137 Depth=3
	v_cmp_lt_u64_e32 vcc, s[74:75], v[2:3]
	v_add_u32_e32 v1, 7, v6
	v_cndmask_b32_e32 v1, v4, v1, vcc
	v_cndmask_b32_e64 v4, 0, 1, vcc
	v_lshrrev_b64 v[46:47], v4, v[2:3]
; %bb.158:                              ;   in Loop: Header=BB4_137 Depth=3
	s_andn2_saveexec_b64 s[26:27], s[26:27]
; %bb.159:                              ;   in Loop: Header=BB4_137 Depth=3
	v_mov_b32_e32 v47, v3
	v_bfe_u32 v1, v2, 23, 1
	v_mov_b32_e32 v46, v2
; %bb.160:                              ;   in Loop: Header=BB4_137 Depth=3
	s_or_b64 exec, exec, s[26:27]
	v_lshrrev_b64 v[6:7], 20, v[46:47]
	v_cmp_gt_i32_e32 vcc, 16, v1
	v_cndmask_b32_e32 v7, 0, v7, vcc
	v_cndmask_b32_e32 v6, 7, v6, vcc
	v_cmp_eq_u32_e32 vcc, 0, v1
	v_min_i32_e32 v1, 15, v1
	v_cmp_eq_u64_e64 s[26:27], 0, v[6:7]
	v_lshlrev_b32_e32 v1, 3, v1
	v_and_b32_e32 v1, 0xf8, v1
	v_and_or_b32 v1, v6, 7, v1
	s_and_b64 s[26:27], vcc, s[26:27]
	v_cndmask_b32_e64 v1, v1, 0, s[26:27]
	v_or_b32_e32 v24, v1, v0
.LBB4_161:                              ;   in Loop: Header=BB4_137 Depth=3
	s_or_b64 exec, exec, s[34:35]
                                        ; implicit-def: $vgpr0
.LBB4_162:                              ;   in Loop: Header=BB4_137 Depth=3
	s_andn2_saveexec_b64 s[26:27], s[30:31]
; %bb.163:                              ;   in Loop: Header=BB4_137 Depth=3
	v_or_b32_e32 v24, 0x7e, v0
; %bb.164:                              ;   in Loop: Header=BB4_137 Depth=3
	s_or_b64 exec, exec, s[26:27]
                                        ; implicit-def: $vgpr1
.LBB4_165:                              ;   in Loop: Header=BB4_137 Depth=3
	s_andn2_saveexec_b64 s[26:27], s[94:95]
; %bb.166:                              ;   in Loop: Header=BB4_137 Depth=3
	v_or_b32_sdwa v24, v1, s68 dst_sel:DWORD dst_unused:UNUSED_PAD src0_sel:BYTE_3 src1_sel:DWORD
; %bb.167:                              ;   in Loop: Header=BB4_137 Depth=3
	s_or_b64 exec, exec, s[26:27]
	v_lshrrev_b16_e32 v2, 8, v8
	v_cmp_ne_u16_e32 vcc, 0, v2
	v_mov_b32_e32 v0, 0
	s_and_saveexec_b64 s[26:27], vcc
	s_cbranch_execz .LBB4_173
; %bb.168:                              ;   in Loop: Header=BB4_137 Depth=3
	v_cmp_ne_u16_e32 vcc, s70, v2
	v_bfrev_b32_e32 v0, 1
	s_and_saveexec_b64 s[94:95], vcc
	s_cbranch_execz .LBB4_172
; %bb.169:                              ;   in Loop: Header=BB4_137 Depth=3
	v_and_b32_e32 v1, 0x7f, v2
	v_cmp_ne_u32_e32 vcc, s68, v1
	v_mov_b32_e32 v0, 0x7f800001
	s_and_saveexec_b64 s[30:31], vcc
	s_cbranch_execz .LBB4_171
; %bb.170:                              ;   in Loop: Header=BB4_137 Depth=3
	v_and_b32_e32 v4, 7, v2
	v_ffbh_u32_e32 v0, v4
	v_min_u32_e32 v7, 32, v0
	v_subrev_u32_e32 v0, 28, v7
	v_lshrrev_b32_e32 v6, 3, v1
	v_cmp_gt_u32_e32 vcc, 8, v1
	v_lshlrev_b64 v[0:1], v0, v[2:3]
	v_sub_u32_e32 v1, 29, v7
	v_and_b32_e32 v0, 7, v0
	v_cndmask_b32_e32 v1, v6, v1, vcc
	v_cndmask_b32_e32 v0, v4, v0, vcc
	v_lshlrev_b32_e32 v2, 16, v8
	v_lshlrev_b32_e32 v0, 20, v0
	v_and_b32_e32 v2, 0x80000000, v2
	v_lshl_add_u32 v1, v1, 23, v5
	v_or3_b32 v0, v2, v1, v0
.LBB4_171:                              ;   in Loop: Header=BB4_137 Depth=3
	s_or_b64 exec, exec, s[30:31]
.LBB4_172:                              ;   in Loop: Header=BB4_137 Depth=3
	s_or_b64 exec, exec, s[94:95]
.LBB4_173:                              ;   in Loop: Header=BB4_137 Depth=3
	s_or_b64 exec, exec, s[26:27]
	v_mul_f32_e32 v1, v60, v0
	v_and_b32_e32 v2, 0x7f800000, v1
	v_cmp_ne_u64_e32 vcc, s[62:63], v[2:3]
                                        ; implicit-def: $vgpr0
                                        ; kill: killed $vgpr0
	s_and_saveexec_b64 s[26:27], vcc
	s_xor_b64 s[94:95], exec, s[26:27]
	s_cbranch_execz .LBB4_187
; %bb.174:                              ;   in Loop: Header=BB4_137 Depth=3
	v_and_b32_e32 v2, 0x7fffffff, v1
	v_cmp_gt_u64_e32 vcc, s[72:73], v[2:3]
	v_and_b32_sdwa v0, v1, s70 dst_sel:DWORD dst_unused:UNUSED_PAD src0_sel:BYTE_3 src1_sel:DWORD
                                        ; implicit-def: $vgpr2
                                        ; kill: killed $vgpr2
	s_and_saveexec_b64 s[26:27], vcc
	s_xor_b64 s[30:31], exec, s[26:27]
	s_cbranch_execz .LBB4_184
; %bb.175:                              ;   in Loop: Header=BB4_137 Depth=3
	v_mov_b32_e32 v2, 0
	v_cmp_ne_u32_e32 vcc, 0, v1
	buffer_store_dword v2, off, s[0:3], s33 offset:96 ; 4-byte Folded Spill
	s_and_saveexec_b64 s[34:35], vcc
	s_cbranch_execz .LBB4_183
; %bb.176:                              ;   in Loop: Header=BB4_137 Depth=3
	v_and_b32_e32 v2, 0x7fffff, v1
	v_bfe_u32 v1, v1, 23, 8
	v_cmp_gt_u32_e64 s[26:27], s71, v1
	v_sub_u32_e32 v4, 0x79, v1
	v_cmp_eq_u32_e32 vcc, 0, v1
	v_cndmask_b32_e64 v4, 0, v4, s[26:27]
	v_mov_b32_e32 v7, 0x78
	v_or_b32_e32 v6, 0x800000, v2
	v_cndmask_b32_e32 v4, v4, v7, vcc
	v_cndmask_b32_e32 v2, v6, v2, vcc
	v_add_u32_e32 v6, 20, v4
	v_lshlrev_b64 v[6:7], v6, -1
	v_add_u32_e32 v12, 19, v4
	v_lshlrev_b64 v[12:13], v12, 1
	v_lshrrev_b64 v[46:47], v4, v[2:3]
	v_bfi_b32 v7, v7, 0, 0
	v_bfi_b32 v6, v6, 0, v2
	v_cmp_eq_u64_e64 s[26:27], v[6:7], v[12:13]
	v_mov_b32_e32 v57, v47
	v_mov_b32_e32 v56, v46
	s_and_saveexec_b64 s[36:37], s[26:27]
; %bb.177:                              ;   in Loop: Header=BB4_137 Depth=3
	v_bfe_u32 v2, v46, 20, 1
	v_add_co_u32_e64 v2, s[26:27], v46, v2
	v_add_co_u32_e64 v56, s[26:27], -1, v2
; %bb.178:                              ;   in Loop: Header=BB4_137 Depth=3
	s_or_b64 exec, exec, s[36:37]
	v_add_u32_e32 v1, 0xffffff81, v1
	v_mov_b32_e32 v2, 0xffffff82
	v_cndmask_b32_e32 v1, v1, v2, vcc
	v_lshrrev_b32_e32 v2, 23, v46
	v_add3_u32 v6, v4, v1, v2
	v_add_u32_e32 v4, 6, v6
	v_and_b32_e32 v1, 0xfffff, v56
	v_add_u32_e32 v2, v1, v46
	v_cmp_ne_u32_e32 vcc, 0, v4
                                        ; implicit-def: $vgpr46_vgpr47
                                        ; implicit-def: $vgpr1
	s_and_saveexec_b64 s[26:27], vcc
	s_xor_b64 s[26:27], exec, s[26:27]
; %bb.179:                              ;   in Loop: Header=BB4_137 Depth=3
	v_cmp_lt_u64_e32 vcc, s[74:75], v[2:3]
	v_add_u32_e32 v1, 7, v6
	v_cndmask_b32_e32 v1, v4, v1, vcc
	v_cndmask_b32_e64 v4, 0, 1, vcc
	v_lshrrev_b64 v[46:47], v4, v[2:3]
; %bb.180:                              ;   in Loop: Header=BB4_137 Depth=3
	s_andn2_saveexec_b64 s[26:27], s[26:27]
; %bb.181:                              ;   in Loop: Header=BB4_137 Depth=3
	v_mov_b32_e32 v47, v3
	v_bfe_u32 v1, v2, 23, 1
	v_mov_b32_e32 v46, v2
; %bb.182:                              ;   in Loop: Header=BB4_137 Depth=3
	s_or_b64 exec, exec, s[26:27]
	v_lshrrev_b64 v[6:7], 20, v[46:47]
	v_cmp_gt_i32_e32 vcc, 16, v1
	v_cndmask_b32_e32 v7, 0, v7, vcc
	v_cndmask_b32_e32 v6, 7, v6, vcc
	v_cmp_eq_u32_e32 vcc, 0, v1
	v_min_i32_e32 v1, 15, v1
	v_cmp_eq_u64_e64 s[26:27], 0, v[6:7]
	v_lshlrev_b32_e32 v1, 3, v1
	v_and_b32_e32 v1, 0xf8, v1
	v_and_or_b32 v1, v6, 7, v1
	s_and_b64 s[26:27], vcc, s[26:27]
	v_cndmask_b32_e64 v1, v1, 0, s[26:27]
	v_or_b32_e32 v0, v1, v0
	buffer_store_dword v0, off, s[0:3], s33 offset:96 ; 4-byte Folded Spill
.LBB4_183:                              ;   in Loop: Header=BB4_137 Depth=3
	s_or_b64 exec, exec, s[34:35]
                                        ; implicit-def: $vgpr0
.LBB4_184:                              ;   in Loop: Header=BB4_137 Depth=3
	s_andn2_saveexec_b64 s[26:27], s[30:31]
	s_cbranch_execz .LBB4_186
; %bb.185:                              ;   in Loop: Header=BB4_137 Depth=3
	v_or_b32_e32 v0, 0x7e, v0
	buffer_store_dword v0, off, s[0:3], s33 offset:96 ; 4-byte Folded Spill
.LBB4_186:                              ;   in Loop: Header=BB4_137 Depth=3
	s_or_b64 exec, exec, s[26:27]
                                        ; implicit-def: $vgpr1
.LBB4_187:                              ;   in Loop: Header=BB4_137 Depth=3
	s_andn2_saveexec_b64 s[26:27], s[94:95]
	s_cbranch_execz .LBB4_189
; %bb.188:                              ;   in Loop: Header=BB4_137 Depth=3
	v_or_b32_sdwa v0, v1, s68 dst_sel:DWORD dst_unused:UNUSED_PAD src0_sel:BYTE_3 src1_sel:DWORD
	buffer_store_dword v0, off, s[0:3], s33 offset:96 ; 4-byte Folded Spill
.LBB4_189:                              ;   in Loop: Header=BB4_137 Depth=3
	s_or_b64 exec, exec, s[26:27]
	v_lshrrev_b32_e32 v2, 16, v8
	v_cmp_ne_u16_sdwa s[94:95], v2, v3 src0_sel:BYTE_0 src1_sel:DWORD
	v_mov_b32_e32 v0, 0
	s_and_saveexec_b64 s[26:27], s[94:95]
	s_cbranch_execz .LBB4_195
; %bb.190:                              ;   in Loop: Header=BB4_137 Depth=3
	v_cmp_ne_u16_sdwa vcc, v2, s70 src0_sel:BYTE_0 src1_sel:DWORD
	v_bfrev_b32_e32 v0, 1
	s_and_saveexec_b64 s[94:95], vcc
	s_cbranch_execz .LBB4_194
; %bb.191:                              ;   in Loop: Header=BB4_137 Depth=3
	v_bfe_u32 v1, v8, 16, 7
	v_cmp_ne_u32_e32 vcc, s68, v1
	v_mov_b32_e32 v0, 0x7f800001
	s_and_saveexec_b64 s[30:31], vcc
	s_cbranch_execz .LBB4_193
; %bb.192:                              ;   in Loop: Header=BB4_137 Depth=3
	v_and_b32_e32 v4, 7, v2
	v_ffbh_u32_e32 v0, v4
	v_min_u32_e32 v7, 32, v0
	v_subrev_u32_e32 v0, 28, v7
	v_lshrrev_b32_e32 v6, 3, v1
	v_cmp_gt_u32_e32 vcc, 8, v1
	v_lshlrev_b64 v[0:1], v0, v[2:3]
	v_sub_u32_e32 v1, 29, v7
	v_and_b32_e32 v0, 7, v0
	v_cndmask_b32_e32 v1, v6, v1, vcc
	v_cndmask_b32_e32 v0, v4, v0, vcc
	v_lshlrev_b32_e32 v2, 24, v2
	v_lshlrev_b32_e32 v0, 20, v0
	v_and_b32_e32 v2, 0x80000000, v2
	v_lshl_add_u32 v1, v1, 23, v5
	v_or3_b32 v0, v2, v1, v0
.LBB4_193:                              ;   in Loop: Header=BB4_137 Depth=3
	s_or_b64 exec, exec, s[30:31]
.LBB4_194:                              ;   in Loop: Header=BB4_137 Depth=3
	s_or_b64 exec, exec, s[94:95]
.LBB4_195:                              ;   in Loop: Header=BB4_137 Depth=3
	s_or_b64 exec, exec, s[26:27]
	v_mul_f32_e32 v1, v60, v0
	v_and_b32_e32 v2, 0x7f800000, v1
	v_cmp_ne_u64_e32 vcc, s[62:63], v[2:3]
                                        ; implicit-def: $vgpr0
                                        ; kill: killed $vgpr0
	s_and_saveexec_b64 s[26:27], vcc
	s_xor_b64 s[94:95], exec, s[26:27]
	s_cbranch_execz .LBB4_209
; %bb.196:                              ;   in Loop: Header=BB4_137 Depth=3
	v_and_b32_e32 v2, 0x7fffffff, v1
	v_cmp_gt_u64_e32 vcc, s[72:73], v[2:3]
	v_and_b32_sdwa v0, v1, s70 dst_sel:DWORD dst_unused:UNUSED_PAD src0_sel:BYTE_3 src1_sel:DWORD
                                        ; implicit-def: $vgpr2
                                        ; kill: killed $vgpr2
	s_and_saveexec_b64 s[26:27], vcc
	s_xor_b64 s[30:31], exec, s[26:27]
	s_cbranch_execz .LBB4_206
; %bb.197:                              ;   in Loop: Header=BB4_137 Depth=3
	v_mov_b32_e32 v2, 0
	v_cmp_ne_u32_e32 vcc, 0, v1
	buffer_store_dword v2, off, s[0:3], s33 offset:144 ; 4-byte Folded Spill
	s_and_saveexec_b64 s[34:35], vcc
	s_cbranch_execz .LBB4_205
; %bb.198:                              ;   in Loop: Header=BB4_137 Depth=3
	v_and_b32_e32 v2, 0x7fffff, v1
	v_bfe_u32 v1, v1, 23, 8
	v_cmp_gt_u32_e64 s[26:27], s71, v1
	v_sub_u32_e32 v4, 0x79, v1
	v_cmp_eq_u32_e32 vcc, 0, v1
	v_cndmask_b32_e64 v4, 0, v4, s[26:27]
	v_mov_b32_e32 v7, 0x78
	v_or_b32_e32 v6, 0x800000, v2
	v_cndmask_b32_e32 v4, v4, v7, vcc
	v_cndmask_b32_e32 v2, v6, v2, vcc
	v_add_u32_e32 v6, 20, v4
	v_lshlrev_b64 v[6:7], v6, -1
	v_add_u32_e32 v12, 19, v4
	v_lshlrev_b64 v[12:13], v12, 1
	v_lshrrev_b64 v[46:47], v4, v[2:3]
	v_bfi_b32 v7, v7, 0, 0
	v_bfi_b32 v6, v6, 0, v2
	v_cmp_eq_u64_e64 s[26:27], v[6:7], v[12:13]
	v_mov_b32_e32 v57, v47
	v_mov_b32_e32 v56, v46
	s_and_saveexec_b64 s[36:37], s[26:27]
; %bb.199:                              ;   in Loop: Header=BB4_137 Depth=3
	v_bfe_u32 v2, v46, 20, 1
	v_add_co_u32_e64 v2, s[26:27], v46, v2
	v_add_co_u32_e64 v56, s[26:27], -1, v2
; %bb.200:                              ;   in Loop: Header=BB4_137 Depth=3
	s_or_b64 exec, exec, s[36:37]
	v_add_u32_e32 v1, 0xffffff81, v1
	v_mov_b32_e32 v2, 0xffffff82
	v_cndmask_b32_e32 v1, v1, v2, vcc
	v_lshrrev_b32_e32 v2, 23, v46
	v_add3_u32 v6, v4, v1, v2
	v_add_u32_e32 v4, 6, v6
	v_and_b32_e32 v1, 0xfffff, v56
	v_add_u32_e32 v2, v1, v46
	v_cmp_ne_u32_e32 vcc, 0, v4
                                        ; implicit-def: $vgpr46_vgpr47
                                        ; implicit-def: $vgpr1
	s_and_saveexec_b64 s[26:27], vcc
	s_xor_b64 s[26:27], exec, s[26:27]
; %bb.201:                              ;   in Loop: Header=BB4_137 Depth=3
	v_cmp_lt_u64_e32 vcc, s[74:75], v[2:3]
	v_add_u32_e32 v1, 7, v6
	v_cndmask_b32_e32 v1, v4, v1, vcc
	v_cndmask_b32_e64 v4, 0, 1, vcc
	v_lshrrev_b64 v[46:47], v4, v[2:3]
; %bb.202:                              ;   in Loop: Header=BB4_137 Depth=3
	s_andn2_saveexec_b64 s[26:27], s[26:27]
; %bb.203:                              ;   in Loop: Header=BB4_137 Depth=3
	v_mov_b32_e32 v47, v3
	v_bfe_u32 v1, v2, 23, 1
	v_mov_b32_e32 v46, v2
; %bb.204:                              ;   in Loop: Header=BB4_137 Depth=3
	s_or_b64 exec, exec, s[26:27]
	v_lshrrev_b64 v[6:7], 20, v[46:47]
	v_cmp_gt_i32_e32 vcc, 16, v1
	v_cndmask_b32_e32 v7, 0, v7, vcc
	v_cndmask_b32_e32 v6, 7, v6, vcc
	v_cmp_eq_u32_e32 vcc, 0, v1
	v_min_i32_e32 v1, 15, v1
	v_cmp_eq_u64_e64 s[26:27], 0, v[6:7]
	v_lshlrev_b32_e32 v1, 3, v1
	v_and_b32_e32 v1, 0xf8, v1
	v_and_or_b32 v1, v6, 7, v1
	s_and_b64 s[26:27], vcc, s[26:27]
	v_cndmask_b32_e64 v1, v1, 0, s[26:27]
	v_or_b32_e32 v0, v1, v0
	buffer_store_dword v0, off, s[0:3], s33 offset:144 ; 4-byte Folded Spill
.LBB4_205:                              ;   in Loop: Header=BB4_137 Depth=3
	s_or_b64 exec, exec, s[34:35]
                                        ; implicit-def: $vgpr0
.LBB4_206:                              ;   in Loop: Header=BB4_137 Depth=3
	s_andn2_saveexec_b64 s[26:27], s[30:31]
	s_cbranch_execz .LBB4_208
; %bb.207:                              ;   in Loop: Header=BB4_137 Depth=3
	v_or_b32_e32 v0, 0x7e, v0
	buffer_store_dword v0, off, s[0:3], s33 offset:144 ; 4-byte Folded Spill
.LBB4_208:                              ;   in Loop: Header=BB4_137 Depth=3
	s_or_b64 exec, exec, s[26:27]
                                        ; implicit-def: $vgpr1
.LBB4_209:                              ;   in Loop: Header=BB4_137 Depth=3
	s_andn2_saveexec_b64 s[26:27], s[94:95]
	s_cbranch_execz .LBB4_211
; %bb.210:                              ;   in Loop: Header=BB4_137 Depth=3
	v_or_b32_sdwa v0, v1, s68 dst_sel:DWORD dst_unused:UNUSED_PAD src0_sel:BYTE_3 src1_sel:DWORD
	buffer_store_dword v0, off, s[0:3], s33 offset:144 ; 4-byte Folded Spill
.LBB4_211:                              ;   in Loop: Header=BB4_137 Depth=3
	s_or_b64 exec, exec, s[26:27]
	v_cmp_lt_u32_e32 vcc, s57, v8
	v_mov_b32_e32 v0, 0
	s_and_saveexec_b64 s[26:27], vcc
	s_cbranch_execz .LBB4_217
; %bb.212:                              ;   in Loop: Header=BB4_137 Depth=3
	v_lshrrev_b32_e32 v2, 24, v8
	v_cmp_ne_u32_e32 vcc, s70, v2
	v_bfrev_b32_e32 v0, 1
	s_and_saveexec_b64 s[94:95], vcc
	s_cbranch_execz .LBB4_216
; %bb.213:                              ;   in Loop: Header=BB4_137 Depth=3
	v_bfe_u32 v1, v8, 24, 7
	v_cmp_ne_u32_e32 vcc, s68, v1
	v_mov_b32_e32 v0, 0x7f800001
	s_and_saveexec_b64 s[30:31], vcc
	s_cbranch_execz .LBB4_215
; %bb.214:                              ;   in Loop: Header=BB4_137 Depth=3
	v_and_b32_e32 v4, 7, v2
	v_ffbh_u32_e32 v0, v4
	v_min_u32_e32 v7, 32, v0
	v_subrev_u32_e32 v0, 28, v7
	v_lshrrev_b32_e32 v6, 3, v1
	v_cmp_gt_u32_e32 vcc, 8, v1
	v_lshlrev_b64 v[0:1], v0, v[2:3]
	v_sub_u32_e32 v1, 29, v7
	v_and_b32_e32 v0, 7, v0
	v_cndmask_b32_e32 v1, v6, v1, vcc
	v_cndmask_b32_e32 v0, v4, v0, vcc
	v_lshlrev_b32_e32 v2, 24, v2
	v_lshlrev_b32_e32 v0, 20, v0
	v_and_b32_e32 v2, 0x80000000, v2
	v_lshl_add_u32 v1, v1, 23, v5
	v_or3_b32 v0, v2, v1, v0
.LBB4_215:                              ;   in Loop: Header=BB4_137 Depth=3
	s_or_b64 exec, exec, s[30:31]
.LBB4_216:                              ;   in Loop: Header=BB4_137 Depth=3
	s_or_b64 exec, exec, s[94:95]
.LBB4_217:                              ;   in Loop: Header=BB4_137 Depth=3
	s_or_b64 exec, exec, s[26:27]
	v_mul_f32_e32 v1, v60, v0
	v_and_b32_e32 v2, 0x7f800000, v1
	v_cmp_ne_u64_e32 vcc, s[62:63], v[2:3]
                                        ; implicit-def: $vgpr0
                                        ; kill: killed $vgpr0
	s_and_saveexec_b64 s[26:27], vcc
	s_xor_b64 s[94:95], exec, s[26:27]
	s_cbranch_execz .LBB4_231
; %bb.218:                              ;   in Loop: Header=BB4_137 Depth=3
	v_and_b32_e32 v2, 0x7fffffff, v1
	v_cmp_gt_u64_e32 vcc, s[72:73], v[2:3]
	v_and_b32_sdwa v0, v1, s70 dst_sel:DWORD dst_unused:UNUSED_PAD src0_sel:BYTE_3 src1_sel:DWORD
                                        ; implicit-def: $vgpr2
                                        ; kill: killed $vgpr2
	s_and_saveexec_b64 s[26:27], vcc
	s_xor_b64 s[30:31], exec, s[26:27]
	s_cbranch_execz .LBB4_228
; %bb.219:                              ;   in Loop: Header=BB4_137 Depth=3
	v_mov_b32_e32 v2, 0
	v_cmp_ne_u32_e32 vcc, 0, v1
	buffer_store_dword v2, off, s[0:3], s33 offset:148 ; 4-byte Folded Spill
	s_and_saveexec_b64 s[34:35], vcc
	s_cbranch_execz .LBB4_227
; %bb.220:                              ;   in Loop: Header=BB4_137 Depth=3
	v_and_b32_e32 v2, 0x7fffff, v1
	v_bfe_u32 v1, v1, 23, 8
	v_cmp_gt_u32_e64 s[26:27], s71, v1
	v_sub_u32_e32 v4, 0x79, v1
	v_cmp_eq_u32_e32 vcc, 0, v1
	v_cndmask_b32_e64 v4, 0, v4, s[26:27]
	v_mov_b32_e32 v7, 0x78
	v_or_b32_e32 v6, 0x800000, v2
	v_cndmask_b32_e32 v4, v4, v7, vcc
	v_cndmask_b32_e32 v2, v6, v2, vcc
	v_add_u32_e32 v6, 20, v4
	v_lshlrev_b64 v[6:7], v6, -1
	v_add_u32_e32 v12, 19, v4
	v_lshlrev_b64 v[12:13], v12, 1
	v_lshrrev_b64 v[46:47], v4, v[2:3]
	v_bfi_b32 v7, v7, 0, 0
	v_bfi_b32 v6, v6, 0, v2
	v_cmp_eq_u64_e64 s[26:27], v[6:7], v[12:13]
	v_mov_b32_e32 v57, v47
	v_mov_b32_e32 v56, v46
	s_and_saveexec_b64 s[36:37], s[26:27]
; %bb.221:                              ;   in Loop: Header=BB4_137 Depth=3
	v_bfe_u32 v2, v46, 20, 1
	v_add_co_u32_e64 v2, s[26:27], v46, v2
	v_add_co_u32_e64 v56, s[26:27], -1, v2
; %bb.222:                              ;   in Loop: Header=BB4_137 Depth=3
	s_or_b64 exec, exec, s[36:37]
	v_add_u32_e32 v1, 0xffffff81, v1
	v_mov_b32_e32 v2, 0xffffff82
	v_cndmask_b32_e32 v1, v1, v2, vcc
	v_lshrrev_b32_e32 v2, 23, v46
	v_add3_u32 v6, v4, v1, v2
	v_add_u32_e32 v4, 6, v6
	v_and_b32_e32 v1, 0xfffff, v56
	v_add_u32_e32 v2, v1, v46
	v_cmp_ne_u32_e32 vcc, 0, v4
                                        ; implicit-def: $vgpr46_vgpr47
                                        ; implicit-def: $vgpr1
	s_and_saveexec_b64 s[26:27], vcc
	s_xor_b64 s[26:27], exec, s[26:27]
; %bb.223:                              ;   in Loop: Header=BB4_137 Depth=3
	v_cmp_lt_u64_e32 vcc, s[74:75], v[2:3]
	v_add_u32_e32 v1, 7, v6
	v_cndmask_b32_e32 v1, v4, v1, vcc
	v_cndmask_b32_e64 v4, 0, 1, vcc
	v_lshrrev_b64 v[46:47], v4, v[2:3]
; %bb.224:                              ;   in Loop: Header=BB4_137 Depth=3
	s_andn2_saveexec_b64 s[26:27], s[26:27]
; %bb.225:                              ;   in Loop: Header=BB4_137 Depth=3
	v_mov_b32_e32 v47, v3
	v_bfe_u32 v1, v2, 23, 1
	v_mov_b32_e32 v46, v2
; %bb.226:                              ;   in Loop: Header=BB4_137 Depth=3
	s_or_b64 exec, exec, s[26:27]
	v_lshrrev_b64 v[6:7], 20, v[46:47]
	v_cmp_gt_i32_e32 vcc, 16, v1
	v_cndmask_b32_e32 v7, 0, v7, vcc
	v_cndmask_b32_e32 v6, 7, v6, vcc
	v_cmp_eq_u32_e32 vcc, 0, v1
	v_min_i32_e32 v1, 15, v1
	v_cmp_eq_u64_e64 s[26:27], 0, v[6:7]
	v_lshlrev_b32_e32 v1, 3, v1
	v_and_b32_e32 v1, 0xf8, v1
	v_and_or_b32 v1, v6, 7, v1
	s_and_b64 s[26:27], vcc, s[26:27]
	v_cndmask_b32_e64 v1, v1, 0, s[26:27]
	v_or_b32_e32 v0, v1, v0
	buffer_store_dword v0, off, s[0:3], s33 offset:148 ; 4-byte Folded Spill
.LBB4_227:                              ;   in Loop: Header=BB4_137 Depth=3
	s_or_b64 exec, exec, s[34:35]
                                        ; implicit-def: $vgpr0
.LBB4_228:                              ;   in Loop: Header=BB4_137 Depth=3
	s_andn2_saveexec_b64 s[26:27], s[30:31]
	s_cbranch_execz .LBB4_230
; %bb.229:                              ;   in Loop: Header=BB4_137 Depth=3
	v_or_b32_e32 v0, 0x7e, v0
	buffer_store_dword v0, off, s[0:3], s33 offset:148 ; 4-byte Folded Spill
.LBB4_230:                              ;   in Loop: Header=BB4_137 Depth=3
	s_or_b64 exec, exec, s[26:27]
                                        ; implicit-def: $vgpr1
.LBB4_231:                              ;   in Loop: Header=BB4_137 Depth=3
	s_andn2_saveexec_b64 s[26:27], s[94:95]
	s_cbranch_execz .LBB4_233
; %bb.232:                              ;   in Loop: Header=BB4_137 Depth=3
	v_or_b32_sdwa v0, v1, s68 dst_sel:DWORD dst_unused:UNUSED_PAD src0_sel:BYTE_3 src1_sel:DWORD
	buffer_store_dword v0, off, s[0:3], s33 offset:148 ; 4-byte Folded Spill
.LBB4_233:                              ;   in Loop: Header=BB4_137 Depth=3
	s_or_b64 exec, exec, s[26:27]
	v_mov_b32_e32 v2, v9
	v_cmp_ne_u16_sdwa s[94:95], v9, v3 src0_sel:BYTE_0 src1_sel:DWORD
	v_mov_b32_e32 v0, 0
	s_and_saveexec_b64 s[26:27], s[94:95]
	s_cbranch_execz .LBB4_239
; %bb.234:                              ;   in Loop: Header=BB4_137 Depth=3
	v_cmp_ne_u16_sdwa vcc, v9, s70 src0_sel:BYTE_0 src1_sel:DWORD
	v_bfrev_b32_e32 v0, 1
	s_and_saveexec_b64 s[94:95], vcc
	s_cbranch_execz .LBB4_238
; %bb.235:                              ;   in Loop: Header=BB4_137 Depth=3
	v_and_b32_e32 v1, 0x7f, v9
	v_cmp_ne_u32_e32 vcc, s68, v1
	v_mov_b32_e32 v0, 0x7f800001
	s_and_saveexec_b64 s[30:31], vcc
	s_cbranch_execz .LBB4_237
; %bb.236:                              ;   in Loop: Header=BB4_137 Depth=3
	v_and_b32_e32 v0, 7, v9
	v_ffbh_u32_e32 v0, v0
	v_min_u32_e32 v0, 32, v0
	v_lshrrev_b32_e32 v4, 3, v1
	v_cmp_gt_u32_e32 vcc, 8, v1
	v_subrev_u32_e32 v1, 28, v0
	v_sub_u32_e32 v0, 29, v0
	v_cndmask_b32_e32 v4, v4, v0, vcc
	v_cndmask_b32_e32 v0, 0, v1, vcc
	v_lshlrev_b64 v[0:1], v0, v[2:3]
	v_lshlrev_b32_e32 v1, 24, v2
	v_lshlrev_b32_e32 v0, 20, v0
	v_and_b32_e32 v0, 0x700000, v0
	v_and_b32_e32 v1, 0x80000000, v1
	v_lshl_add_u32 v4, v4, 23, v5
	v_or3_b32 v0, v1, v4, v0
.LBB4_237:                              ;   in Loop: Header=BB4_137 Depth=3
	s_or_b64 exec, exec, s[30:31]
.LBB4_238:                              ;   in Loop: Header=BB4_137 Depth=3
	s_or_b64 exec, exec, s[94:95]
.LBB4_239:                              ;   in Loop: Header=BB4_137 Depth=3
	s_or_b64 exec, exec, s[26:27]
	v_mul_f32_e32 v1, v60, v0
	v_and_b32_e32 v6, 0x7f800000, v1
	v_mov_b32_e32 v7, v3
	v_cmp_ne_u64_e32 vcc, s[62:63], v[6:7]
                                        ; implicit-def: $vgpr0
                                        ; kill: killed $vgpr0
	s_and_saveexec_b64 s[26:27], vcc
	s_xor_b64 s[94:95], exec, s[26:27]
	s_cbranch_execz .LBB4_253
; %bb.240:                              ;   in Loop: Header=BB4_137 Depth=3
	v_and_b32_e32 v6, 0x7fffffff, v1
	v_mov_b32_e32 v7, v3
	v_cmp_gt_u64_e32 vcc, s[72:73], v[6:7]
	v_and_b32_sdwa v0, v1, s70 dst_sel:DWORD dst_unused:UNUSED_PAD src0_sel:BYTE_3 src1_sel:DWORD
                                        ; implicit-def: $vgpr4
                                        ; kill: killed $vgpr4
	s_and_saveexec_b64 s[26:27], vcc
	s_xor_b64 s[30:31], exec, s[26:27]
	s_cbranch_execz .LBB4_250
; %bb.241:                              ;   in Loop: Header=BB4_137 Depth=3
	v_mov_b32_e32 v4, 0
	v_cmp_ne_u32_e32 vcc, 0, v1
	buffer_store_dword v4, off, s[0:3], s33 offset:204 ; 4-byte Folded Spill
	s_and_saveexec_b64 s[34:35], vcc
	s_cbranch_execz .LBB4_249
; %bb.242:                              ;   in Loop: Header=BB4_137 Depth=3
	v_and_b32_e32 v6, 0x7fffff, v1
	v_bfe_u32 v1, v1, 23, 8
	v_cmp_gt_u32_e64 s[26:27], s71, v1
	v_sub_u32_e32 v4, 0x79, v1
	v_cmp_eq_u32_e32 vcc, 0, v1
	v_cndmask_b32_e64 v4, 0, v4, s[26:27]
	v_mov_b32_e32 v12, 0x78
	v_cndmask_b32_e32 v4, v4, v12, vcc
	v_or_b32_e32 v7, 0x800000, v6
	v_add_u32_e32 v12, 20, v4
	v_cndmask_b32_e32 v6, v7, v6, vcc
	v_mov_b32_e32 v7, v3
	v_lshlrev_b64 v[12:13], v12, -1
	v_add_u32_e32 v14, 19, v4
	v_lshlrev_b64 v[14:15], v14, 1
	v_lshrrev_b64 v[46:47], v4, v[6:7]
	v_bfi_b32 v13, v13, 0, 0
	v_bfi_b32 v12, v12, 0, v6
	v_cmp_eq_u64_e64 s[26:27], v[12:13], v[14:15]
	v_mov_b32_e32 v57, v47
	v_mov_b32_e32 v56, v46
	s_and_saveexec_b64 s[36:37], s[26:27]
; %bb.243:                              ;   in Loop: Header=BB4_137 Depth=3
	v_bfe_u32 v6, v46, 20, 1
	v_add_co_u32_e64 v6, s[26:27], v46, v6
	v_add_co_u32_e64 v56, s[26:27], -1, v6
; %bb.244:                              ;   in Loop: Header=BB4_137 Depth=3
	s_or_b64 exec, exec, s[36:37]
	v_add_u32_e32 v1, 0xffffff81, v1
	v_mov_b32_e32 v6, 0xffffff82
	v_cndmask_b32_e32 v1, v1, v6, vcc
	v_lshrrev_b32_e32 v6, 23, v46
	v_add3_u32 v6, v4, v1, v6
	v_add_u32_e32 v4, 6, v6
	v_and_b32_e32 v1, 0xfffff, v56
	v_add_u32_e32 v46, v1, v46
	v_mov_b32_e32 v47, v3
	v_cmp_ne_u32_e32 vcc, 0, v4
                                        ; implicit-def: $vgpr1
	s_and_saveexec_b64 s[26:27], vcc
	s_xor_b64 s[26:27], exec, s[26:27]
; %bb.245:                              ;   in Loop: Header=BB4_137 Depth=3
	v_cmp_lt_u64_e32 vcc, s[74:75], v[46:47]
	v_add_u32_e32 v1, 7, v6
	v_cndmask_b32_e32 v1, v4, v1, vcc
	v_cndmask_b32_e64 v4, 0, 1, vcc
	v_lshrrev_b64 v[46:47], v4, v[46:47]
; %bb.246:                              ;   in Loop: Header=BB4_137 Depth=3
	s_andn2_saveexec_b64 s[26:27], s[26:27]
; %bb.247:                              ;   in Loop: Header=BB4_137 Depth=3
	v_bfe_u32 v1, v46, 23, 1
; %bb.248:                              ;   in Loop: Header=BB4_137 Depth=3
	s_or_b64 exec, exec, s[26:27]
	v_lshrrev_b64 v[6:7], 20, v[46:47]
	v_cmp_gt_i32_e32 vcc, 16, v1
	v_cndmask_b32_e32 v7, 0, v7, vcc
	v_cndmask_b32_e32 v6, 7, v6, vcc
	v_cmp_eq_u32_e32 vcc, 0, v1
	v_min_i32_e32 v1, 15, v1
	v_cmp_eq_u64_e64 s[26:27], 0, v[6:7]
	v_lshlrev_b32_e32 v1, 3, v1
	v_and_b32_e32 v1, 0xf8, v1
	v_and_or_b32 v1, v6, 7, v1
	s_and_b64 s[26:27], vcc, s[26:27]
	v_cndmask_b32_e64 v1, v1, 0, s[26:27]
	v_or_b32_e32 v0, v1, v0
	buffer_store_dword v0, off, s[0:3], s33 offset:204 ; 4-byte Folded Spill
.LBB4_249:                              ;   in Loop: Header=BB4_137 Depth=3
	s_or_b64 exec, exec, s[34:35]
                                        ; implicit-def: $vgpr0
.LBB4_250:                              ;   in Loop: Header=BB4_137 Depth=3
	s_andn2_saveexec_b64 s[26:27], s[30:31]
	s_cbranch_execz .LBB4_252
; %bb.251:                              ;   in Loop: Header=BB4_137 Depth=3
	v_or_b32_e32 v0, 0x7e, v0
	buffer_store_dword v0, off, s[0:3], s33 offset:204 ; 4-byte Folded Spill
.LBB4_252:                              ;   in Loop: Header=BB4_137 Depth=3
	s_or_b64 exec, exec, s[26:27]
                                        ; implicit-def: $vgpr1
.LBB4_253:                              ;   in Loop: Header=BB4_137 Depth=3
	s_andn2_saveexec_b64 s[26:27], s[94:95]
	s_cbranch_execz .LBB4_255
; %bb.254:                              ;   in Loop: Header=BB4_137 Depth=3
	v_or_b32_sdwa v0, v1, s68 dst_sel:DWORD dst_unused:UNUSED_PAD src0_sel:BYTE_3 src1_sel:DWORD
	buffer_store_dword v0, off, s[0:3], s33 offset:204 ; 4-byte Folded Spill
.LBB4_255:                              ;   in Loop: Header=BB4_137 Depth=3
	s_or_b64 exec, exec, s[26:27]
	v_lshrrev_b16_e32 v13, 8, v2
	v_cmp_ne_u16_e32 vcc, 0, v13
	v_mov_b32_e32 v0, 0
	s_and_saveexec_b64 s[26:27], vcc
	s_cbranch_execz .LBB4_261
; %bb.256:                              ;   in Loop: Header=BB4_137 Depth=3
	v_cmp_ne_u16_e32 vcc, s70, v13
	v_bfrev_b32_e32 v0, 1
	s_and_saveexec_b64 s[94:95], vcc
	s_cbranch_execz .LBB4_260
; %bb.257:                              ;   in Loop: Header=BB4_137 Depth=3
	v_and_b32_e32 v1, 0x7f, v13
	v_cmp_ne_u32_e32 vcc, s68, v1
	v_mov_b32_e32 v0, 0x7f800001
	s_and_saveexec_b64 s[30:31], vcc
	s_cbranch_execz .LBB4_259
; %bb.258:                              ;   in Loop: Header=BB4_137 Depth=3
	v_and_b32_e32 v4, 7, v13
	v_ffbh_u32_e32 v0, v4
	v_min_u32_e32 v7, 32, v0
	v_subrev_u32_e32 v0, 28, v7
	v_lshrrev_b32_e32 v6, 3, v1
	v_cmp_gt_u32_e32 vcc, 8, v1
	v_lshlrev_b64 v[0:1], v0, v[13:14]
	v_sub_u32_e32 v1, 29, v7
	v_and_b32_e32 v0, 7, v0
	v_cndmask_b32_e32 v1, v6, v1, vcc
	v_cndmask_b32_e32 v0, v4, v0, vcc
	v_lshlrev_b32_e32 v2, 16, v2
	v_lshlrev_b32_e32 v0, 20, v0
	v_and_b32_e32 v2, 0x80000000, v2
	v_lshl_add_u32 v1, v1, 23, v5
	v_or3_b32 v0, v2, v1, v0
.LBB4_259:                              ;   in Loop: Header=BB4_137 Depth=3
	s_or_b64 exec, exec, s[30:31]
.LBB4_260:                              ;   in Loop: Header=BB4_137 Depth=3
	s_or_b64 exec, exec, s[94:95]
.LBB4_261:                              ;   in Loop: Header=BB4_137 Depth=3
	s_or_b64 exec, exec, s[26:27]
	v_mul_f32_e32 v1, v60, v0
	v_and_b32_e32 v2, 0x7f800000, v1
	v_cmp_ne_u64_e32 vcc, s[62:63], v[2:3]
                                        ; implicit-def: $vgpr0
                                        ; kill: killed $vgpr0
	s_and_saveexec_b64 s[26:27], vcc
	s_xor_b64 s[94:95], exec, s[26:27]
	s_cbranch_execz .LBB4_275
; %bb.262:                              ;   in Loop: Header=BB4_137 Depth=3
	v_and_b32_e32 v2, 0x7fffffff, v1
	v_cmp_gt_u64_e32 vcc, s[72:73], v[2:3]
	v_and_b32_sdwa v0, v1, s70 dst_sel:DWORD dst_unused:UNUSED_PAD src0_sel:BYTE_3 src1_sel:DWORD
                                        ; implicit-def: $vgpr2
                                        ; kill: killed $vgpr2
	s_and_saveexec_b64 s[26:27], vcc
	s_xor_b64 s[30:31], exec, s[26:27]
	s_cbranch_execz .LBB4_272
; %bb.263:                              ;   in Loop: Header=BB4_137 Depth=3
	v_mov_b32_e32 v2, 0
	v_cmp_ne_u32_e32 vcc, 0, v1
	buffer_store_dword v2, off, s[0:3], s33 offset:220 ; 4-byte Folded Spill
	s_and_saveexec_b64 s[34:35], vcc
	s_cbranch_execz .LBB4_271
; %bb.264:                              ;   in Loop: Header=BB4_137 Depth=3
	v_and_b32_e32 v2, 0x7fffff, v1
	v_bfe_u32 v1, v1, 23, 8
	v_cmp_gt_u32_e64 s[26:27], s71, v1
	v_sub_u32_e32 v4, 0x79, v1
	v_cmp_eq_u32_e32 vcc, 0, v1
	v_cndmask_b32_e64 v4, 0, v4, s[26:27]
	v_mov_b32_e32 v7, 0x78
	v_or_b32_e32 v6, 0x800000, v2
	v_cndmask_b32_e32 v4, v4, v7, vcc
	v_cndmask_b32_e32 v2, v6, v2, vcc
	v_add_u32_e32 v6, 20, v4
	v_lshlrev_b64 v[6:7], v6, -1
	v_add_u32_e32 v12, 19, v4
	v_lshlrev_b64 v[12:13], v12, 1
	v_lshrrev_b64 v[46:47], v4, v[2:3]
	v_bfi_b32 v7, v7, 0, 0
	v_bfi_b32 v6, v6, 0, v2
	v_cmp_eq_u64_e64 s[26:27], v[6:7], v[12:13]
	v_mov_b32_e32 v57, v47
	v_mov_b32_e32 v56, v46
	s_and_saveexec_b64 s[36:37], s[26:27]
; %bb.265:                              ;   in Loop: Header=BB4_137 Depth=3
	v_bfe_u32 v2, v46, 20, 1
	v_add_co_u32_e64 v2, s[26:27], v46, v2
	v_add_co_u32_e64 v56, s[26:27], -1, v2
; %bb.266:                              ;   in Loop: Header=BB4_137 Depth=3
	s_or_b64 exec, exec, s[36:37]
	v_add_u32_e32 v1, 0xffffff81, v1
	v_mov_b32_e32 v2, 0xffffff82
	v_cndmask_b32_e32 v1, v1, v2, vcc
	v_lshrrev_b32_e32 v2, 23, v46
	v_add3_u32 v6, v4, v1, v2
	v_add_u32_e32 v4, 6, v6
	v_and_b32_e32 v1, 0xfffff, v56
	v_add_u32_e32 v2, v1, v46
	v_cmp_ne_u32_e32 vcc, 0, v4
                                        ; implicit-def: $vgpr46_vgpr47
                                        ; implicit-def: $vgpr1
	s_and_saveexec_b64 s[26:27], vcc
	s_xor_b64 s[26:27], exec, s[26:27]
; %bb.267:                              ;   in Loop: Header=BB4_137 Depth=3
	v_cmp_lt_u64_e32 vcc, s[74:75], v[2:3]
	v_add_u32_e32 v1, 7, v6
	v_cndmask_b32_e32 v1, v4, v1, vcc
	v_cndmask_b32_e64 v4, 0, 1, vcc
	v_lshrrev_b64 v[46:47], v4, v[2:3]
; %bb.268:                              ;   in Loop: Header=BB4_137 Depth=3
	s_andn2_saveexec_b64 s[26:27], s[26:27]
; %bb.269:                              ;   in Loop: Header=BB4_137 Depth=3
	v_mov_b32_e32 v47, v3
	v_bfe_u32 v1, v2, 23, 1
	v_mov_b32_e32 v46, v2
; %bb.270:                              ;   in Loop: Header=BB4_137 Depth=3
	s_or_b64 exec, exec, s[26:27]
	v_lshrrev_b64 v[6:7], 20, v[46:47]
	v_cmp_gt_i32_e32 vcc, 16, v1
	v_cndmask_b32_e32 v7, 0, v7, vcc
	v_cndmask_b32_e32 v6, 7, v6, vcc
	v_cmp_eq_u32_e32 vcc, 0, v1
	v_min_i32_e32 v1, 15, v1
	v_cmp_eq_u64_e64 s[26:27], 0, v[6:7]
	v_lshlrev_b32_e32 v1, 3, v1
	v_and_b32_e32 v1, 0xf8, v1
	v_and_or_b32 v1, v6, 7, v1
	s_and_b64 s[26:27], vcc, s[26:27]
	v_cndmask_b32_e64 v1, v1, 0, s[26:27]
	v_or_b32_e32 v0, v1, v0
	buffer_store_dword v0, off, s[0:3], s33 offset:220 ; 4-byte Folded Spill
.LBB4_271:                              ;   in Loop: Header=BB4_137 Depth=3
	s_or_b64 exec, exec, s[34:35]
                                        ; implicit-def: $vgpr0
.LBB4_272:                              ;   in Loop: Header=BB4_137 Depth=3
	s_andn2_saveexec_b64 s[26:27], s[30:31]
	s_cbranch_execz .LBB4_274
; %bb.273:                              ;   in Loop: Header=BB4_137 Depth=3
	v_or_b32_e32 v0, 0x7e, v0
	buffer_store_dword v0, off, s[0:3], s33 offset:220 ; 4-byte Folded Spill
.LBB4_274:                              ;   in Loop: Header=BB4_137 Depth=3
	s_or_b64 exec, exec, s[26:27]
                                        ; implicit-def: $vgpr1
.LBB4_275:                              ;   in Loop: Header=BB4_137 Depth=3
	s_andn2_saveexec_b64 s[26:27], s[94:95]
	s_cbranch_execz .LBB4_277
; %bb.276:                              ;   in Loop: Header=BB4_137 Depth=3
	v_or_b32_sdwa v0, v1, s68 dst_sel:DWORD dst_unused:UNUSED_PAD src0_sel:BYTE_3 src1_sel:DWORD
	buffer_store_dword v0, off, s[0:3], s33 offset:220 ; 4-byte Folded Spill
.LBB4_277:                              ;   in Loop: Header=BB4_137 Depth=3
	s_or_b64 exec, exec, s[26:27]
	v_lshrrev_b32_e32 v2, 16, v9
	v_cmp_ne_u16_sdwa s[94:95], v2, v3 src0_sel:BYTE_0 src1_sel:DWORD
	v_mov_b32_e32 v0, 0
	s_and_saveexec_b64 s[26:27], s[94:95]
	s_cbranch_execz .LBB4_283
; %bb.278:                              ;   in Loop: Header=BB4_137 Depth=3
	v_cmp_ne_u16_sdwa vcc, v2, s70 src0_sel:BYTE_0 src1_sel:DWORD
	v_bfrev_b32_e32 v0, 1
	s_and_saveexec_b64 s[94:95], vcc
	s_cbranch_execz .LBB4_282
; %bb.279:                              ;   in Loop: Header=BB4_137 Depth=3
	v_bfe_u32 v1, v9, 16, 7
	v_cmp_ne_u32_e32 vcc, s68, v1
	v_mov_b32_e32 v0, 0x7f800001
	s_and_saveexec_b64 s[30:31], vcc
	s_cbranch_execz .LBB4_281
; %bb.280:                              ;   in Loop: Header=BB4_137 Depth=3
	v_and_b32_e32 v4, 7, v2
	v_ffbh_u32_e32 v0, v4
	v_min_u32_e32 v7, 32, v0
	v_subrev_u32_e32 v0, 28, v7
	v_lshrrev_b32_e32 v6, 3, v1
	v_cmp_gt_u32_e32 vcc, 8, v1
	v_lshlrev_b64 v[0:1], v0, v[2:3]
	v_sub_u32_e32 v1, 29, v7
	v_and_b32_e32 v0, 7, v0
	v_cndmask_b32_e32 v1, v6, v1, vcc
	v_cndmask_b32_e32 v0, v4, v0, vcc
	v_lshlrev_b32_e32 v2, 24, v2
	v_lshlrev_b32_e32 v0, 20, v0
	v_and_b32_e32 v2, 0x80000000, v2
	v_lshl_add_u32 v1, v1, 23, v5
	v_or3_b32 v0, v2, v1, v0
.LBB4_281:                              ;   in Loop: Header=BB4_137 Depth=3
	s_or_b64 exec, exec, s[30:31]
.LBB4_282:                              ;   in Loop: Header=BB4_137 Depth=3
	s_or_b64 exec, exec, s[94:95]
.LBB4_283:                              ;   in Loop: Header=BB4_137 Depth=3
	s_or_b64 exec, exec, s[26:27]
	v_mul_f32_e32 v1, v60, v0
	v_and_b32_e32 v2, 0x7f800000, v1
	v_cmp_ne_u64_e32 vcc, s[62:63], v[2:3]
                                        ; implicit-def: $vgpr0
                                        ; kill: killed $vgpr0
	s_and_saveexec_b64 s[26:27], vcc
	s_xor_b64 s[94:95], exec, s[26:27]
	s_cbranch_execz .LBB4_297
; %bb.284:                              ;   in Loop: Header=BB4_137 Depth=3
	v_and_b32_e32 v2, 0x7fffffff, v1
	v_cmp_gt_u64_e32 vcc, s[72:73], v[2:3]
	v_and_b32_sdwa v0, v1, s70 dst_sel:DWORD dst_unused:UNUSED_PAD src0_sel:BYTE_3 src1_sel:DWORD
                                        ; implicit-def: $vgpr2
                                        ; kill: killed $vgpr2
	s_and_saveexec_b64 s[26:27], vcc
	s_xor_b64 s[30:31], exec, s[26:27]
	s_cbranch_execz .LBB4_294
; %bb.285:                              ;   in Loop: Header=BB4_137 Depth=3
	v_mov_b32_e32 v2, 0
	v_cmp_ne_u32_e32 vcc, 0, v1
	buffer_store_dword v2, off, s[0:3], s33 offset:228 ; 4-byte Folded Spill
	s_and_saveexec_b64 s[34:35], vcc
	s_cbranch_execz .LBB4_293
; %bb.286:                              ;   in Loop: Header=BB4_137 Depth=3
	v_and_b32_e32 v2, 0x7fffff, v1
	v_bfe_u32 v1, v1, 23, 8
	v_cmp_gt_u32_e64 s[26:27], s71, v1
	v_sub_u32_e32 v4, 0x79, v1
	v_cmp_eq_u32_e32 vcc, 0, v1
	v_cndmask_b32_e64 v4, 0, v4, s[26:27]
	v_mov_b32_e32 v7, 0x78
	v_or_b32_e32 v6, 0x800000, v2
	v_cndmask_b32_e32 v4, v4, v7, vcc
	v_cndmask_b32_e32 v2, v6, v2, vcc
	v_add_u32_e32 v6, 20, v4
	v_lshlrev_b64 v[6:7], v6, -1
	v_add_u32_e32 v12, 19, v4
	v_lshlrev_b64 v[12:13], v12, 1
	v_lshrrev_b64 v[46:47], v4, v[2:3]
	v_bfi_b32 v7, v7, 0, 0
	v_bfi_b32 v6, v6, 0, v2
	v_cmp_eq_u64_e64 s[26:27], v[6:7], v[12:13]
	v_mov_b32_e32 v57, v47
	v_mov_b32_e32 v56, v46
	s_and_saveexec_b64 s[36:37], s[26:27]
; %bb.287:                              ;   in Loop: Header=BB4_137 Depth=3
	v_bfe_u32 v2, v46, 20, 1
	v_add_co_u32_e64 v2, s[26:27], v46, v2
	v_add_co_u32_e64 v56, s[26:27], -1, v2
; %bb.288:                              ;   in Loop: Header=BB4_137 Depth=3
	s_or_b64 exec, exec, s[36:37]
	v_add_u32_e32 v1, 0xffffff81, v1
	v_mov_b32_e32 v2, 0xffffff82
	v_cndmask_b32_e32 v1, v1, v2, vcc
	v_lshrrev_b32_e32 v2, 23, v46
	v_add3_u32 v6, v4, v1, v2
	v_add_u32_e32 v4, 6, v6
	v_and_b32_e32 v1, 0xfffff, v56
	v_add_u32_e32 v2, v1, v46
	v_cmp_ne_u32_e32 vcc, 0, v4
                                        ; implicit-def: $vgpr46_vgpr47
                                        ; implicit-def: $vgpr1
	s_and_saveexec_b64 s[26:27], vcc
	s_xor_b64 s[26:27], exec, s[26:27]
; %bb.289:                              ;   in Loop: Header=BB4_137 Depth=3
	v_cmp_lt_u64_e32 vcc, s[74:75], v[2:3]
	v_add_u32_e32 v1, 7, v6
	v_cndmask_b32_e32 v1, v4, v1, vcc
	v_cndmask_b32_e64 v4, 0, 1, vcc
	v_lshrrev_b64 v[46:47], v4, v[2:3]
; %bb.290:                              ;   in Loop: Header=BB4_137 Depth=3
	s_andn2_saveexec_b64 s[26:27], s[26:27]
; %bb.291:                              ;   in Loop: Header=BB4_137 Depth=3
	v_mov_b32_e32 v47, v3
	v_bfe_u32 v1, v2, 23, 1
	v_mov_b32_e32 v46, v2
; %bb.292:                              ;   in Loop: Header=BB4_137 Depth=3
	s_or_b64 exec, exec, s[26:27]
	v_lshrrev_b64 v[6:7], 20, v[46:47]
	v_cmp_gt_i32_e32 vcc, 16, v1
	v_cndmask_b32_e32 v7, 0, v7, vcc
	v_cndmask_b32_e32 v6, 7, v6, vcc
	v_cmp_eq_u32_e32 vcc, 0, v1
	v_min_i32_e32 v1, 15, v1
	v_cmp_eq_u64_e64 s[26:27], 0, v[6:7]
	v_lshlrev_b32_e32 v1, 3, v1
	v_and_b32_e32 v1, 0xf8, v1
	v_and_or_b32 v1, v6, 7, v1
	s_and_b64 s[26:27], vcc, s[26:27]
	v_cndmask_b32_e64 v1, v1, 0, s[26:27]
	v_or_b32_e32 v0, v1, v0
	buffer_store_dword v0, off, s[0:3], s33 offset:228 ; 4-byte Folded Spill
.LBB4_293:                              ;   in Loop: Header=BB4_137 Depth=3
	s_or_b64 exec, exec, s[34:35]
                                        ; implicit-def: $vgpr0
.LBB4_294:                              ;   in Loop: Header=BB4_137 Depth=3
	s_andn2_saveexec_b64 s[26:27], s[30:31]
	s_cbranch_execz .LBB4_296
; %bb.295:                              ;   in Loop: Header=BB4_137 Depth=3
	v_or_b32_e32 v0, 0x7e, v0
	buffer_store_dword v0, off, s[0:3], s33 offset:228 ; 4-byte Folded Spill
.LBB4_296:                              ;   in Loop: Header=BB4_137 Depth=3
	s_or_b64 exec, exec, s[26:27]
                                        ; implicit-def: $vgpr1
.LBB4_297:                              ;   in Loop: Header=BB4_137 Depth=3
	s_andn2_saveexec_b64 s[26:27], s[94:95]
	s_cbranch_execz .LBB4_299
; %bb.298:                              ;   in Loop: Header=BB4_137 Depth=3
	v_or_b32_sdwa v0, v1, s68 dst_sel:DWORD dst_unused:UNUSED_PAD src0_sel:BYTE_3 src1_sel:DWORD
	buffer_store_dword v0, off, s[0:3], s33 offset:228 ; 4-byte Folded Spill
.LBB4_299:                              ;   in Loop: Header=BB4_137 Depth=3
	s_or_b64 exec, exec, s[26:27]
	v_cmp_lt_u64_e32 vcc, s[56:57], v[8:9]
	v_mov_b32_e32 v0, 0
	s_and_saveexec_b64 s[26:27], vcc
	s_cbranch_execz .LBB4_305
; %bb.300:                              ;   in Loop: Header=BB4_137 Depth=3
	v_lshrrev_b32_e32 v2, 24, v9
	v_cmp_ne_u32_e32 vcc, s70, v2
	v_bfrev_b32_e32 v0, 1
	s_and_saveexec_b64 s[94:95], vcc
	s_cbranch_execz .LBB4_304
; %bb.301:                              ;   in Loop: Header=BB4_137 Depth=3
	v_bfe_u32 v1, v9, 24, 7
	v_cmp_ne_u32_e32 vcc, s68, v1
	v_mov_b32_e32 v0, 0x7f800001
	s_and_saveexec_b64 s[30:31], vcc
	s_cbranch_execz .LBB4_303
; %bb.302:                              ;   in Loop: Header=BB4_137 Depth=3
	v_and_b32_e32 v4, 7, v2
	v_ffbh_u32_e32 v0, v4
	v_min_u32_e32 v7, 32, v0
	v_subrev_u32_e32 v0, 28, v7
	v_lshrrev_b32_e32 v6, 3, v1
	v_cmp_gt_u32_e32 vcc, 8, v1
	v_lshlrev_b64 v[0:1], v0, v[2:3]
	v_sub_u32_e32 v1, 29, v7
	v_and_b32_e32 v0, 7, v0
	v_cndmask_b32_e32 v1, v6, v1, vcc
	v_cndmask_b32_e32 v0, v4, v0, vcc
	v_lshlrev_b32_e32 v2, 24, v2
	v_lshlrev_b32_e32 v0, 20, v0
	v_and_b32_e32 v2, 0x80000000, v2
	v_lshl_add_u32 v1, v1, 23, v5
	v_or3_b32 v0, v2, v1, v0
.LBB4_303:                              ;   in Loop: Header=BB4_137 Depth=3
	s_or_b64 exec, exec, s[30:31]
.LBB4_304:                              ;   in Loop: Header=BB4_137 Depth=3
	s_or_b64 exec, exec, s[94:95]
.LBB4_305:                              ;   in Loop: Header=BB4_137 Depth=3
	s_or_b64 exec, exec, s[26:27]
	v_mul_f32_e32 v1, v60, v0
	v_and_b32_e32 v2, 0x7f800000, v1
	v_cmp_ne_u64_e32 vcc, s[62:63], v[2:3]
                                        ; implicit-def: $vgpr0
                                        ; kill: killed $vgpr0
	s_and_saveexec_b64 s[26:27], vcc
	s_xor_b64 s[94:95], exec, s[26:27]
	s_cbranch_execz .LBB4_319
; %bb.306:                              ;   in Loop: Header=BB4_137 Depth=3
	v_and_b32_e32 v2, 0x7fffffff, v1
	v_cmp_gt_u64_e32 vcc, s[72:73], v[2:3]
	v_and_b32_sdwa v0, v1, s70 dst_sel:DWORD dst_unused:UNUSED_PAD src0_sel:BYTE_3 src1_sel:DWORD
                                        ; implicit-def: $vgpr2
                                        ; kill: killed $vgpr2
	s_and_saveexec_b64 s[26:27], vcc
	s_xor_b64 s[30:31], exec, s[26:27]
	s_cbranch_execz .LBB4_316
; %bb.307:                              ;   in Loop: Header=BB4_137 Depth=3
	v_mov_b32_e32 v2, 0
	v_cmp_ne_u32_e32 vcc, 0, v1
	buffer_store_dword v2, off, s[0:3], s33 offset:236 ; 4-byte Folded Spill
	s_and_saveexec_b64 s[34:35], vcc
	s_cbranch_execz .LBB4_315
; %bb.308:                              ;   in Loop: Header=BB4_137 Depth=3
	v_and_b32_e32 v2, 0x7fffff, v1
	v_bfe_u32 v1, v1, 23, 8
	v_cmp_gt_u32_e64 s[26:27], s71, v1
	v_sub_u32_e32 v4, 0x79, v1
	v_cmp_eq_u32_e32 vcc, 0, v1
	v_cndmask_b32_e64 v4, 0, v4, s[26:27]
	v_mov_b32_e32 v7, 0x78
	v_or_b32_e32 v6, 0x800000, v2
	v_cndmask_b32_e32 v4, v4, v7, vcc
	v_cndmask_b32_e32 v2, v6, v2, vcc
	v_add_u32_e32 v6, 20, v4
	v_lshlrev_b64 v[6:7], v6, -1
	v_add_u32_e32 v8, 19, v4
	v_lshlrev_b64 v[8:9], v8, 1
	v_bfi_b32 v7, v7, 0, 0
	v_bfi_b32 v6, v6, 0, v2
	v_cmp_eq_u64_e64 s[26:27], v[6:7], v[8:9]
	v_lshrrev_b64 v[8:9], v4, v[2:3]
	v_mov_b32_e32 v47, v9
	v_mov_b32_e32 v46, v8
	s_and_saveexec_b64 s[36:37], s[26:27]
; %bb.309:                              ;   in Loop: Header=BB4_137 Depth=3
	v_bfe_u32 v2, v8, 20, 1
	v_add_co_u32_e64 v2, s[26:27], v8, v2
	v_add_co_u32_e64 v46, s[26:27], -1, v2
; %bb.310:                              ;   in Loop: Header=BB4_137 Depth=3
	s_or_b64 exec, exec, s[36:37]
	v_add_u32_e32 v1, 0xffffff81, v1
	v_mov_b32_e32 v2, 0xffffff82
	v_cndmask_b32_e32 v1, v1, v2, vcc
	v_lshrrev_b32_e32 v2, 23, v8
	v_add3_u32 v6, v4, v1, v2
	v_add_u32_e32 v4, 6, v6
	v_and_b32_e32 v1, 0xfffff, v46
	v_add_u32_e32 v2, v1, v8
	v_cmp_ne_u32_e32 vcc, 0, v4
                                        ; implicit-def: $vgpr8_vgpr9
                                        ; implicit-def: $vgpr1
	s_and_saveexec_b64 s[26:27], vcc
	s_xor_b64 s[26:27], exec, s[26:27]
; %bb.311:                              ;   in Loop: Header=BB4_137 Depth=3
	v_cmp_lt_u64_e32 vcc, s[74:75], v[2:3]
	v_add_u32_e32 v1, 7, v6
	v_cndmask_b32_e32 v1, v4, v1, vcc
	v_cndmask_b32_e64 v4, 0, 1, vcc
	v_lshrrev_b64 v[8:9], v4, v[2:3]
; %bb.312:                              ;   in Loop: Header=BB4_137 Depth=3
	s_andn2_saveexec_b64 s[26:27], s[26:27]
; %bb.313:                              ;   in Loop: Header=BB4_137 Depth=3
	v_mov_b32_e32 v9, v3
	v_bfe_u32 v1, v2, 23, 1
	v_mov_b32_e32 v8, v2
; %bb.314:                              ;   in Loop: Header=BB4_137 Depth=3
	s_or_b64 exec, exec, s[26:27]
	v_lshrrev_b64 v[6:7], 20, v[8:9]
	v_cmp_gt_i32_e32 vcc, 16, v1
	v_cndmask_b32_e32 v7, 0, v7, vcc
	v_cndmask_b32_e32 v6, 7, v6, vcc
	v_cmp_eq_u32_e32 vcc, 0, v1
	v_min_i32_e32 v1, 15, v1
	v_cmp_eq_u64_e64 s[26:27], 0, v[6:7]
	v_lshlrev_b32_e32 v1, 3, v1
	v_and_b32_e32 v1, 0xf8, v1
	v_and_or_b32 v1, v6, 7, v1
	s_and_b64 s[26:27], vcc, s[26:27]
	v_cndmask_b32_e64 v1, v1, 0, s[26:27]
	v_or_b32_e32 v0, v1, v0
	buffer_store_dword v0, off, s[0:3], s33 offset:236 ; 4-byte Folded Spill
.LBB4_315:                              ;   in Loop: Header=BB4_137 Depth=3
	s_or_b64 exec, exec, s[34:35]
                                        ; implicit-def: $vgpr0
.LBB4_316:                              ;   in Loop: Header=BB4_137 Depth=3
	s_andn2_saveexec_b64 s[26:27], s[30:31]
	s_cbranch_execz .LBB4_318
; %bb.317:                              ;   in Loop: Header=BB4_137 Depth=3
	v_or_b32_e32 v0, 0x7e, v0
	buffer_store_dword v0, off, s[0:3], s33 offset:236 ; 4-byte Folded Spill
.LBB4_318:                              ;   in Loop: Header=BB4_137 Depth=3
	s_or_b64 exec, exec, s[26:27]
                                        ; implicit-def: $vgpr1
.LBB4_319:                              ;   in Loop: Header=BB4_137 Depth=3
	s_andn2_saveexec_b64 s[26:27], s[94:95]
	s_cbranch_execz .LBB4_321
; %bb.320:                              ;   in Loop: Header=BB4_137 Depth=3
	v_or_b32_sdwa v0, v1, s68 dst_sel:DWORD dst_unused:UNUSED_PAD src0_sel:BYTE_3 src1_sel:DWORD
	buffer_store_dword v0, off, s[0:3], s33 offset:236 ; 4-byte Folded Spill
.LBB4_321:                              ;   in Loop: Header=BB4_137 Depth=3
	s_or_b64 exec, exec, s[26:27]
	v_cmp_ne_u16_sdwa s[94:95], v10, v3 src0_sel:BYTE_0 src1_sel:DWORD
	v_mov_b32_e32 v0, 0
	s_and_saveexec_b64 s[26:27], s[94:95]
	s_cbranch_execz .LBB4_327
; %bb.322:                              ;   in Loop: Header=BB4_137 Depth=3
	v_cmp_ne_u16_sdwa vcc, v10, s70 src0_sel:BYTE_0 src1_sel:DWORD
	v_bfrev_b32_e32 v0, 1
	s_and_saveexec_b64 s[94:95], vcc
	s_cbranch_execz .LBB4_326
; %bb.323:                              ;   in Loop: Header=BB4_137 Depth=3
	v_and_b32_e32 v1, 0x7f, v10
	v_cmp_ne_u32_e32 vcc, s68, v1
	v_mov_b32_e32 v0, 0x7f800001
	s_and_saveexec_b64 s[30:31], vcc
	s_cbranch_execz .LBB4_325
; %bb.324:                              ;   in Loop: Header=BB4_137 Depth=3
	v_and_b32_e32 v0, 7, v10
	v_ffbh_u32_e32 v0, v0
	v_min_u32_e32 v0, 32, v0
	v_lshrrev_b32_e32 v2, 3, v1
	v_cmp_gt_u32_e32 vcc, 8, v1
	v_subrev_u32_e32 v1, 28, v0
	v_sub_u32_e32 v0, 29, v0
	v_cndmask_b32_e32 v2, v2, v0, vcc
	v_cndmask_b32_e32 v0, 0, v1, vcc
	v_lshlrev_b64 v[0:1], v0, v[10:11]
	v_lshlrev_b32_e32 v1, 24, v10
	v_lshlrev_b32_e32 v0, 20, v0
	v_and_b32_e32 v0, 0x700000, v0
	v_and_b32_e32 v1, 0x80000000, v1
	v_lshl_add_u32 v2, v2, 23, v5
	v_or3_b32 v0, v1, v2, v0
.LBB4_325:                              ;   in Loop: Header=BB4_137 Depth=3
	s_or_b64 exec, exec, s[30:31]
.LBB4_326:                              ;   in Loop: Header=BB4_137 Depth=3
	s_or_b64 exec, exec, s[94:95]
.LBB4_327:                              ;   in Loop: Header=BB4_137 Depth=3
	s_or_b64 exec, exec, s[26:27]
	v_mul_f32_e32 v1, v60, v0
	v_and_b32_e32 v2, 0x7f800000, v1
	v_cmp_ne_u64_e32 vcc, s[62:63], v[2:3]
                                        ; implicit-def: $vgpr0
                                        ; kill: killed $vgpr0
	s_and_saveexec_b64 s[26:27], vcc
	s_xor_b64 s[94:95], exec, s[26:27]
	s_cbranch_execz .LBB4_341
; %bb.328:                              ;   in Loop: Header=BB4_137 Depth=3
	v_and_b32_e32 v2, 0x7fffffff, v1
	v_cmp_gt_u64_e32 vcc, s[72:73], v[2:3]
	v_and_b32_sdwa v0, v1, s70 dst_sel:DWORD dst_unused:UNUSED_PAD src0_sel:BYTE_3 src1_sel:DWORD
                                        ; implicit-def: $vgpr2
                                        ; kill: killed $vgpr2
	s_and_saveexec_b64 s[26:27], vcc
	s_xor_b64 s[30:31], exec, s[26:27]
	s_cbranch_execz .LBB4_338
; %bb.329:                              ;   in Loop: Header=BB4_137 Depth=3
	v_mov_b32_e32 v2, 0
	v_cmp_ne_u32_e32 vcc, 0, v1
	buffer_store_dword v2, off, s[0:3], s33 offset:244 ; 4-byte Folded Spill
	s_and_saveexec_b64 s[34:35], vcc
	s_cbranch_execz .LBB4_337
; %bb.330:                              ;   in Loop: Header=BB4_137 Depth=3
	v_and_b32_e32 v2, 0x7fffff, v1
	v_bfe_u32 v1, v1, 23, 8
	v_cmp_gt_u32_e64 s[26:27], s71, v1
	v_sub_u32_e32 v4, 0x79, v1
	v_cmp_eq_u32_e32 vcc, 0, v1
	v_cndmask_b32_e64 v4, 0, v4, s[26:27]
	v_mov_b32_e32 v7, 0x78
	v_or_b32_e32 v6, 0x800000, v2
	v_cndmask_b32_e32 v4, v4, v7, vcc
	v_cndmask_b32_e32 v2, v6, v2, vcc
	v_add_u32_e32 v6, 20, v4
	v_lshlrev_b64 v[6:7], v6, -1
	v_add_u32_e32 v8, 19, v4
	v_lshlrev_b64 v[8:9], v8, 1
	v_bfi_b32 v7, v7, 0, 0
	v_bfi_b32 v6, v6, 0, v2
	v_cmp_eq_u64_e64 s[26:27], v[6:7], v[8:9]
	v_lshrrev_b64 v[8:9], v4, v[2:3]
	v_mov_b32_e32 v47, v9
	v_mov_b32_e32 v46, v8
	s_and_saveexec_b64 s[36:37], s[26:27]
; %bb.331:                              ;   in Loop: Header=BB4_137 Depth=3
	v_bfe_u32 v2, v8, 20, 1
	v_add_co_u32_e64 v2, s[26:27], v8, v2
	v_add_co_u32_e64 v46, s[26:27], -1, v2
; %bb.332:                              ;   in Loop: Header=BB4_137 Depth=3
	s_or_b64 exec, exec, s[36:37]
	v_add_u32_e32 v1, 0xffffff81, v1
	v_mov_b32_e32 v2, 0xffffff82
	v_cndmask_b32_e32 v1, v1, v2, vcc
	v_lshrrev_b32_e32 v2, 23, v8
	v_add3_u32 v6, v4, v1, v2
	v_add_u32_e32 v4, 6, v6
	v_and_b32_e32 v1, 0xfffff, v46
	v_add_u32_e32 v2, v1, v8
	v_cmp_ne_u32_e32 vcc, 0, v4
                                        ; implicit-def: $vgpr8_vgpr9
                                        ; implicit-def: $vgpr1
	s_and_saveexec_b64 s[26:27], vcc
	s_xor_b64 s[26:27], exec, s[26:27]
; %bb.333:                              ;   in Loop: Header=BB4_137 Depth=3
	v_cmp_lt_u64_e32 vcc, s[74:75], v[2:3]
	v_add_u32_e32 v1, 7, v6
	v_cndmask_b32_e32 v1, v4, v1, vcc
	v_cndmask_b32_e64 v4, 0, 1, vcc
	v_lshrrev_b64 v[8:9], v4, v[2:3]
; %bb.334:                              ;   in Loop: Header=BB4_137 Depth=3
	s_andn2_saveexec_b64 s[26:27], s[26:27]
; %bb.335:                              ;   in Loop: Header=BB4_137 Depth=3
	v_mov_b32_e32 v9, v3
	v_bfe_u32 v1, v2, 23, 1
	v_mov_b32_e32 v8, v2
; %bb.336:                              ;   in Loop: Header=BB4_137 Depth=3
	s_or_b64 exec, exec, s[26:27]
	v_lshrrev_b64 v[6:7], 20, v[8:9]
	v_cmp_gt_i32_e32 vcc, 16, v1
	v_cndmask_b32_e32 v7, 0, v7, vcc
	v_cndmask_b32_e32 v6, 7, v6, vcc
	v_cmp_eq_u32_e32 vcc, 0, v1
	v_min_i32_e32 v1, 15, v1
	v_cmp_eq_u64_e64 s[26:27], 0, v[6:7]
	v_lshlrev_b32_e32 v1, 3, v1
	v_and_b32_e32 v1, 0xf8, v1
	v_and_or_b32 v1, v6, 7, v1
	s_and_b64 s[26:27], vcc, s[26:27]
	v_cndmask_b32_e64 v1, v1, 0, s[26:27]
	v_or_b32_e32 v0, v1, v0
	buffer_store_dword v0, off, s[0:3], s33 offset:244 ; 4-byte Folded Spill
.LBB4_337:                              ;   in Loop: Header=BB4_137 Depth=3
	s_or_b64 exec, exec, s[34:35]
                                        ; implicit-def: $vgpr0
.LBB4_338:                              ;   in Loop: Header=BB4_137 Depth=3
	s_andn2_saveexec_b64 s[26:27], s[30:31]
	s_cbranch_execz .LBB4_340
; %bb.339:                              ;   in Loop: Header=BB4_137 Depth=3
	v_or_b32_e32 v0, 0x7e, v0
	buffer_store_dword v0, off, s[0:3], s33 offset:244 ; 4-byte Folded Spill
.LBB4_340:                              ;   in Loop: Header=BB4_137 Depth=3
	s_or_b64 exec, exec, s[26:27]
                                        ; implicit-def: $vgpr1
.LBB4_341:                              ;   in Loop: Header=BB4_137 Depth=3
	s_andn2_saveexec_b64 s[26:27], s[94:95]
	s_cbranch_execz .LBB4_343
; %bb.342:                              ;   in Loop: Header=BB4_137 Depth=3
	v_or_b32_sdwa v0, v1, s68 dst_sel:DWORD dst_unused:UNUSED_PAD src0_sel:BYTE_3 src1_sel:DWORD
	buffer_store_dword v0, off, s[0:3], s33 offset:244 ; 4-byte Folded Spill
.LBB4_343:                              ;   in Loop: Header=BB4_137 Depth=3
	s_or_b64 exec, exec, s[26:27]
	v_lshrrev_b16_e32 v2, 8, v10
	v_cmp_ne_u16_e32 vcc, 0, v2
	v_mov_b32_e32 v0, 0
	s_and_saveexec_b64 s[26:27], vcc
	s_cbranch_execz .LBB4_349
; %bb.344:                              ;   in Loop: Header=BB4_137 Depth=3
	v_cmp_ne_u16_e32 vcc, s70, v2
	v_bfrev_b32_e32 v0, 1
	s_and_saveexec_b64 s[94:95], vcc
	s_cbranch_execz .LBB4_348
; %bb.345:                              ;   in Loop: Header=BB4_137 Depth=3
	v_and_b32_e32 v1, 0x7f, v2
	v_cmp_ne_u32_e32 vcc, s68, v1
	v_mov_b32_e32 v0, 0x7f800001
	s_and_saveexec_b64 s[30:31], vcc
	s_cbranch_execz .LBB4_347
; %bb.346:                              ;   in Loop: Header=BB4_137 Depth=3
	v_and_b32_e32 v4, 7, v2
	v_ffbh_u32_e32 v0, v4
	v_min_u32_e32 v7, 32, v0
	v_subrev_u32_e32 v0, 28, v7
	v_lshrrev_b32_e32 v6, 3, v1
	v_cmp_gt_u32_e32 vcc, 8, v1
	v_lshlrev_b64 v[0:1], v0, v[2:3]
	v_sub_u32_e32 v1, 29, v7
	v_and_b32_e32 v0, 7, v0
	v_cndmask_b32_e32 v1, v6, v1, vcc
	v_cndmask_b32_e32 v0, v4, v0, vcc
	v_lshlrev_b32_e32 v2, 16, v10
	v_lshlrev_b32_e32 v0, 20, v0
	v_and_b32_e32 v2, 0x80000000, v2
	v_lshl_add_u32 v1, v1, 23, v5
	v_or3_b32 v0, v2, v1, v0
.LBB4_347:                              ;   in Loop: Header=BB4_137 Depth=3
	s_or_b64 exec, exec, s[30:31]
.LBB4_348:                              ;   in Loop: Header=BB4_137 Depth=3
	s_or_b64 exec, exec, s[94:95]
.LBB4_349:                              ;   in Loop: Header=BB4_137 Depth=3
	s_or_b64 exec, exec, s[26:27]
	v_mul_f32_e32 v1, v60, v0
	v_and_b32_e32 v2, 0x7f800000, v1
	v_cmp_ne_u64_e32 vcc, s[62:63], v[2:3]
                                        ; implicit-def: $vgpr0
                                        ; kill: killed $vgpr0
	s_and_saveexec_b64 s[26:27], vcc
	s_xor_b64 s[94:95], exec, s[26:27]
	s_cbranch_execz .LBB4_363
; %bb.350:                              ;   in Loop: Header=BB4_137 Depth=3
	v_and_b32_e32 v2, 0x7fffffff, v1
	v_cmp_gt_u64_e32 vcc, s[72:73], v[2:3]
	v_and_b32_sdwa v0, v1, s70 dst_sel:DWORD dst_unused:UNUSED_PAD src0_sel:BYTE_3 src1_sel:DWORD
                                        ; implicit-def: $vgpr2
                                        ; kill: killed $vgpr2
	s_and_saveexec_b64 s[26:27], vcc
	s_xor_b64 s[30:31], exec, s[26:27]
	s_cbranch_execz .LBB4_360
; %bb.351:                              ;   in Loop: Header=BB4_137 Depth=3
	v_mov_b32_e32 v2, 0
	v_cmp_ne_u32_e32 vcc, 0, v1
	buffer_store_dword v2, off, s[0:3], s33 offset:248 ; 4-byte Folded Spill
	s_and_saveexec_b64 s[34:35], vcc
	s_cbranch_execz .LBB4_359
; %bb.352:                              ;   in Loop: Header=BB4_137 Depth=3
	v_and_b32_e32 v2, 0x7fffff, v1
	v_bfe_u32 v1, v1, 23, 8
	v_cmp_gt_u32_e64 s[26:27], s71, v1
	v_sub_u32_e32 v4, 0x79, v1
	v_cmp_eq_u32_e32 vcc, 0, v1
	v_cndmask_b32_e64 v4, 0, v4, s[26:27]
	v_mov_b32_e32 v7, 0x78
	v_or_b32_e32 v6, 0x800000, v2
	v_cndmask_b32_e32 v4, v4, v7, vcc
	v_cndmask_b32_e32 v2, v6, v2, vcc
	v_add_u32_e32 v6, 20, v4
	v_lshlrev_b64 v[6:7], v6, -1
	v_add_u32_e32 v8, 19, v4
	v_lshlrev_b64 v[8:9], v8, 1
	v_bfi_b32 v7, v7, 0, 0
	v_bfi_b32 v6, v6, 0, v2
	v_cmp_eq_u64_e64 s[26:27], v[6:7], v[8:9]
	v_lshrrev_b64 v[8:9], v4, v[2:3]
	v_mov_b32_e32 v47, v9
	v_mov_b32_e32 v46, v8
	s_and_saveexec_b64 s[36:37], s[26:27]
; %bb.353:                              ;   in Loop: Header=BB4_137 Depth=3
	v_bfe_u32 v2, v8, 20, 1
	v_add_co_u32_e64 v2, s[26:27], v8, v2
	v_add_co_u32_e64 v46, s[26:27], -1, v2
; %bb.354:                              ;   in Loop: Header=BB4_137 Depth=3
	s_or_b64 exec, exec, s[36:37]
	v_add_u32_e32 v1, 0xffffff81, v1
	v_mov_b32_e32 v2, 0xffffff82
	v_cndmask_b32_e32 v1, v1, v2, vcc
	v_lshrrev_b32_e32 v2, 23, v8
	v_add3_u32 v6, v4, v1, v2
	v_add_u32_e32 v4, 6, v6
	v_and_b32_e32 v1, 0xfffff, v46
	v_add_u32_e32 v2, v1, v8
	v_cmp_ne_u32_e32 vcc, 0, v4
                                        ; implicit-def: $vgpr8_vgpr9
                                        ; implicit-def: $vgpr1
	s_and_saveexec_b64 s[26:27], vcc
	s_xor_b64 s[26:27], exec, s[26:27]
; %bb.355:                              ;   in Loop: Header=BB4_137 Depth=3
	v_cmp_lt_u64_e32 vcc, s[74:75], v[2:3]
	v_add_u32_e32 v1, 7, v6
	v_cndmask_b32_e32 v1, v4, v1, vcc
	v_cndmask_b32_e64 v4, 0, 1, vcc
	v_lshrrev_b64 v[8:9], v4, v[2:3]
; %bb.356:                              ;   in Loop: Header=BB4_137 Depth=3
	s_andn2_saveexec_b64 s[26:27], s[26:27]
; %bb.357:                              ;   in Loop: Header=BB4_137 Depth=3
	v_mov_b32_e32 v9, v3
	v_bfe_u32 v1, v2, 23, 1
	v_mov_b32_e32 v8, v2
; %bb.358:                              ;   in Loop: Header=BB4_137 Depth=3
	s_or_b64 exec, exec, s[26:27]
	v_lshrrev_b64 v[6:7], 20, v[8:9]
	v_cmp_gt_i32_e32 vcc, 16, v1
	v_cndmask_b32_e32 v7, 0, v7, vcc
	v_cndmask_b32_e32 v6, 7, v6, vcc
	v_cmp_eq_u32_e32 vcc, 0, v1
	v_min_i32_e32 v1, 15, v1
	v_cmp_eq_u64_e64 s[26:27], 0, v[6:7]
	v_lshlrev_b32_e32 v1, 3, v1
	v_and_b32_e32 v1, 0xf8, v1
	v_and_or_b32 v1, v6, 7, v1
	s_and_b64 s[26:27], vcc, s[26:27]
	v_cndmask_b32_e64 v1, v1, 0, s[26:27]
	v_or_b32_e32 v0, v1, v0
	buffer_store_dword v0, off, s[0:3], s33 offset:248 ; 4-byte Folded Spill
.LBB4_359:                              ;   in Loop: Header=BB4_137 Depth=3
	s_or_b64 exec, exec, s[34:35]
                                        ; implicit-def: $vgpr0
.LBB4_360:                              ;   in Loop: Header=BB4_137 Depth=3
	s_andn2_saveexec_b64 s[26:27], s[30:31]
	s_cbranch_execz .LBB4_362
; %bb.361:                              ;   in Loop: Header=BB4_137 Depth=3
	v_or_b32_e32 v0, 0x7e, v0
	buffer_store_dword v0, off, s[0:3], s33 offset:248 ; 4-byte Folded Spill
.LBB4_362:                              ;   in Loop: Header=BB4_137 Depth=3
	s_or_b64 exec, exec, s[26:27]
                                        ; implicit-def: $vgpr1
.LBB4_363:                              ;   in Loop: Header=BB4_137 Depth=3
	s_andn2_saveexec_b64 s[26:27], s[94:95]
	s_cbranch_execz .LBB4_365
; %bb.364:                              ;   in Loop: Header=BB4_137 Depth=3
	v_or_b32_sdwa v0, v1, s68 dst_sel:DWORD dst_unused:UNUSED_PAD src0_sel:BYTE_3 src1_sel:DWORD
	buffer_store_dword v0, off, s[0:3], s33 offset:248 ; 4-byte Folded Spill
.LBB4_365:                              ;   in Loop: Header=BB4_137 Depth=3
	s_or_b64 exec, exec, s[26:27]
	v_lshrrev_b32_e32 v2, 16, v10
	v_cmp_ne_u16_sdwa s[94:95], v2, v3 src0_sel:BYTE_0 src1_sel:DWORD
	v_mov_b32_e32 v0, 0
	s_and_saveexec_b64 s[26:27], s[94:95]
	s_cbranch_execz .LBB4_371
; %bb.366:                              ;   in Loop: Header=BB4_137 Depth=3
	v_cmp_ne_u16_sdwa vcc, v2, s70 src0_sel:BYTE_0 src1_sel:DWORD
	v_bfrev_b32_e32 v0, 1
	s_and_saveexec_b64 s[94:95], vcc
	s_cbranch_execz .LBB4_370
; %bb.367:                              ;   in Loop: Header=BB4_137 Depth=3
	v_bfe_u32 v1, v10, 16, 7
	v_cmp_ne_u32_e32 vcc, s68, v1
	v_mov_b32_e32 v0, 0x7f800001
	s_and_saveexec_b64 s[30:31], vcc
	s_cbranch_execz .LBB4_369
; %bb.368:                              ;   in Loop: Header=BB4_137 Depth=3
	v_and_b32_e32 v4, 7, v2
	v_ffbh_u32_e32 v0, v4
	v_min_u32_e32 v7, 32, v0
	v_subrev_u32_e32 v0, 28, v7
	v_lshrrev_b32_e32 v6, 3, v1
	v_cmp_gt_u32_e32 vcc, 8, v1
	v_lshlrev_b64 v[0:1], v0, v[2:3]
	v_sub_u32_e32 v1, 29, v7
	v_and_b32_e32 v0, 7, v0
	v_cndmask_b32_e32 v1, v6, v1, vcc
	v_cndmask_b32_e32 v0, v4, v0, vcc
	v_lshlrev_b32_e32 v2, 24, v2
	v_lshlrev_b32_e32 v0, 20, v0
	v_and_b32_e32 v2, 0x80000000, v2
	v_lshl_add_u32 v1, v1, 23, v5
	v_or3_b32 v0, v2, v1, v0
.LBB4_369:                              ;   in Loop: Header=BB4_137 Depth=3
	s_or_b64 exec, exec, s[30:31]
.LBB4_370:                              ;   in Loop: Header=BB4_137 Depth=3
	s_or_b64 exec, exec, s[94:95]
.LBB4_371:                              ;   in Loop: Header=BB4_137 Depth=3
	s_or_b64 exec, exec, s[26:27]
	v_mul_f32_e32 v1, v60, v0
	v_and_b32_e32 v2, 0x7f800000, v1
	v_cmp_ne_u64_e32 vcc, s[62:63], v[2:3]
                                        ; implicit-def: $vgpr0
                                        ; kill: killed $vgpr0
	s_and_saveexec_b64 s[26:27], vcc
	s_xor_b64 s[94:95], exec, s[26:27]
	s_cbranch_execz .LBB4_385
; %bb.372:                              ;   in Loop: Header=BB4_137 Depth=3
	v_and_b32_e32 v2, 0x7fffffff, v1
	v_cmp_gt_u64_e32 vcc, s[72:73], v[2:3]
	v_and_b32_sdwa v0, v1, s70 dst_sel:DWORD dst_unused:UNUSED_PAD src0_sel:BYTE_3 src1_sel:DWORD
                                        ; implicit-def: $vgpr2
                                        ; kill: killed $vgpr2
	s_and_saveexec_b64 s[26:27], vcc
	s_xor_b64 s[30:31], exec, s[26:27]
	s_cbranch_execz .LBB4_382
; %bb.373:                              ;   in Loop: Header=BB4_137 Depth=3
	v_mov_b32_e32 v2, 0
	v_cmp_ne_u32_e32 vcc, 0, v1
	buffer_store_dword v2, off, s[0:3], s33 offset:256 ; 4-byte Folded Spill
	s_and_saveexec_b64 s[34:35], vcc
	s_cbranch_execz .LBB4_381
; %bb.374:                              ;   in Loop: Header=BB4_137 Depth=3
	v_and_b32_e32 v2, 0x7fffff, v1
	v_bfe_u32 v1, v1, 23, 8
	v_cmp_gt_u32_e64 s[26:27], s71, v1
	v_sub_u32_e32 v4, 0x79, v1
	v_cmp_eq_u32_e32 vcc, 0, v1
	v_cndmask_b32_e64 v4, 0, v4, s[26:27]
	v_mov_b32_e32 v7, 0x78
	v_or_b32_e32 v6, 0x800000, v2
	v_cndmask_b32_e32 v4, v4, v7, vcc
	v_cndmask_b32_e32 v2, v6, v2, vcc
	v_add_u32_e32 v6, 20, v4
	v_lshlrev_b64 v[6:7], v6, -1
	v_add_u32_e32 v8, 19, v4
	v_lshlrev_b64 v[8:9], v8, 1
	v_bfi_b32 v7, v7, 0, 0
	v_bfi_b32 v6, v6, 0, v2
	v_cmp_eq_u64_e64 s[26:27], v[6:7], v[8:9]
	v_lshrrev_b64 v[8:9], v4, v[2:3]
	v_mov_b32_e32 v47, v9
	v_mov_b32_e32 v46, v8
	s_and_saveexec_b64 s[36:37], s[26:27]
; %bb.375:                              ;   in Loop: Header=BB4_137 Depth=3
	v_bfe_u32 v2, v8, 20, 1
	v_add_co_u32_e64 v2, s[26:27], v8, v2
	v_add_co_u32_e64 v46, s[26:27], -1, v2
; %bb.376:                              ;   in Loop: Header=BB4_137 Depth=3
	s_or_b64 exec, exec, s[36:37]
	v_add_u32_e32 v1, 0xffffff81, v1
	v_mov_b32_e32 v2, 0xffffff82
	v_cndmask_b32_e32 v1, v1, v2, vcc
	v_lshrrev_b32_e32 v2, 23, v8
	v_add3_u32 v6, v4, v1, v2
	v_add_u32_e32 v4, 6, v6
	v_and_b32_e32 v1, 0xfffff, v46
	v_add_u32_e32 v2, v1, v8
	v_cmp_ne_u32_e32 vcc, 0, v4
                                        ; implicit-def: $vgpr8_vgpr9
                                        ; implicit-def: $vgpr1
	s_and_saveexec_b64 s[26:27], vcc
	s_xor_b64 s[26:27], exec, s[26:27]
; %bb.377:                              ;   in Loop: Header=BB4_137 Depth=3
	v_cmp_lt_u64_e32 vcc, s[74:75], v[2:3]
	v_add_u32_e32 v1, 7, v6
	v_cndmask_b32_e32 v1, v4, v1, vcc
	v_cndmask_b32_e64 v4, 0, 1, vcc
	v_lshrrev_b64 v[8:9], v4, v[2:3]
; %bb.378:                              ;   in Loop: Header=BB4_137 Depth=3
	s_andn2_saveexec_b64 s[26:27], s[26:27]
; %bb.379:                              ;   in Loop: Header=BB4_137 Depth=3
	v_mov_b32_e32 v9, v3
	v_bfe_u32 v1, v2, 23, 1
	v_mov_b32_e32 v8, v2
; %bb.380:                              ;   in Loop: Header=BB4_137 Depth=3
	s_or_b64 exec, exec, s[26:27]
	v_lshrrev_b64 v[6:7], 20, v[8:9]
	v_cmp_gt_i32_e32 vcc, 16, v1
	v_cndmask_b32_e32 v7, 0, v7, vcc
	v_cndmask_b32_e32 v6, 7, v6, vcc
	v_cmp_eq_u32_e32 vcc, 0, v1
	v_min_i32_e32 v1, 15, v1
	v_cmp_eq_u64_e64 s[26:27], 0, v[6:7]
	v_lshlrev_b32_e32 v1, 3, v1
	v_and_b32_e32 v1, 0xf8, v1
	v_and_or_b32 v1, v6, 7, v1
	s_and_b64 s[26:27], vcc, s[26:27]
	v_cndmask_b32_e64 v1, v1, 0, s[26:27]
	v_or_b32_e32 v0, v1, v0
	buffer_store_dword v0, off, s[0:3], s33 offset:256 ; 4-byte Folded Spill
.LBB4_381:                              ;   in Loop: Header=BB4_137 Depth=3
	s_or_b64 exec, exec, s[34:35]
                                        ; implicit-def: $vgpr0
.LBB4_382:                              ;   in Loop: Header=BB4_137 Depth=3
	s_andn2_saveexec_b64 s[26:27], s[30:31]
	s_cbranch_execz .LBB4_384
; %bb.383:                              ;   in Loop: Header=BB4_137 Depth=3
	v_or_b32_e32 v0, 0x7e, v0
	buffer_store_dword v0, off, s[0:3], s33 offset:256 ; 4-byte Folded Spill
.LBB4_384:                              ;   in Loop: Header=BB4_137 Depth=3
	s_or_b64 exec, exec, s[26:27]
                                        ; implicit-def: $vgpr1
.LBB4_385:                              ;   in Loop: Header=BB4_137 Depth=3
	s_andn2_saveexec_b64 s[26:27], s[94:95]
	s_cbranch_execz .LBB4_387
; %bb.386:                              ;   in Loop: Header=BB4_137 Depth=3
	v_or_b32_sdwa v0, v1, s68 dst_sel:DWORD dst_unused:UNUSED_PAD src0_sel:BYTE_3 src1_sel:DWORD
	buffer_store_dword v0, off, s[0:3], s33 offset:256 ; 4-byte Folded Spill
.LBB4_387:                              ;   in Loop: Header=BB4_137 Depth=3
	s_or_b64 exec, exec, s[26:27]
	v_cmp_lt_u32_e32 vcc, s57, v10
	v_mov_b32_e32 v0, 0
	s_and_saveexec_b64 s[26:27], vcc
	s_cbranch_execz .LBB4_393
; %bb.388:                              ;   in Loop: Header=BB4_137 Depth=3
	v_lshrrev_b32_e32 v2, 24, v10
	v_cmp_ne_u32_e32 vcc, s70, v2
	v_bfrev_b32_e32 v0, 1
	s_and_saveexec_b64 s[94:95], vcc
	s_cbranch_execz .LBB4_392
; %bb.389:                              ;   in Loop: Header=BB4_137 Depth=3
	v_bfe_u32 v1, v10, 24, 7
	v_cmp_ne_u32_e32 vcc, s68, v1
	v_mov_b32_e32 v0, 0x7f800001
	s_and_saveexec_b64 s[30:31], vcc
	s_cbranch_execz .LBB4_391
; %bb.390:                              ;   in Loop: Header=BB4_137 Depth=3
	v_and_b32_e32 v4, 7, v2
	v_ffbh_u32_e32 v0, v4
	v_min_u32_e32 v7, 32, v0
	v_subrev_u32_e32 v0, 28, v7
	v_lshrrev_b32_e32 v6, 3, v1
	v_cmp_gt_u32_e32 vcc, 8, v1
	v_lshlrev_b64 v[0:1], v0, v[2:3]
	v_sub_u32_e32 v1, 29, v7
	v_and_b32_e32 v0, 7, v0
	v_cndmask_b32_e32 v1, v6, v1, vcc
	v_cndmask_b32_e32 v0, v4, v0, vcc
	v_lshlrev_b32_e32 v2, 24, v2
	v_lshlrev_b32_e32 v0, 20, v0
	v_and_b32_e32 v2, 0x80000000, v2
	v_lshl_add_u32 v1, v1, 23, v5
	v_or3_b32 v0, v2, v1, v0
.LBB4_391:                              ;   in Loop: Header=BB4_137 Depth=3
	s_or_b64 exec, exec, s[30:31]
.LBB4_392:                              ;   in Loop: Header=BB4_137 Depth=3
	s_or_b64 exec, exec, s[94:95]
.LBB4_393:                              ;   in Loop: Header=BB4_137 Depth=3
	s_or_b64 exec, exec, s[26:27]
	v_mul_f32_e32 v1, v60, v0
	v_and_b32_e32 v2, 0x7f800000, v1
	v_cmp_ne_u64_e32 vcc, s[62:63], v[2:3]
                                        ; implicit-def: $vgpr0
                                        ; kill: killed $vgpr0
	s_and_saveexec_b64 s[26:27], vcc
	s_xor_b64 s[94:95], exec, s[26:27]
	s_cbranch_execz .LBB4_407
; %bb.394:                              ;   in Loop: Header=BB4_137 Depth=3
	v_and_b32_e32 v2, 0x7fffffff, v1
	v_cmp_gt_u64_e32 vcc, s[72:73], v[2:3]
	v_and_b32_sdwa v0, v1, s70 dst_sel:DWORD dst_unused:UNUSED_PAD src0_sel:BYTE_3 src1_sel:DWORD
                                        ; implicit-def: $vgpr2
                                        ; kill: killed $vgpr2
	s_and_saveexec_b64 s[26:27], vcc
	s_xor_b64 s[30:31], exec, s[26:27]
	s_cbranch_execz .LBB4_404
; %bb.395:                              ;   in Loop: Header=BB4_137 Depth=3
	v_mov_b32_e32 v2, 0
	v_cmp_ne_u32_e32 vcc, 0, v1
	buffer_store_dword v2, off, s[0:3], s33 offset:260 ; 4-byte Folded Spill
	s_and_saveexec_b64 s[34:35], vcc
	s_cbranch_execz .LBB4_403
; %bb.396:                              ;   in Loop: Header=BB4_137 Depth=3
	v_and_b32_e32 v2, 0x7fffff, v1
	v_bfe_u32 v1, v1, 23, 8
	v_cmp_gt_u32_e64 s[26:27], s71, v1
	v_sub_u32_e32 v4, 0x79, v1
	v_cmp_eq_u32_e32 vcc, 0, v1
	v_cndmask_b32_e64 v4, 0, v4, s[26:27]
	v_mov_b32_e32 v7, 0x78
	v_or_b32_e32 v6, 0x800000, v2
	v_cndmask_b32_e32 v4, v4, v7, vcc
	v_cndmask_b32_e32 v2, v6, v2, vcc
	v_add_u32_e32 v6, 20, v4
	v_lshlrev_b64 v[6:7], v6, -1
	v_add_u32_e32 v8, 19, v4
	v_lshlrev_b64 v[8:9], v8, 1
	v_bfi_b32 v7, v7, 0, 0
	v_bfi_b32 v6, v6, 0, v2
	v_cmp_eq_u64_e64 s[26:27], v[6:7], v[8:9]
	v_lshrrev_b64 v[8:9], v4, v[2:3]
	v_mov_b32_e32 v47, v9
	v_mov_b32_e32 v46, v8
	s_and_saveexec_b64 s[36:37], s[26:27]
; %bb.397:                              ;   in Loop: Header=BB4_137 Depth=3
	v_bfe_u32 v2, v8, 20, 1
	v_add_co_u32_e64 v2, s[26:27], v8, v2
	v_add_co_u32_e64 v46, s[26:27], -1, v2
; %bb.398:                              ;   in Loop: Header=BB4_137 Depth=3
	s_or_b64 exec, exec, s[36:37]
	v_add_u32_e32 v1, 0xffffff81, v1
	v_mov_b32_e32 v2, 0xffffff82
	v_cndmask_b32_e32 v1, v1, v2, vcc
	v_lshrrev_b32_e32 v2, 23, v8
	v_add3_u32 v6, v4, v1, v2
	v_add_u32_e32 v4, 6, v6
	v_and_b32_e32 v1, 0xfffff, v46
	v_add_u32_e32 v2, v1, v8
	v_cmp_ne_u32_e32 vcc, 0, v4
                                        ; implicit-def: $vgpr8_vgpr9
                                        ; implicit-def: $vgpr1
	s_and_saveexec_b64 s[26:27], vcc
	s_xor_b64 s[26:27], exec, s[26:27]
; %bb.399:                              ;   in Loop: Header=BB4_137 Depth=3
	v_cmp_lt_u64_e32 vcc, s[74:75], v[2:3]
	v_add_u32_e32 v1, 7, v6
	v_cndmask_b32_e32 v1, v4, v1, vcc
	v_cndmask_b32_e64 v4, 0, 1, vcc
	v_lshrrev_b64 v[8:9], v4, v[2:3]
; %bb.400:                              ;   in Loop: Header=BB4_137 Depth=3
	s_andn2_saveexec_b64 s[26:27], s[26:27]
; %bb.401:                              ;   in Loop: Header=BB4_137 Depth=3
	v_mov_b32_e32 v9, v3
	v_bfe_u32 v1, v2, 23, 1
	v_mov_b32_e32 v8, v2
; %bb.402:                              ;   in Loop: Header=BB4_137 Depth=3
	s_or_b64 exec, exec, s[26:27]
	v_lshrrev_b64 v[6:7], 20, v[8:9]
	v_cmp_gt_i32_e32 vcc, 16, v1
	v_cndmask_b32_e32 v7, 0, v7, vcc
	v_cndmask_b32_e32 v6, 7, v6, vcc
	v_cmp_eq_u32_e32 vcc, 0, v1
	v_min_i32_e32 v1, 15, v1
	v_cmp_eq_u64_e64 s[26:27], 0, v[6:7]
	v_lshlrev_b32_e32 v1, 3, v1
	v_and_b32_e32 v1, 0xf8, v1
	v_and_or_b32 v1, v6, 7, v1
	s_and_b64 s[26:27], vcc, s[26:27]
	v_cndmask_b32_e64 v1, v1, 0, s[26:27]
	v_or_b32_e32 v0, v1, v0
	buffer_store_dword v0, off, s[0:3], s33 offset:260 ; 4-byte Folded Spill
.LBB4_403:                              ;   in Loop: Header=BB4_137 Depth=3
	s_or_b64 exec, exec, s[34:35]
                                        ; implicit-def: $vgpr0
.LBB4_404:                              ;   in Loop: Header=BB4_137 Depth=3
	s_andn2_saveexec_b64 s[26:27], s[30:31]
	s_cbranch_execz .LBB4_406
; %bb.405:                              ;   in Loop: Header=BB4_137 Depth=3
	v_or_b32_e32 v0, 0x7e, v0
	buffer_store_dword v0, off, s[0:3], s33 offset:260 ; 4-byte Folded Spill
.LBB4_406:                              ;   in Loop: Header=BB4_137 Depth=3
	s_or_b64 exec, exec, s[26:27]
                                        ; implicit-def: $vgpr1
.LBB4_407:                              ;   in Loop: Header=BB4_137 Depth=3
	s_andn2_saveexec_b64 s[26:27], s[94:95]
	s_cbranch_execz .LBB4_409
; %bb.408:                              ;   in Loop: Header=BB4_137 Depth=3
	v_or_b32_sdwa v0, v1, s68 dst_sel:DWORD dst_unused:UNUSED_PAD src0_sel:BYTE_3 src1_sel:DWORD
	buffer_store_dword v0, off, s[0:3], s33 offset:260 ; 4-byte Folded Spill
.LBB4_409:                              ;   in Loop: Header=BB4_137 Depth=3
	s_or_b64 exec, exec, s[26:27]
	v_mov_b32_e32 v2, v11
	v_cmp_ne_u16_sdwa s[94:95], v11, v3 src0_sel:BYTE_0 src1_sel:DWORD
	v_mov_b32_e32 v0, 0
	s_and_saveexec_b64 s[26:27], s[94:95]
	s_cbranch_execz .LBB4_415
; %bb.410:                              ;   in Loop: Header=BB4_137 Depth=3
	v_cmp_ne_u16_sdwa vcc, v11, s70 src0_sel:BYTE_0 src1_sel:DWORD
	v_bfrev_b32_e32 v0, 1
	s_and_saveexec_b64 s[94:95], vcc
	s_cbranch_execz .LBB4_414
; %bb.411:                              ;   in Loop: Header=BB4_137 Depth=3
	v_and_b32_e32 v1, 0x7f, v11
	v_cmp_ne_u32_e32 vcc, s68, v1
	v_mov_b32_e32 v0, 0x7f800001
	s_and_saveexec_b64 s[30:31], vcc
	s_cbranch_execz .LBB4_413
; %bb.412:                              ;   in Loop: Header=BB4_137 Depth=3
	v_and_b32_e32 v0, 7, v11
	v_ffbh_u32_e32 v0, v0
	v_min_u32_e32 v0, 32, v0
	v_lshrrev_b32_e32 v4, 3, v1
	v_cmp_gt_u32_e32 vcc, 8, v1
	v_subrev_u32_e32 v1, 28, v0
	v_sub_u32_e32 v0, 29, v0
	v_cndmask_b32_e32 v4, v4, v0, vcc
	v_cndmask_b32_e32 v0, 0, v1, vcc
	v_lshlrev_b64 v[0:1], v0, v[2:3]
	v_lshlrev_b32_e32 v1, 24, v2
	v_lshlrev_b32_e32 v0, 20, v0
	v_and_b32_e32 v0, 0x700000, v0
	v_and_b32_e32 v1, 0x80000000, v1
	v_lshl_add_u32 v4, v4, 23, v5
	v_or3_b32 v0, v1, v4, v0
.LBB4_413:                              ;   in Loop: Header=BB4_137 Depth=3
	s_or_b64 exec, exec, s[30:31]
.LBB4_414:                              ;   in Loop: Header=BB4_137 Depth=3
	s_or_b64 exec, exec, s[94:95]
.LBB4_415:                              ;   in Loop: Header=BB4_137 Depth=3
	s_or_b64 exec, exec, s[26:27]
	v_mul_f32_e32 v1, v60, v0
	v_and_b32_e32 v6, 0x7f800000, v1
	v_mov_b32_e32 v7, v3
	v_cmp_ne_u64_e32 vcc, s[62:63], v[6:7]
                                        ; implicit-def: $vgpr0
                                        ; kill: killed $vgpr0
	s_and_saveexec_b64 s[26:27], vcc
	s_xor_b64 s[94:95], exec, s[26:27]
	s_cbranch_execz .LBB4_429
; %bb.416:                              ;   in Loop: Header=BB4_137 Depth=3
	v_and_b32_e32 v6, 0x7fffffff, v1
	v_mov_b32_e32 v7, v3
	v_cmp_gt_u64_e32 vcc, s[72:73], v[6:7]
	v_and_b32_sdwa v0, v1, s70 dst_sel:DWORD dst_unused:UNUSED_PAD src0_sel:BYTE_3 src1_sel:DWORD
                                        ; implicit-def: $vgpr4
                                        ; kill: killed $vgpr4
	s_and_saveexec_b64 s[26:27], vcc
	s_xor_b64 s[30:31], exec, s[26:27]
	s_cbranch_execz .LBB4_426
; %bb.417:                              ;   in Loop: Header=BB4_137 Depth=3
	v_mov_b32_e32 v4, 0
	v_cmp_ne_u32_e32 vcc, 0, v1
	buffer_store_dword v4, off, s[0:3], s33 offset:264 ; 4-byte Folded Spill
	s_and_saveexec_b64 s[34:35], vcc
	s_cbranch_execz .LBB4_425
; %bb.418:                              ;   in Loop: Header=BB4_137 Depth=3
	v_and_b32_e32 v6, 0x7fffff, v1
	v_bfe_u32 v1, v1, 23, 8
	v_cmp_gt_u32_e64 s[26:27], s71, v1
	v_sub_u32_e32 v4, 0x79, v1
	v_cmp_eq_u32_e32 vcc, 0, v1
	v_cndmask_b32_e64 v4, 0, v4, s[26:27]
	v_mov_b32_e32 v8, 0x78
	v_cndmask_b32_e32 v4, v4, v8, vcc
	v_add_u32_e32 v8, 20, v4
	v_or_b32_e32 v7, 0x800000, v6
	v_lshlrev_b64 v[8:9], v8, -1
	v_add_u32_e32 v12, 19, v4
	v_cndmask_b32_e32 v6, v7, v6, vcc
	v_lshlrev_b64 v[12:13], v12, 1
	v_mov_b32_e32 v7, v3
	v_bfi_b32 v9, v9, 0, 0
	v_bfi_b32 v8, v8, 0, v6
	v_cmp_eq_u64_e64 s[26:27], v[8:9], v[12:13]
	v_lshrrev_b64 v[8:9], v4, v[6:7]
	v_mov_b32_e32 v47, v9
	v_mov_b32_e32 v46, v8
	s_and_saveexec_b64 s[36:37], s[26:27]
; %bb.419:                              ;   in Loop: Header=BB4_137 Depth=3
	v_bfe_u32 v6, v8, 20, 1
	v_add_co_u32_e64 v6, s[26:27], v8, v6
	v_add_co_u32_e64 v46, s[26:27], -1, v6
; %bb.420:                              ;   in Loop: Header=BB4_137 Depth=3
	s_or_b64 exec, exec, s[36:37]
	v_add_u32_e32 v1, 0xffffff81, v1
	v_mov_b32_e32 v6, 0xffffff82
	v_cndmask_b32_e32 v1, v1, v6, vcc
	v_lshrrev_b32_e32 v6, 23, v8
	v_add3_u32 v6, v4, v1, v6
	v_add_u32_e32 v4, 6, v6
	v_and_b32_e32 v1, 0xfffff, v46
	v_add_u32_e32 v8, v1, v8
	v_mov_b32_e32 v9, v3
	v_cmp_ne_u32_e32 vcc, 0, v4
                                        ; implicit-def: $vgpr1
	s_and_saveexec_b64 s[26:27], vcc
	s_xor_b64 s[26:27], exec, s[26:27]
; %bb.421:                              ;   in Loop: Header=BB4_137 Depth=3
	v_cmp_lt_u64_e32 vcc, s[74:75], v[8:9]
	v_add_u32_e32 v1, 7, v6
	v_cndmask_b32_e32 v1, v4, v1, vcc
	v_cndmask_b32_e64 v4, 0, 1, vcc
	v_lshrrev_b64 v[8:9], v4, v[8:9]
; %bb.422:                              ;   in Loop: Header=BB4_137 Depth=3
	s_andn2_saveexec_b64 s[26:27], s[26:27]
; %bb.423:                              ;   in Loop: Header=BB4_137 Depth=3
	v_bfe_u32 v1, v8, 23, 1
; %bb.424:                              ;   in Loop: Header=BB4_137 Depth=3
	s_or_b64 exec, exec, s[26:27]
	v_lshrrev_b64 v[6:7], 20, v[8:9]
	v_cmp_gt_i32_e32 vcc, 16, v1
	v_cndmask_b32_e32 v7, 0, v7, vcc
	v_cndmask_b32_e32 v6, 7, v6, vcc
	v_cmp_eq_u32_e32 vcc, 0, v1
	v_min_i32_e32 v1, 15, v1
	v_cmp_eq_u64_e64 s[26:27], 0, v[6:7]
	v_lshlrev_b32_e32 v1, 3, v1
	v_and_b32_e32 v1, 0xf8, v1
	v_and_or_b32 v1, v6, 7, v1
	s_and_b64 s[26:27], vcc, s[26:27]
	v_cndmask_b32_e64 v1, v1, 0, s[26:27]
	v_or_b32_e32 v0, v1, v0
	buffer_store_dword v0, off, s[0:3], s33 offset:264 ; 4-byte Folded Spill
.LBB4_425:                              ;   in Loop: Header=BB4_137 Depth=3
	s_or_b64 exec, exec, s[34:35]
                                        ; implicit-def: $vgpr0
.LBB4_426:                              ;   in Loop: Header=BB4_137 Depth=3
	s_andn2_saveexec_b64 s[26:27], s[30:31]
	s_cbranch_execz .LBB4_428
; %bb.427:                              ;   in Loop: Header=BB4_137 Depth=3
	v_or_b32_e32 v0, 0x7e, v0
	buffer_store_dword v0, off, s[0:3], s33 offset:264 ; 4-byte Folded Spill
.LBB4_428:                              ;   in Loop: Header=BB4_137 Depth=3
	s_or_b64 exec, exec, s[26:27]
                                        ; implicit-def: $vgpr1
.LBB4_429:                              ;   in Loop: Header=BB4_137 Depth=3
	s_andn2_saveexec_b64 s[26:27], s[94:95]
	s_cbranch_execz .LBB4_431
; %bb.430:                              ;   in Loop: Header=BB4_137 Depth=3
	v_or_b32_sdwa v0, v1, s68 dst_sel:DWORD dst_unused:UNUSED_PAD src0_sel:BYTE_3 src1_sel:DWORD
	buffer_store_dword v0, off, s[0:3], s33 offset:264 ; 4-byte Folded Spill
.LBB4_431:                              ;   in Loop: Header=BB4_137 Depth=3
	s_or_b64 exec, exec, s[26:27]
	v_lshrrev_b16_e32 v8, 8, v2
	v_cmp_ne_u16_e32 vcc, 0, v8
	v_mov_b32_e32 v0, 0
	s_and_saveexec_b64 s[26:27], vcc
	s_cbranch_execz .LBB4_437
; %bb.432:                              ;   in Loop: Header=BB4_137 Depth=3
	v_cmp_ne_u16_e32 vcc, s70, v8
	v_bfrev_b32_e32 v0, 1
	s_and_saveexec_b64 s[94:95], vcc
	s_cbranch_execz .LBB4_436
; %bb.433:                              ;   in Loop: Header=BB4_137 Depth=3
	v_and_b32_e32 v1, 0x7f, v8
	v_cmp_ne_u32_e32 vcc, s68, v1
	v_mov_b32_e32 v0, 0x7f800001
	s_and_saveexec_b64 s[30:31], vcc
	s_cbranch_execz .LBB4_435
; %bb.434:                              ;   in Loop: Header=BB4_137 Depth=3
	v_and_b32_e32 v4, 7, v8
	v_ffbh_u32_e32 v0, v4
	v_min_u32_e32 v7, 32, v0
	v_subrev_u32_e32 v0, 28, v7
	v_lshrrev_b32_e32 v6, 3, v1
	v_cmp_gt_u32_e32 vcc, 8, v1
	v_lshlrev_b64 v[0:1], v0, v[8:9]
	v_sub_u32_e32 v1, 29, v7
	v_and_b32_e32 v0, 7, v0
	v_cndmask_b32_e32 v1, v6, v1, vcc
	v_cndmask_b32_e32 v0, v4, v0, vcc
	v_lshlrev_b32_e32 v2, 16, v2
	v_lshlrev_b32_e32 v0, 20, v0
	v_and_b32_e32 v2, 0x80000000, v2
	v_lshl_add_u32 v1, v1, 23, v5
	v_or3_b32 v0, v2, v1, v0
.LBB4_435:                              ;   in Loop: Header=BB4_137 Depth=3
	s_or_b64 exec, exec, s[30:31]
.LBB4_436:                              ;   in Loop: Header=BB4_137 Depth=3
	s_or_b64 exec, exec, s[94:95]
.LBB4_437:                              ;   in Loop: Header=BB4_137 Depth=3
	s_or_b64 exec, exec, s[26:27]
	v_mul_f32_e32 v1, v60, v0
	v_and_b32_e32 v2, 0x7f800000, v1
	v_cmp_ne_u64_e32 vcc, s[62:63], v[2:3]
                                        ; implicit-def: $vgpr0
                                        ; kill: killed $vgpr0
	s_and_saveexec_b64 s[26:27], vcc
	s_xor_b64 s[94:95], exec, s[26:27]
	s_cbranch_execz .LBB4_451
; %bb.438:                              ;   in Loop: Header=BB4_137 Depth=3
	v_and_b32_e32 v2, 0x7fffffff, v1
	v_cmp_gt_u64_e32 vcc, s[72:73], v[2:3]
	v_and_b32_sdwa v0, v1, s70 dst_sel:DWORD dst_unused:UNUSED_PAD src0_sel:BYTE_3 src1_sel:DWORD
                                        ; implicit-def: $vgpr2
                                        ; kill: killed $vgpr2
	s_and_saveexec_b64 s[26:27], vcc
	s_xor_b64 s[30:31], exec, s[26:27]
	s_cbranch_execz .LBB4_448
; %bb.439:                              ;   in Loop: Header=BB4_137 Depth=3
	v_mov_b32_e32 v2, 0
	v_cmp_ne_u32_e32 vcc, 0, v1
	buffer_store_dword v2, off, s[0:3], s33 offset:272 ; 4-byte Folded Spill
	s_and_saveexec_b64 s[34:35], vcc
	s_cbranch_execz .LBB4_447
; %bb.440:                              ;   in Loop: Header=BB4_137 Depth=3
	v_and_b32_e32 v2, 0x7fffff, v1
	v_bfe_u32 v1, v1, 23, 8
	v_cmp_gt_u32_e64 s[26:27], s71, v1
	v_sub_u32_e32 v4, 0x79, v1
	v_cmp_eq_u32_e32 vcc, 0, v1
	v_cndmask_b32_e64 v4, 0, v4, s[26:27]
	v_mov_b32_e32 v7, 0x78
	v_or_b32_e32 v6, 0x800000, v2
	v_cndmask_b32_e32 v4, v4, v7, vcc
	v_cndmask_b32_e32 v2, v6, v2, vcc
	v_add_u32_e32 v6, 20, v4
	v_lshlrev_b64 v[6:7], v6, -1
	v_add_u32_e32 v8, 19, v4
	v_lshlrev_b64 v[8:9], v8, 1
	v_bfi_b32 v7, v7, 0, 0
	v_bfi_b32 v6, v6, 0, v2
	v_cmp_eq_u64_e64 s[26:27], v[6:7], v[8:9]
	v_lshrrev_b64 v[8:9], v4, v[2:3]
	v_mov_b32_e32 v47, v9
	v_mov_b32_e32 v46, v8
	s_and_saveexec_b64 s[36:37], s[26:27]
; %bb.441:                              ;   in Loop: Header=BB4_137 Depth=3
	v_bfe_u32 v2, v8, 20, 1
	v_add_co_u32_e64 v2, s[26:27], v8, v2
	v_add_co_u32_e64 v46, s[26:27], -1, v2
; %bb.442:                              ;   in Loop: Header=BB4_137 Depth=3
	s_or_b64 exec, exec, s[36:37]
	v_add_u32_e32 v1, 0xffffff81, v1
	v_mov_b32_e32 v2, 0xffffff82
	v_cndmask_b32_e32 v1, v1, v2, vcc
	v_lshrrev_b32_e32 v2, 23, v8
	v_add3_u32 v6, v4, v1, v2
	v_add_u32_e32 v4, 6, v6
	v_and_b32_e32 v1, 0xfffff, v46
	v_add_u32_e32 v2, v1, v8
	v_cmp_ne_u32_e32 vcc, 0, v4
                                        ; implicit-def: $vgpr8_vgpr9
                                        ; implicit-def: $vgpr1
	s_and_saveexec_b64 s[26:27], vcc
	s_xor_b64 s[26:27], exec, s[26:27]
; %bb.443:                              ;   in Loop: Header=BB4_137 Depth=3
	v_cmp_lt_u64_e32 vcc, s[74:75], v[2:3]
	v_add_u32_e32 v1, 7, v6
	v_cndmask_b32_e32 v1, v4, v1, vcc
	v_cndmask_b32_e64 v4, 0, 1, vcc
	v_lshrrev_b64 v[8:9], v4, v[2:3]
; %bb.444:                              ;   in Loop: Header=BB4_137 Depth=3
	s_andn2_saveexec_b64 s[26:27], s[26:27]
; %bb.445:                              ;   in Loop: Header=BB4_137 Depth=3
	v_mov_b32_e32 v9, v3
	v_bfe_u32 v1, v2, 23, 1
	v_mov_b32_e32 v8, v2
; %bb.446:                              ;   in Loop: Header=BB4_137 Depth=3
	s_or_b64 exec, exec, s[26:27]
	v_lshrrev_b64 v[6:7], 20, v[8:9]
	v_cmp_gt_i32_e32 vcc, 16, v1
	v_cndmask_b32_e32 v7, 0, v7, vcc
	v_cndmask_b32_e32 v6, 7, v6, vcc
	v_cmp_eq_u32_e32 vcc, 0, v1
	v_min_i32_e32 v1, 15, v1
	v_cmp_eq_u64_e64 s[26:27], 0, v[6:7]
	v_lshlrev_b32_e32 v1, 3, v1
	v_and_b32_e32 v1, 0xf8, v1
	v_and_or_b32 v1, v6, 7, v1
	s_and_b64 s[26:27], vcc, s[26:27]
	v_cndmask_b32_e64 v1, v1, 0, s[26:27]
	v_or_b32_e32 v0, v1, v0
	buffer_store_dword v0, off, s[0:3], s33 offset:272 ; 4-byte Folded Spill
.LBB4_447:                              ;   in Loop: Header=BB4_137 Depth=3
	s_or_b64 exec, exec, s[34:35]
                                        ; implicit-def: $vgpr0
.LBB4_448:                              ;   in Loop: Header=BB4_137 Depth=3
	s_andn2_saveexec_b64 s[26:27], s[30:31]
	s_cbranch_execz .LBB4_450
; %bb.449:                              ;   in Loop: Header=BB4_137 Depth=3
	v_or_b32_e32 v0, 0x7e, v0
	buffer_store_dword v0, off, s[0:3], s33 offset:272 ; 4-byte Folded Spill
.LBB4_450:                              ;   in Loop: Header=BB4_137 Depth=3
	s_or_b64 exec, exec, s[26:27]
                                        ; implicit-def: $vgpr1
.LBB4_451:                              ;   in Loop: Header=BB4_137 Depth=3
	s_andn2_saveexec_b64 s[26:27], s[94:95]
	s_cbranch_execz .LBB4_453
; %bb.452:                              ;   in Loop: Header=BB4_137 Depth=3
	v_or_b32_sdwa v0, v1, s68 dst_sel:DWORD dst_unused:UNUSED_PAD src0_sel:BYTE_3 src1_sel:DWORD
	buffer_store_dword v0, off, s[0:3], s33 offset:272 ; 4-byte Folded Spill
.LBB4_453:                              ;   in Loop: Header=BB4_137 Depth=3
	s_or_b64 exec, exec, s[26:27]
	v_lshrrev_b32_e32 v2, 16, v11
	v_cmp_ne_u16_sdwa s[94:95], v2, v3 src0_sel:BYTE_0 src1_sel:DWORD
	v_mov_b32_e32 v0, 0
	s_and_saveexec_b64 s[26:27], s[94:95]
	s_cbranch_execz .LBB4_459
; %bb.454:                              ;   in Loop: Header=BB4_137 Depth=3
	v_cmp_ne_u16_sdwa vcc, v2, s70 src0_sel:BYTE_0 src1_sel:DWORD
	v_bfrev_b32_e32 v0, 1
	s_and_saveexec_b64 s[94:95], vcc
	s_cbranch_execz .LBB4_458
; %bb.455:                              ;   in Loop: Header=BB4_137 Depth=3
	v_bfe_u32 v1, v11, 16, 7
	v_cmp_ne_u32_e32 vcc, s68, v1
	v_mov_b32_e32 v0, 0x7f800001
	s_and_saveexec_b64 s[30:31], vcc
	s_cbranch_execz .LBB4_457
; %bb.456:                              ;   in Loop: Header=BB4_137 Depth=3
	v_and_b32_e32 v4, 7, v2
	v_ffbh_u32_e32 v0, v4
	v_min_u32_e32 v7, 32, v0
	v_subrev_u32_e32 v0, 28, v7
	v_lshrrev_b32_e32 v6, 3, v1
	v_cmp_gt_u32_e32 vcc, 8, v1
	v_lshlrev_b64 v[0:1], v0, v[2:3]
	v_sub_u32_e32 v1, 29, v7
	v_and_b32_e32 v0, 7, v0
	v_cndmask_b32_e32 v1, v6, v1, vcc
	v_cndmask_b32_e32 v0, v4, v0, vcc
	v_lshlrev_b32_e32 v2, 24, v2
	v_lshlrev_b32_e32 v0, 20, v0
	v_and_b32_e32 v2, 0x80000000, v2
	v_lshl_add_u32 v1, v1, 23, v5
	v_or3_b32 v0, v2, v1, v0
.LBB4_457:                              ;   in Loop: Header=BB4_137 Depth=3
	s_or_b64 exec, exec, s[30:31]
.LBB4_458:                              ;   in Loop: Header=BB4_137 Depth=3
	s_or_b64 exec, exec, s[94:95]
.LBB4_459:                              ;   in Loop: Header=BB4_137 Depth=3
	s_or_b64 exec, exec, s[26:27]
	v_mul_f32_e32 v1, v60, v0
	v_and_b32_e32 v2, 0x7f800000, v1
	v_cmp_ne_u64_e32 vcc, s[62:63], v[2:3]
                                        ; implicit-def: $vgpr0
                                        ; kill: killed $vgpr0
	s_and_saveexec_b64 s[26:27], vcc
	s_xor_b64 s[94:95], exec, s[26:27]
	s_cbranch_execz .LBB4_473
; %bb.460:                              ;   in Loop: Header=BB4_137 Depth=3
	v_and_b32_e32 v2, 0x7fffffff, v1
	v_cmp_gt_u64_e32 vcc, s[72:73], v[2:3]
	v_and_b32_sdwa v0, v1, s70 dst_sel:DWORD dst_unused:UNUSED_PAD src0_sel:BYTE_3 src1_sel:DWORD
                                        ; implicit-def: $vgpr2
                                        ; kill: killed $vgpr2
	s_and_saveexec_b64 s[26:27], vcc
	s_xor_b64 s[30:31], exec, s[26:27]
	s_cbranch_execz .LBB4_470
; %bb.461:                              ;   in Loop: Header=BB4_137 Depth=3
	v_mov_b32_e32 v2, 0
	v_cmp_ne_u32_e32 vcc, 0, v1
	buffer_store_dword v2, off, s[0:3], s33 offset:276 ; 4-byte Folded Spill
	s_and_saveexec_b64 s[34:35], vcc
	s_cbranch_execz .LBB4_469
; %bb.462:                              ;   in Loop: Header=BB4_137 Depth=3
	v_and_b32_e32 v2, 0x7fffff, v1
	v_bfe_u32 v1, v1, 23, 8
	v_cmp_gt_u32_e64 s[26:27], s71, v1
	v_sub_u32_e32 v4, 0x79, v1
	v_cmp_eq_u32_e32 vcc, 0, v1
	v_cndmask_b32_e64 v4, 0, v4, s[26:27]
	v_mov_b32_e32 v7, 0x78
	v_or_b32_e32 v6, 0x800000, v2
	v_cndmask_b32_e32 v4, v4, v7, vcc
	v_cndmask_b32_e32 v2, v6, v2, vcc
	v_add_u32_e32 v6, 20, v4
	v_lshlrev_b64 v[6:7], v6, -1
	v_add_u32_e32 v8, 19, v4
	v_lshlrev_b64 v[8:9], v8, 1
	v_bfi_b32 v7, v7, 0, 0
	v_bfi_b32 v6, v6, 0, v2
	v_cmp_eq_u64_e64 s[26:27], v[6:7], v[8:9]
	v_lshrrev_b64 v[8:9], v4, v[2:3]
	v_mov_b32_e32 v47, v9
	v_mov_b32_e32 v46, v8
	s_and_saveexec_b64 s[36:37], s[26:27]
; %bb.463:                              ;   in Loop: Header=BB4_137 Depth=3
	v_bfe_u32 v2, v8, 20, 1
	v_add_co_u32_e64 v2, s[26:27], v8, v2
	v_add_co_u32_e64 v46, s[26:27], -1, v2
; %bb.464:                              ;   in Loop: Header=BB4_137 Depth=3
	s_or_b64 exec, exec, s[36:37]
	v_add_u32_e32 v1, 0xffffff81, v1
	v_mov_b32_e32 v2, 0xffffff82
	v_cndmask_b32_e32 v1, v1, v2, vcc
	v_lshrrev_b32_e32 v2, 23, v8
	v_add3_u32 v6, v4, v1, v2
	v_add_u32_e32 v4, 6, v6
	v_and_b32_e32 v1, 0xfffff, v46
	v_add_u32_e32 v2, v1, v8
	v_cmp_ne_u32_e32 vcc, 0, v4
                                        ; implicit-def: $vgpr8_vgpr9
                                        ; implicit-def: $vgpr1
	s_and_saveexec_b64 s[26:27], vcc
	s_xor_b64 s[26:27], exec, s[26:27]
; %bb.465:                              ;   in Loop: Header=BB4_137 Depth=3
	v_cmp_lt_u64_e32 vcc, s[74:75], v[2:3]
	v_add_u32_e32 v1, 7, v6
	v_cndmask_b32_e32 v1, v4, v1, vcc
	v_cndmask_b32_e64 v4, 0, 1, vcc
	v_lshrrev_b64 v[8:9], v4, v[2:3]
; %bb.466:                              ;   in Loop: Header=BB4_137 Depth=3
	s_andn2_saveexec_b64 s[26:27], s[26:27]
; %bb.467:                              ;   in Loop: Header=BB4_137 Depth=3
	v_mov_b32_e32 v9, v3
	v_bfe_u32 v1, v2, 23, 1
	v_mov_b32_e32 v8, v2
; %bb.468:                              ;   in Loop: Header=BB4_137 Depth=3
	s_or_b64 exec, exec, s[26:27]
	v_lshrrev_b64 v[6:7], 20, v[8:9]
	v_cmp_gt_i32_e32 vcc, 16, v1
	v_cndmask_b32_e32 v7, 0, v7, vcc
	v_cndmask_b32_e32 v6, 7, v6, vcc
	v_cmp_eq_u32_e32 vcc, 0, v1
	v_min_i32_e32 v1, 15, v1
	v_cmp_eq_u64_e64 s[26:27], 0, v[6:7]
	v_lshlrev_b32_e32 v1, 3, v1
	v_and_b32_e32 v1, 0xf8, v1
	v_and_or_b32 v1, v6, 7, v1
	s_and_b64 s[26:27], vcc, s[26:27]
	v_cndmask_b32_e64 v1, v1, 0, s[26:27]
	v_or_b32_e32 v0, v1, v0
	buffer_store_dword v0, off, s[0:3], s33 offset:276 ; 4-byte Folded Spill
.LBB4_469:                              ;   in Loop: Header=BB4_137 Depth=3
	s_or_b64 exec, exec, s[34:35]
                                        ; implicit-def: $vgpr0
.LBB4_470:                              ;   in Loop: Header=BB4_137 Depth=3
	s_andn2_saveexec_b64 s[26:27], s[30:31]
	s_cbranch_execz .LBB4_472
; %bb.471:                              ;   in Loop: Header=BB4_137 Depth=3
	v_or_b32_e32 v0, 0x7e, v0
	buffer_store_dword v0, off, s[0:3], s33 offset:276 ; 4-byte Folded Spill
.LBB4_472:                              ;   in Loop: Header=BB4_137 Depth=3
	s_or_b64 exec, exec, s[26:27]
                                        ; implicit-def: $vgpr1
.LBB4_473:                              ;   in Loop: Header=BB4_137 Depth=3
	s_andn2_saveexec_b64 s[26:27], s[94:95]
	s_cbranch_execz .LBB4_475
; %bb.474:                              ;   in Loop: Header=BB4_137 Depth=3
	v_or_b32_sdwa v0, v1, s68 dst_sel:DWORD dst_unused:UNUSED_PAD src0_sel:BYTE_3 src1_sel:DWORD
	buffer_store_dword v0, off, s[0:3], s33 offset:276 ; 4-byte Folded Spill
.LBB4_475:                              ;   in Loop: Header=BB4_137 Depth=3
	s_or_b64 exec, exec, s[26:27]
	v_cmp_lt_u64_e32 vcc, s[56:57], v[10:11]
	v_mov_b32_e32 v0, 0
	s_and_saveexec_b64 s[26:27], vcc
	s_cbranch_execz .LBB4_481
; %bb.476:                              ;   in Loop: Header=BB4_137 Depth=3
	v_lshrrev_b32_e32 v2, 24, v11
	v_cmp_ne_u32_e32 vcc, s70, v2
	v_bfrev_b32_e32 v0, 1
	s_and_saveexec_b64 s[94:95], vcc
	s_cbranch_execz .LBB4_480
; %bb.477:                              ;   in Loop: Header=BB4_137 Depth=3
	v_bfe_u32 v1, v11, 24, 7
	v_cmp_ne_u32_e32 vcc, s68, v1
	v_mov_b32_e32 v0, 0x7f800001
	s_and_saveexec_b64 s[30:31], vcc
	s_cbranch_execz .LBB4_479
; %bb.478:                              ;   in Loop: Header=BB4_137 Depth=3
	v_and_b32_e32 v4, 7, v2
	v_ffbh_u32_e32 v0, v4
	v_min_u32_e32 v7, 32, v0
	v_subrev_u32_e32 v0, 28, v7
	v_lshrrev_b32_e32 v6, 3, v1
	v_cmp_gt_u32_e32 vcc, 8, v1
	v_lshlrev_b64 v[0:1], v0, v[2:3]
	v_sub_u32_e32 v1, 29, v7
	v_and_b32_e32 v0, 7, v0
	v_cndmask_b32_e32 v1, v6, v1, vcc
	v_cndmask_b32_e32 v0, v4, v0, vcc
	v_lshlrev_b32_e32 v2, 24, v2
	v_lshlrev_b32_e32 v0, 20, v0
	v_and_b32_e32 v2, 0x80000000, v2
	v_lshl_add_u32 v1, v1, 23, v5
	v_or3_b32 v0, v2, v1, v0
.LBB4_479:                              ;   in Loop: Header=BB4_137 Depth=3
	s_or_b64 exec, exec, s[30:31]
.LBB4_480:                              ;   in Loop: Header=BB4_137 Depth=3
	s_or_b64 exec, exec, s[94:95]
.LBB4_481:                              ;   in Loop: Header=BB4_137 Depth=3
	s_or_b64 exec, exec, s[26:27]
	v_mul_f32_e32 v1, v60, v0
	v_and_b32_e32 v2, 0x7f800000, v1
	v_cmp_ne_u64_e32 vcc, s[62:63], v[2:3]
                                        ; implicit-def: $vgpr0
                                        ; kill: killed $vgpr0
	s_and_saveexec_b64 s[26:27], vcc
	s_xor_b64 s[94:95], exec, s[26:27]
	s_cbranch_execz .LBB4_495
; %bb.482:                              ;   in Loop: Header=BB4_137 Depth=3
	v_and_b32_e32 v2, 0x7fffffff, v1
	v_cmp_gt_u64_e32 vcc, s[72:73], v[2:3]
	v_and_b32_sdwa v0, v1, s70 dst_sel:DWORD dst_unused:UNUSED_PAD src0_sel:BYTE_3 src1_sel:DWORD
                                        ; implicit-def: $vgpr2
                                        ; kill: killed $vgpr2
	s_and_saveexec_b64 s[26:27], vcc
	s_xor_b64 s[30:31], exec, s[26:27]
	s_cbranch_execz .LBB4_492
; %bb.483:                              ;   in Loop: Header=BB4_137 Depth=3
	v_mov_b32_e32 v2, 0
	v_cmp_ne_u32_e32 vcc, 0, v1
	buffer_store_dword v2, off, s[0:3], s33 offset:280 ; 4-byte Folded Spill
	s_and_saveexec_b64 s[34:35], vcc
	s_cbranch_execz .LBB4_491
; %bb.484:                              ;   in Loop: Header=BB4_137 Depth=3
	v_and_b32_e32 v2, 0x7fffff, v1
	v_bfe_u32 v1, v1, 23, 8
	v_cmp_gt_u32_e64 s[26:27], s71, v1
	v_sub_u32_e32 v4, 0x79, v1
	v_cmp_eq_u32_e32 vcc, 0, v1
	v_cndmask_b32_e64 v4, 0, v4, s[26:27]
	v_mov_b32_e32 v7, 0x78
	v_or_b32_e32 v6, 0x800000, v2
	v_cndmask_b32_e32 v4, v4, v7, vcc
	v_cndmask_b32_e32 v2, v6, v2, vcc
	v_add_u32_e32 v6, 20, v4
	v_lshlrev_b64 v[6:7], v6, -1
	v_add_u32_e32 v8, 19, v4
	v_lshlrev_b64 v[8:9], v8, 1
	v_bfi_b32 v7, v7, 0, 0
	v_bfi_b32 v6, v6, 0, v2
	v_cmp_eq_u64_e64 s[26:27], v[6:7], v[8:9]
	v_lshrrev_b64 v[8:9], v4, v[2:3]
	v_mov_b32_e32 v10, v9
	v_mov_b32_e32 v9, v8
	s_and_saveexec_b64 s[36:37], s[26:27]
; %bb.485:                              ;   in Loop: Header=BB4_137 Depth=3
	v_bfe_u32 v2, v8, 20, 1
	v_add_co_u32_e64 v2, s[26:27], v8, v2
	v_add_co_u32_e64 v9, s[26:27], -1, v2
; %bb.486:                              ;   in Loop: Header=BB4_137 Depth=3
	s_or_b64 exec, exec, s[36:37]
	v_add_u32_e32 v1, 0xffffff81, v1
	v_mov_b32_e32 v2, 0xffffff82
	v_cndmask_b32_e32 v1, v1, v2, vcc
	v_lshrrev_b32_e32 v2, 23, v8
	v_add3_u32 v6, v4, v1, v2
	v_add_u32_e32 v4, 6, v6
	v_and_b32_e32 v1, 0xfffff, v9
	v_add_u32_e32 v2, v1, v8
	v_cmp_ne_u32_e32 vcc, 0, v4
                                        ; implicit-def: $vgpr8_vgpr9
                                        ; implicit-def: $vgpr1
	s_and_saveexec_b64 s[26:27], vcc
	s_xor_b64 s[26:27], exec, s[26:27]
; %bb.487:                              ;   in Loop: Header=BB4_137 Depth=3
	v_cmp_lt_u64_e32 vcc, s[74:75], v[2:3]
	v_add_u32_e32 v1, 7, v6
	v_cndmask_b32_e32 v1, v4, v1, vcc
	v_cndmask_b32_e64 v4, 0, 1, vcc
	v_lshrrev_b64 v[8:9], v4, v[2:3]
; %bb.488:                              ;   in Loop: Header=BB4_137 Depth=3
	s_andn2_saveexec_b64 s[26:27], s[26:27]
; %bb.489:                              ;   in Loop: Header=BB4_137 Depth=3
	v_mov_b32_e32 v9, v3
	v_bfe_u32 v1, v2, 23, 1
	v_mov_b32_e32 v8, v2
; %bb.490:                              ;   in Loop: Header=BB4_137 Depth=3
	s_or_b64 exec, exec, s[26:27]
	v_lshrrev_b64 v[6:7], 20, v[8:9]
	v_cmp_gt_i32_e32 vcc, 16, v1
	v_cndmask_b32_e32 v7, 0, v7, vcc
	v_cndmask_b32_e32 v6, 7, v6, vcc
	v_cmp_eq_u32_e32 vcc, 0, v1
	v_min_i32_e32 v1, 15, v1
	v_cmp_eq_u64_e64 s[26:27], 0, v[6:7]
	v_lshlrev_b32_e32 v1, 3, v1
	v_and_b32_e32 v1, 0xf8, v1
	v_and_or_b32 v1, v6, 7, v1
	s_and_b64 s[26:27], vcc, s[26:27]
	v_cndmask_b32_e64 v1, v1, 0, s[26:27]
	v_or_b32_e32 v0, v1, v0
	buffer_store_dword v0, off, s[0:3], s33 offset:280 ; 4-byte Folded Spill
.LBB4_491:                              ;   in Loop: Header=BB4_137 Depth=3
	s_or_b64 exec, exec, s[34:35]
                                        ; implicit-def: $vgpr0
.LBB4_492:                              ;   in Loop: Header=BB4_137 Depth=3
	s_andn2_saveexec_b64 s[26:27], s[30:31]
	s_cbranch_execz .LBB4_494
; %bb.493:                              ;   in Loop: Header=BB4_137 Depth=3
	v_or_b32_e32 v0, 0x7e, v0
	buffer_store_dword v0, off, s[0:3], s33 offset:280 ; 4-byte Folded Spill
.LBB4_494:                              ;   in Loop: Header=BB4_137 Depth=3
	s_or_b64 exec, exec, s[26:27]
                                        ; implicit-def: $vgpr1
.LBB4_495:                              ;   in Loop: Header=BB4_137 Depth=3
	s_andn2_saveexec_b64 s[26:27], s[94:95]
	s_cbranch_execz .LBB4_497
; %bb.496:                              ;   in Loop: Header=BB4_137 Depth=3
	v_or_b32_sdwa v0, v1, s68 dst_sel:DWORD dst_unused:UNUSED_PAD src0_sel:BYTE_3 src1_sel:DWORD
	buffer_store_dword v0, off, s[0:3], s33 offset:280 ; 4-byte Folded Spill
.LBB4_497:                              ;   in Loop: Header=BB4_137 Depth=3
	s_or_b64 exec, exec, s[26:27]
	global_load_dwordx4 v[8:11], v[44:45], off offset:1024 glc slc
	v_mov_b32_e32 v0, 0
	s_waitcnt vmcnt(0)
	v_cmp_ne_u16_sdwa s[94:95], v8, v3 src0_sel:BYTE_0 src1_sel:DWORD
	s_and_saveexec_b64 s[26:27], s[94:95]
	s_cbranch_execz .LBB4_503
; %bb.498:                              ;   in Loop: Header=BB4_137 Depth=3
	v_cmp_ne_u16_sdwa vcc, v8, s70 src0_sel:BYTE_0 src1_sel:DWORD
	v_bfrev_b32_e32 v0, 1
	s_and_saveexec_b64 s[94:95], vcc
	s_cbranch_execz .LBB4_502
; %bb.499:                              ;   in Loop: Header=BB4_137 Depth=3
	v_and_b32_e32 v1, 0x7f, v8
	v_cmp_ne_u32_e32 vcc, s68, v1
	v_mov_b32_e32 v0, 0x7f800001
	s_and_saveexec_b64 s[30:31], vcc
	s_cbranch_execz .LBB4_501
; %bb.500:                              ;   in Loop: Header=BB4_137 Depth=3
	v_and_b32_e32 v0, 7, v8
	v_ffbh_u32_e32 v0, v0
	v_min_u32_e32 v0, 32, v0
	v_lshrrev_b32_e32 v2, 3, v1
	v_cmp_gt_u32_e32 vcc, 8, v1
	v_subrev_u32_e32 v1, 28, v0
	v_sub_u32_e32 v0, 29, v0
	v_cndmask_b32_e32 v2, v2, v0, vcc
	v_cndmask_b32_e32 v0, 0, v1, vcc
	v_lshlrev_b64 v[0:1], v0, v[8:9]
	v_lshlrev_b32_e32 v1, 24, v8
	v_lshlrev_b32_e32 v0, 20, v0
	v_and_b32_e32 v0, 0x700000, v0
	v_and_b32_e32 v1, 0x80000000, v1
	v_lshl_add_u32 v2, v2, 23, v5
	v_or3_b32 v0, v1, v2, v0
.LBB4_501:                              ;   in Loop: Header=BB4_137 Depth=3
	s_or_b64 exec, exec, s[30:31]
.LBB4_502:                              ;   in Loop: Header=BB4_137 Depth=3
	s_or_b64 exec, exec, s[94:95]
.LBB4_503:                              ;   in Loop: Header=BB4_137 Depth=3
	s_or_b64 exec, exec, s[26:27]
	v_mul_f32_e32 v1, v60, v0
	v_and_b32_e32 v2, 0x7f800000, v1
	v_cmp_ne_u64_e32 vcc, s[62:63], v[2:3]
                                        ; implicit-def: $vgpr25
	s_and_saveexec_b64 s[26:27], vcc
	s_xor_b64 s[94:95], exec, s[26:27]
	s_cbranch_execz .LBB4_517
; %bb.504:                              ;   in Loop: Header=BB4_137 Depth=3
	v_and_b32_e32 v2, 0x7fffffff, v1
	v_cmp_gt_u64_e32 vcc, s[72:73], v[2:3]
	v_and_b32_sdwa v0, v1, s70 dst_sel:DWORD dst_unused:UNUSED_PAD src0_sel:BYTE_3 src1_sel:DWORD
                                        ; implicit-def: $vgpr25
	s_and_saveexec_b64 s[26:27], vcc
	s_xor_b64 s[30:31], exec, s[26:27]
	s_cbranch_execz .LBB4_514
; %bb.505:                              ;   in Loop: Header=BB4_137 Depth=3
	v_mov_b32_e32 v25, 0
	v_cmp_ne_u32_e32 vcc, 0, v1
	s_and_saveexec_b64 s[34:35], vcc
	s_cbranch_execz .LBB4_513
; %bb.506:                              ;   in Loop: Header=BB4_137 Depth=3
	v_and_b32_e32 v2, 0x7fffff, v1
	v_bfe_u32 v1, v1, 23, 8
	v_cmp_gt_u32_e64 s[26:27], s71, v1
	v_sub_u32_e32 v4, 0x79, v1
	v_cmp_eq_u32_e32 vcc, 0, v1
	v_cndmask_b32_e64 v4, 0, v4, s[26:27]
	v_mov_b32_e32 v7, 0x78
	v_or_b32_e32 v6, 0x800000, v2
	v_cndmask_b32_e32 v4, v4, v7, vcc
	v_cndmask_b32_e32 v2, v6, v2, vcc
	v_add_u32_e32 v6, 20, v4
	v_lshlrev_b64 v[6:7], v6, -1
	v_add_u32_e32 v12, 19, v4
	v_lshlrev_b64 v[12:13], v12, 1
	v_lshrrev_b64 v[46:47], v4, v[2:3]
	v_bfi_b32 v7, v7, 0, 0
	v_bfi_b32 v6, v6, 0, v2
	v_cmp_eq_u64_e64 s[26:27], v[6:7], v[12:13]
	v_mov_b32_e32 v57, v47
	v_mov_b32_e32 v56, v46
	s_and_saveexec_b64 s[36:37], s[26:27]
; %bb.507:                              ;   in Loop: Header=BB4_137 Depth=3
	v_bfe_u32 v2, v46, 20, 1
	v_add_co_u32_e64 v2, s[26:27], v46, v2
	v_add_co_u32_e64 v56, s[26:27], -1, v2
; %bb.508:                              ;   in Loop: Header=BB4_137 Depth=3
	s_or_b64 exec, exec, s[36:37]
	v_add_u32_e32 v1, 0xffffff81, v1
	v_mov_b32_e32 v2, 0xffffff82
	v_cndmask_b32_e32 v1, v1, v2, vcc
	v_lshrrev_b32_e32 v2, 23, v46
	v_add3_u32 v6, v4, v1, v2
	v_add_u32_e32 v4, 6, v6
	v_and_b32_e32 v1, 0xfffff, v56
	v_add_u32_e32 v2, v1, v46
	v_cmp_ne_u32_e32 vcc, 0, v4
                                        ; implicit-def: $vgpr46_vgpr47
                                        ; implicit-def: $vgpr1
	s_and_saveexec_b64 s[26:27], vcc
	s_xor_b64 s[26:27], exec, s[26:27]
; %bb.509:                              ;   in Loop: Header=BB4_137 Depth=3
	v_cmp_lt_u64_e32 vcc, s[74:75], v[2:3]
	v_add_u32_e32 v1, 7, v6
	v_cndmask_b32_e32 v1, v4, v1, vcc
	v_cndmask_b32_e64 v4, 0, 1, vcc
	v_lshrrev_b64 v[46:47], v4, v[2:3]
; %bb.510:                              ;   in Loop: Header=BB4_137 Depth=3
	s_andn2_saveexec_b64 s[26:27], s[26:27]
; %bb.511:                              ;   in Loop: Header=BB4_137 Depth=3
	v_mov_b32_e32 v47, v3
	v_bfe_u32 v1, v2, 23, 1
	v_mov_b32_e32 v46, v2
; %bb.512:                              ;   in Loop: Header=BB4_137 Depth=3
	s_or_b64 exec, exec, s[26:27]
	v_lshrrev_b64 v[6:7], 20, v[46:47]
	v_cmp_gt_i32_e32 vcc, 16, v1
	v_cndmask_b32_e32 v7, 0, v7, vcc
	v_cndmask_b32_e32 v6, 7, v6, vcc
	v_cmp_eq_u32_e32 vcc, 0, v1
	v_min_i32_e32 v1, 15, v1
	v_cmp_eq_u64_e64 s[26:27], 0, v[6:7]
	v_lshlrev_b32_e32 v1, 3, v1
	v_and_b32_e32 v1, 0xf8, v1
	v_and_or_b32 v1, v6, 7, v1
	s_and_b64 s[26:27], vcc, s[26:27]
	v_cndmask_b32_e64 v1, v1, 0, s[26:27]
	v_or_b32_e32 v25, v1, v0
.LBB4_513:                              ;   in Loop: Header=BB4_137 Depth=3
	s_or_b64 exec, exec, s[34:35]
                                        ; implicit-def: $vgpr0
.LBB4_514:                              ;   in Loop: Header=BB4_137 Depth=3
	s_andn2_saveexec_b64 s[26:27], s[30:31]
; %bb.515:                              ;   in Loop: Header=BB4_137 Depth=3
	v_or_b32_e32 v25, 0x7e, v0
; %bb.516:                              ;   in Loop: Header=BB4_137 Depth=3
	s_or_b64 exec, exec, s[26:27]
                                        ; implicit-def: $vgpr1
.LBB4_517:                              ;   in Loop: Header=BB4_137 Depth=3
	s_andn2_saveexec_b64 s[26:27], s[94:95]
; %bb.518:                              ;   in Loop: Header=BB4_137 Depth=3
	v_or_b32_sdwa v25, v1, s68 dst_sel:DWORD dst_unused:UNUSED_PAD src0_sel:BYTE_3 src1_sel:DWORD
; %bb.519:                              ;   in Loop: Header=BB4_137 Depth=3
	s_or_b64 exec, exec, s[26:27]
	v_lshrrev_b16_e32 v2, 8, v8
	v_cmp_ne_u16_e32 vcc, 0, v2
	v_mov_b32_e32 v0, 0
	s_and_saveexec_b64 s[26:27], vcc
	s_cbranch_execz .LBB4_525
; %bb.520:                              ;   in Loop: Header=BB4_137 Depth=3
	v_cmp_ne_u16_e32 vcc, s70, v2
	v_bfrev_b32_e32 v0, 1
	s_and_saveexec_b64 s[94:95], vcc
	s_cbranch_execz .LBB4_524
; %bb.521:                              ;   in Loop: Header=BB4_137 Depth=3
	v_and_b32_e32 v1, 0x7f, v2
	v_cmp_ne_u32_e32 vcc, s68, v1
	v_mov_b32_e32 v0, 0x7f800001
	s_and_saveexec_b64 s[30:31], vcc
	s_cbranch_execz .LBB4_523
; %bb.522:                              ;   in Loop: Header=BB4_137 Depth=3
	v_and_b32_e32 v4, 7, v2
	v_ffbh_u32_e32 v0, v4
	v_min_u32_e32 v7, 32, v0
	v_subrev_u32_e32 v0, 28, v7
	v_lshrrev_b32_e32 v6, 3, v1
	v_cmp_gt_u32_e32 vcc, 8, v1
	v_lshlrev_b64 v[0:1], v0, v[2:3]
	v_sub_u32_e32 v1, 29, v7
	v_and_b32_e32 v0, 7, v0
	v_cndmask_b32_e32 v1, v6, v1, vcc
	v_cndmask_b32_e32 v0, v4, v0, vcc
	v_lshlrev_b32_e32 v2, 16, v8
	v_lshlrev_b32_e32 v0, 20, v0
	v_and_b32_e32 v2, 0x80000000, v2
	v_lshl_add_u32 v1, v1, 23, v5
	v_or3_b32 v0, v2, v1, v0
.LBB4_523:                              ;   in Loop: Header=BB4_137 Depth=3
	s_or_b64 exec, exec, s[30:31]
.LBB4_524:                              ;   in Loop: Header=BB4_137 Depth=3
	s_or_b64 exec, exec, s[94:95]
.LBB4_525:                              ;   in Loop: Header=BB4_137 Depth=3
	s_or_b64 exec, exec, s[26:27]
	v_mul_f32_e32 v1, v60, v0
	v_and_b32_e32 v2, 0x7f800000, v1
	v_cmp_ne_u64_e32 vcc, s[62:63], v[2:3]
                                        ; implicit-def: $vgpr0
                                        ; kill: killed $vgpr0
	s_and_saveexec_b64 s[26:27], vcc
	s_xor_b64 s[94:95], exec, s[26:27]
	s_cbranch_execz .LBB4_539
; %bb.526:                              ;   in Loop: Header=BB4_137 Depth=3
	v_and_b32_e32 v2, 0x7fffffff, v1
	v_cmp_gt_u64_e32 vcc, s[72:73], v[2:3]
	v_and_b32_sdwa v0, v1, s70 dst_sel:DWORD dst_unused:UNUSED_PAD src0_sel:BYTE_3 src1_sel:DWORD
                                        ; implicit-def: $vgpr2
                                        ; kill: killed $vgpr2
	s_and_saveexec_b64 s[26:27], vcc
	s_xor_b64 s[30:31], exec, s[26:27]
	s_cbranch_execz .LBB4_536
; %bb.527:                              ;   in Loop: Header=BB4_137 Depth=3
	v_mov_b32_e32 v2, 0
	v_cmp_ne_u32_e32 vcc, 0, v1
	buffer_store_dword v2, off, s[0:3], s33 offset:284 ; 4-byte Folded Spill
	s_and_saveexec_b64 s[34:35], vcc
	s_cbranch_execz .LBB4_535
; %bb.528:                              ;   in Loop: Header=BB4_137 Depth=3
	v_and_b32_e32 v2, 0x7fffff, v1
	v_bfe_u32 v1, v1, 23, 8
	v_cmp_gt_u32_e64 s[26:27], s71, v1
	v_sub_u32_e32 v4, 0x79, v1
	v_cmp_eq_u32_e32 vcc, 0, v1
	v_cndmask_b32_e64 v4, 0, v4, s[26:27]
	v_mov_b32_e32 v7, 0x78
	v_or_b32_e32 v6, 0x800000, v2
	v_cndmask_b32_e32 v4, v4, v7, vcc
	v_cndmask_b32_e32 v2, v6, v2, vcc
	v_add_u32_e32 v6, 20, v4
	v_lshlrev_b64 v[6:7], v6, -1
	v_add_u32_e32 v12, 19, v4
	v_lshlrev_b64 v[12:13], v12, 1
	v_lshrrev_b64 v[46:47], v4, v[2:3]
	v_bfi_b32 v7, v7, 0, 0
	v_bfi_b32 v6, v6, 0, v2
	v_cmp_eq_u64_e64 s[26:27], v[6:7], v[12:13]
	v_mov_b32_e32 v57, v47
	v_mov_b32_e32 v56, v46
	s_and_saveexec_b64 s[36:37], s[26:27]
; %bb.529:                              ;   in Loop: Header=BB4_137 Depth=3
	v_bfe_u32 v2, v46, 20, 1
	v_add_co_u32_e64 v2, s[26:27], v46, v2
	v_add_co_u32_e64 v56, s[26:27], -1, v2
; %bb.530:                              ;   in Loop: Header=BB4_137 Depth=3
	s_or_b64 exec, exec, s[36:37]
	v_add_u32_e32 v1, 0xffffff81, v1
	v_mov_b32_e32 v2, 0xffffff82
	v_cndmask_b32_e32 v1, v1, v2, vcc
	v_lshrrev_b32_e32 v2, 23, v46
	v_add3_u32 v6, v4, v1, v2
	v_add_u32_e32 v4, 6, v6
	v_and_b32_e32 v1, 0xfffff, v56
	v_add_u32_e32 v2, v1, v46
	v_cmp_ne_u32_e32 vcc, 0, v4
                                        ; implicit-def: $vgpr46_vgpr47
                                        ; implicit-def: $vgpr1
	s_and_saveexec_b64 s[26:27], vcc
	s_xor_b64 s[26:27], exec, s[26:27]
; %bb.531:                              ;   in Loop: Header=BB4_137 Depth=3
	v_cmp_lt_u64_e32 vcc, s[74:75], v[2:3]
	v_add_u32_e32 v1, 7, v6
	v_cndmask_b32_e32 v1, v4, v1, vcc
	v_cndmask_b32_e64 v4, 0, 1, vcc
	v_lshrrev_b64 v[46:47], v4, v[2:3]
; %bb.532:                              ;   in Loop: Header=BB4_137 Depth=3
	s_andn2_saveexec_b64 s[26:27], s[26:27]
; %bb.533:                              ;   in Loop: Header=BB4_137 Depth=3
	v_mov_b32_e32 v47, v3
	v_bfe_u32 v1, v2, 23, 1
	v_mov_b32_e32 v46, v2
; %bb.534:                              ;   in Loop: Header=BB4_137 Depth=3
	s_or_b64 exec, exec, s[26:27]
	v_lshrrev_b64 v[6:7], 20, v[46:47]
	v_cmp_gt_i32_e32 vcc, 16, v1
	v_cndmask_b32_e32 v7, 0, v7, vcc
	v_cndmask_b32_e32 v6, 7, v6, vcc
	v_cmp_eq_u32_e32 vcc, 0, v1
	v_min_i32_e32 v1, 15, v1
	v_cmp_eq_u64_e64 s[26:27], 0, v[6:7]
	v_lshlrev_b32_e32 v1, 3, v1
	v_and_b32_e32 v1, 0xf8, v1
	v_and_or_b32 v1, v6, 7, v1
	s_and_b64 s[26:27], vcc, s[26:27]
	v_cndmask_b32_e64 v1, v1, 0, s[26:27]
	v_or_b32_e32 v0, v1, v0
	buffer_store_dword v0, off, s[0:3], s33 offset:284 ; 4-byte Folded Spill
.LBB4_535:                              ;   in Loop: Header=BB4_137 Depth=3
	s_or_b64 exec, exec, s[34:35]
                                        ; implicit-def: $vgpr0
.LBB4_536:                              ;   in Loop: Header=BB4_137 Depth=3
	s_andn2_saveexec_b64 s[26:27], s[30:31]
	s_cbranch_execz .LBB4_538
; %bb.537:                              ;   in Loop: Header=BB4_137 Depth=3
	v_or_b32_e32 v0, 0x7e, v0
	buffer_store_dword v0, off, s[0:3], s33 offset:284 ; 4-byte Folded Spill
.LBB4_538:                              ;   in Loop: Header=BB4_137 Depth=3
	s_or_b64 exec, exec, s[26:27]
                                        ; implicit-def: $vgpr1
.LBB4_539:                              ;   in Loop: Header=BB4_137 Depth=3
	s_andn2_saveexec_b64 s[26:27], s[94:95]
	s_cbranch_execz .LBB4_541
; %bb.540:                              ;   in Loop: Header=BB4_137 Depth=3
	v_or_b32_sdwa v0, v1, s68 dst_sel:DWORD dst_unused:UNUSED_PAD src0_sel:BYTE_3 src1_sel:DWORD
	buffer_store_dword v0, off, s[0:3], s33 offset:284 ; 4-byte Folded Spill
.LBB4_541:                              ;   in Loop: Header=BB4_137 Depth=3
	s_or_b64 exec, exec, s[26:27]
	v_lshrrev_b32_e32 v2, 16, v8
	v_cmp_ne_u16_sdwa s[94:95], v2, v3 src0_sel:BYTE_0 src1_sel:DWORD
	v_mov_b32_e32 v0, 0
	s_and_saveexec_b64 s[26:27], s[94:95]
	s_cbranch_execz .LBB4_547
; %bb.542:                              ;   in Loop: Header=BB4_137 Depth=3
	v_cmp_ne_u16_sdwa vcc, v2, s70 src0_sel:BYTE_0 src1_sel:DWORD
	v_bfrev_b32_e32 v0, 1
	s_and_saveexec_b64 s[94:95], vcc
	s_cbranch_execz .LBB4_546
; %bb.543:                              ;   in Loop: Header=BB4_137 Depth=3
	v_bfe_u32 v1, v8, 16, 7
	v_cmp_ne_u32_e32 vcc, s68, v1
	v_mov_b32_e32 v0, 0x7f800001
	s_and_saveexec_b64 s[30:31], vcc
	s_cbranch_execz .LBB4_545
; %bb.544:                              ;   in Loop: Header=BB4_137 Depth=3
	v_and_b32_e32 v4, 7, v2
	v_ffbh_u32_e32 v0, v4
	v_min_u32_e32 v7, 32, v0
	v_subrev_u32_e32 v0, 28, v7
	v_lshrrev_b32_e32 v6, 3, v1
	v_cmp_gt_u32_e32 vcc, 8, v1
	v_lshlrev_b64 v[0:1], v0, v[2:3]
	v_sub_u32_e32 v1, 29, v7
	v_and_b32_e32 v0, 7, v0
	v_cndmask_b32_e32 v1, v6, v1, vcc
	v_cndmask_b32_e32 v0, v4, v0, vcc
	v_lshlrev_b32_e32 v2, 24, v2
	v_lshlrev_b32_e32 v0, 20, v0
	v_and_b32_e32 v2, 0x80000000, v2
	v_lshl_add_u32 v1, v1, 23, v5
	v_or3_b32 v0, v2, v1, v0
.LBB4_545:                              ;   in Loop: Header=BB4_137 Depth=3
	s_or_b64 exec, exec, s[30:31]
.LBB4_546:                              ;   in Loop: Header=BB4_137 Depth=3
	s_or_b64 exec, exec, s[94:95]
.LBB4_547:                              ;   in Loop: Header=BB4_137 Depth=3
	s_or_b64 exec, exec, s[26:27]
	v_mul_f32_e32 v1, v60, v0
	v_and_b32_e32 v2, 0x7f800000, v1
	v_cmp_ne_u64_e32 vcc, s[62:63], v[2:3]
                                        ; implicit-def: $vgpr0
                                        ; kill: killed $vgpr0
	s_and_saveexec_b64 s[26:27], vcc
	s_xor_b64 s[94:95], exec, s[26:27]
	s_cbranch_execz .LBB4_561
; %bb.548:                              ;   in Loop: Header=BB4_137 Depth=3
	v_and_b32_e32 v2, 0x7fffffff, v1
	v_cmp_gt_u64_e32 vcc, s[72:73], v[2:3]
	v_and_b32_sdwa v0, v1, s70 dst_sel:DWORD dst_unused:UNUSED_PAD src0_sel:BYTE_3 src1_sel:DWORD
                                        ; implicit-def: $vgpr2
                                        ; kill: killed $vgpr2
	s_and_saveexec_b64 s[26:27], vcc
	s_xor_b64 s[30:31], exec, s[26:27]
	s_cbranch_execz .LBB4_558
; %bb.549:                              ;   in Loop: Header=BB4_137 Depth=3
	v_mov_b32_e32 v2, 0
	v_cmp_ne_u32_e32 vcc, 0, v1
	buffer_store_dword v2, off, s[0:3], s33 offset:288 ; 4-byte Folded Spill
	s_and_saveexec_b64 s[34:35], vcc
	s_cbranch_execz .LBB4_557
; %bb.550:                              ;   in Loop: Header=BB4_137 Depth=3
	v_and_b32_e32 v2, 0x7fffff, v1
	v_bfe_u32 v1, v1, 23, 8
	v_cmp_gt_u32_e64 s[26:27], s71, v1
	v_sub_u32_e32 v4, 0x79, v1
	v_cmp_eq_u32_e32 vcc, 0, v1
	v_cndmask_b32_e64 v4, 0, v4, s[26:27]
	v_mov_b32_e32 v7, 0x78
	v_or_b32_e32 v6, 0x800000, v2
	v_cndmask_b32_e32 v4, v4, v7, vcc
	v_cndmask_b32_e32 v2, v6, v2, vcc
	v_add_u32_e32 v6, 20, v4
	v_lshlrev_b64 v[6:7], v6, -1
	v_add_u32_e32 v12, 19, v4
	v_lshlrev_b64 v[12:13], v12, 1
	v_lshrrev_b64 v[46:47], v4, v[2:3]
	v_bfi_b32 v7, v7, 0, 0
	v_bfi_b32 v6, v6, 0, v2
	v_cmp_eq_u64_e64 s[26:27], v[6:7], v[12:13]
	v_mov_b32_e32 v57, v47
	v_mov_b32_e32 v56, v46
	s_and_saveexec_b64 s[36:37], s[26:27]
; %bb.551:                              ;   in Loop: Header=BB4_137 Depth=3
	v_bfe_u32 v2, v46, 20, 1
	v_add_co_u32_e64 v2, s[26:27], v46, v2
	v_add_co_u32_e64 v56, s[26:27], -1, v2
; %bb.552:                              ;   in Loop: Header=BB4_137 Depth=3
	s_or_b64 exec, exec, s[36:37]
	v_add_u32_e32 v1, 0xffffff81, v1
	v_mov_b32_e32 v2, 0xffffff82
	v_cndmask_b32_e32 v1, v1, v2, vcc
	v_lshrrev_b32_e32 v2, 23, v46
	v_add3_u32 v6, v4, v1, v2
	v_add_u32_e32 v4, 6, v6
	v_and_b32_e32 v1, 0xfffff, v56
	v_add_u32_e32 v2, v1, v46
	v_cmp_ne_u32_e32 vcc, 0, v4
                                        ; implicit-def: $vgpr46_vgpr47
                                        ; implicit-def: $vgpr1
	s_and_saveexec_b64 s[26:27], vcc
	s_xor_b64 s[26:27], exec, s[26:27]
; %bb.553:                              ;   in Loop: Header=BB4_137 Depth=3
	v_cmp_lt_u64_e32 vcc, s[74:75], v[2:3]
	v_add_u32_e32 v1, 7, v6
	v_cndmask_b32_e32 v1, v4, v1, vcc
	v_cndmask_b32_e64 v4, 0, 1, vcc
	v_lshrrev_b64 v[46:47], v4, v[2:3]
; %bb.554:                              ;   in Loop: Header=BB4_137 Depth=3
	s_andn2_saveexec_b64 s[26:27], s[26:27]
; %bb.555:                              ;   in Loop: Header=BB4_137 Depth=3
	v_mov_b32_e32 v47, v3
	v_bfe_u32 v1, v2, 23, 1
	v_mov_b32_e32 v46, v2
; %bb.556:                              ;   in Loop: Header=BB4_137 Depth=3
	s_or_b64 exec, exec, s[26:27]
	v_lshrrev_b64 v[6:7], 20, v[46:47]
	v_cmp_gt_i32_e32 vcc, 16, v1
	v_cndmask_b32_e32 v7, 0, v7, vcc
	v_cndmask_b32_e32 v6, 7, v6, vcc
	v_cmp_eq_u32_e32 vcc, 0, v1
	v_min_i32_e32 v1, 15, v1
	v_cmp_eq_u64_e64 s[26:27], 0, v[6:7]
	v_lshlrev_b32_e32 v1, 3, v1
	v_and_b32_e32 v1, 0xf8, v1
	v_and_or_b32 v1, v6, 7, v1
	s_and_b64 s[26:27], vcc, s[26:27]
	v_cndmask_b32_e64 v1, v1, 0, s[26:27]
	v_or_b32_e32 v0, v1, v0
	buffer_store_dword v0, off, s[0:3], s33 offset:288 ; 4-byte Folded Spill
.LBB4_557:                              ;   in Loop: Header=BB4_137 Depth=3
	s_or_b64 exec, exec, s[34:35]
                                        ; implicit-def: $vgpr0
.LBB4_558:                              ;   in Loop: Header=BB4_137 Depth=3
	s_andn2_saveexec_b64 s[26:27], s[30:31]
	s_cbranch_execz .LBB4_560
; %bb.559:                              ;   in Loop: Header=BB4_137 Depth=3
	v_or_b32_e32 v0, 0x7e, v0
	buffer_store_dword v0, off, s[0:3], s33 offset:288 ; 4-byte Folded Spill
.LBB4_560:                              ;   in Loop: Header=BB4_137 Depth=3
	s_or_b64 exec, exec, s[26:27]
                                        ; implicit-def: $vgpr1
.LBB4_561:                              ;   in Loop: Header=BB4_137 Depth=3
	s_andn2_saveexec_b64 s[26:27], s[94:95]
	s_cbranch_execz .LBB4_563
; %bb.562:                              ;   in Loop: Header=BB4_137 Depth=3
	v_or_b32_sdwa v0, v1, s68 dst_sel:DWORD dst_unused:UNUSED_PAD src0_sel:BYTE_3 src1_sel:DWORD
	buffer_store_dword v0, off, s[0:3], s33 offset:288 ; 4-byte Folded Spill
.LBB4_563:                              ;   in Loop: Header=BB4_137 Depth=3
	s_or_b64 exec, exec, s[26:27]
	v_cmp_lt_u32_e32 vcc, s57, v8
	v_mov_b32_e32 v0, 0
	s_and_saveexec_b64 s[26:27], vcc
	s_cbranch_execz .LBB4_569
; %bb.564:                              ;   in Loop: Header=BB4_137 Depth=3
	v_lshrrev_b32_e32 v2, 24, v8
	v_cmp_ne_u32_e32 vcc, s70, v2
	v_bfrev_b32_e32 v0, 1
	s_and_saveexec_b64 s[94:95], vcc
	s_cbranch_execz .LBB4_568
; %bb.565:                              ;   in Loop: Header=BB4_137 Depth=3
	v_bfe_u32 v1, v8, 24, 7
	v_cmp_ne_u32_e32 vcc, s68, v1
	v_mov_b32_e32 v0, 0x7f800001
	s_and_saveexec_b64 s[30:31], vcc
	s_cbranch_execz .LBB4_567
; %bb.566:                              ;   in Loop: Header=BB4_137 Depth=3
	v_and_b32_e32 v4, 7, v2
	v_ffbh_u32_e32 v0, v4
	v_min_u32_e32 v7, 32, v0
	v_subrev_u32_e32 v0, 28, v7
	v_lshrrev_b32_e32 v6, 3, v1
	v_cmp_gt_u32_e32 vcc, 8, v1
	v_lshlrev_b64 v[0:1], v0, v[2:3]
	v_sub_u32_e32 v1, 29, v7
	v_and_b32_e32 v0, 7, v0
	v_cndmask_b32_e32 v1, v6, v1, vcc
	v_cndmask_b32_e32 v0, v4, v0, vcc
	v_lshlrev_b32_e32 v2, 24, v2
	v_lshlrev_b32_e32 v0, 20, v0
	v_and_b32_e32 v2, 0x80000000, v2
	v_lshl_add_u32 v1, v1, 23, v5
	v_or3_b32 v0, v2, v1, v0
.LBB4_567:                              ;   in Loop: Header=BB4_137 Depth=3
	s_or_b64 exec, exec, s[30:31]
.LBB4_568:                              ;   in Loop: Header=BB4_137 Depth=3
	s_or_b64 exec, exec, s[94:95]
.LBB4_569:                              ;   in Loop: Header=BB4_137 Depth=3
	s_or_b64 exec, exec, s[26:27]
	v_mul_f32_e32 v1, v60, v0
	v_and_b32_e32 v2, 0x7f800000, v1
	v_cmp_ne_u64_e32 vcc, s[62:63], v[2:3]
                                        ; implicit-def: $vgpr0
                                        ; kill: killed $vgpr0
	s_and_saveexec_b64 s[26:27], vcc
	s_xor_b64 s[94:95], exec, s[26:27]
	s_cbranch_execz .LBB4_583
; %bb.570:                              ;   in Loop: Header=BB4_137 Depth=3
	v_and_b32_e32 v2, 0x7fffffff, v1
	v_cmp_gt_u64_e32 vcc, s[72:73], v[2:3]
	v_and_b32_sdwa v0, v1, s70 dst_sel:DWORD dst_unused:UNUSED_PAD src0_sel:BYTE_3 src1_sel:DWORD
                                        ; implicit-def: $vgpr2
                                        ; kill: killed $vgpr2
	s_and_saveexec_b64 s[26:27], vcc
	s_xor_b64 s[30:31], exec, s[26:27]
	s_cbranch_execz .LBB4_580
; %bb.571:                              ;   in Loop: Header=BB4_137 Depth=3
	v_mov_b32_e32 v2, 0
	v_cmp_ne_u32_e32 vcc, 0, v1
	buffer_store_dword v2, off, s[0:3], s33 offset:292 ; 4-byte Folded Spill
	s_and_saveexec_b64 s[34:35], vcc
	s_cbranch_execz .LBB4_579
; %bb.572:                              ;   in Loop: Header=BB4_137 Depth=3
	v_and_b32_e32 v2, 0x7fffff, v1
	v_bfe_u32 v1, v1, 23, 8
	v_cmp_gt_u32_e64 s[26:27], s71, v1
	v_sub_u32_e32 v4, 0x79, v1
	v_cmp_eq_u32_e32 vcc, 0, v1
	v_cndmask_b32_e64 v4, 0, v4, s[26:27]
	v_mov_b32_e32 v7, 0x78
	v_or_b32_e32 v6, 0x800000, v2
	v_cndmask_b32_e32 v4, v4, v7, vcc
	v_cndmask_b32_e32 v2, v6, v2, vcc
	v_add_u32_e32 v6, 20, v4
	v_lshlrev_b64 v[6:7], v6, -1
	v_add_u32_e32 v12, 19, v4
	v_lshlrev_b64 v[12:13], v12, 1
	v_lshrrev_b64 v[46:47], v4, v[2:3]
	v_bfi_b32 v7, v7, 0, 0
	v_bfi_b32 v6, v6, 0, v2
	v_cmp_eq_u64_e64 s[26:27], v[6:7], v[12:13]
	v_mov_b32_e32 v57, v47
	v_mov_b32_e32 v56, v46
	s_and_saveexec_b64 s[36:37], s[26:27]
; %bb.573:                              ;   in Loop: Header=BB4_137 Depth=3
	v_bfe_u32 v2, v46, 20, 1
	v_add_co_u32_e64 v2, s[26:27], v46, v2
	v_add_co_u32_e64 v56, s[26:27], -1, v2
; %bb.574:                              ;   in Loop: Header=BB4_137 Depth=3
	s_or_b64 exec, exec, s[36:37]
	v_add_u32_e32 v1, 0xffffff81, v1
	v_mov_b32_e32 v2, 0xffffff82
	v_cndmask_b32_e32 v1, v1, v2, vcc
	v_lshrrev_b32_e32 v2, 23, v46
	v_add3_u32 v6, v4, v1, v2
	v_add_u32_e32 v4, 6, v6
	v_and_b32_e32 v1, 0xfffff, v56
	v_add_u32_e32 v2, v1, v46
	v_cmp_ne_u32_e32 vcc, 0, v4
                                        ; implicit-def: $vgpr46_vgpr47
                                        ; implicit-def: $vgpr1
	s_and_saveexec_b64 s[26:27], vcc
	s_xor_b64 s[26:27], exec, s[26:27]
; %bb.575:                              ;   in Loop: Header=BB4_137 Depth=3
	v_cmp_lt_u64_e32 vcc, s[74:75], v[2:3]
	v_add_u32_e32 v1, 7, v6
	v_cndmask_b32_e32 v1, v4, v1, vcc
	v_cndmask_b32_e64 v4, 0, 1, vcc
	v_lshrrev_b64 v[46:47], v4, v[2:3]
; %bb.576:                              ;   in Loop: Header=BB4_137 Depth=3
	s_andn2_saveexec_b64 s[26:27], s[26:27]
; %bb.577:                              ;   in Loop: Header=BB4_137 Depth=3
	v_mov_b32_e32 v47, v3
	v_bfe_u32 v1, v2, 23, 1
	v_mov_b32_e32 v46, v2
; %bb.578:                              ;   in Loop: Header=BB4_137 Depth=3
	s_or_b64 exec, exec, s[26:27]
	v_lshrrev_b64 v[6:7], 20, v[46:47]
	v_cmp_gt_i32_e32 vcc, 16, v1
	v_cndmask_b32_e32 v7, 0, v7, vcc
	v_cndmask_b32_e32 v6, 7, v6, vcc
	v_cmp_eq_u32_e32 vcc, 0, v1
	v_min_i32_e32 v1, 15, v1
	v_cmp_eq_u64_e64 s[26:27], 0, v[6:7]
	v_lshlrev_b32_e32 v1, 3, v1
	v_and_b32_e32 v1, 0xf8, v1
	v_and_or_b32 v1, v6, 7, v1
	s_and_b64 s[26:27], vcc, s[26:27]
	v_cndmask_b32_e64 v1, v1, 0, s[26:27]
	v_or_b32_e32 v0, v1, v0
	buffer_store_dword v0, off, s[0:3], s33 offset:292 ; 4-byte Folded Spill
.LBB4_579:                              ;   in Loop: Header=BB4_137 Depth=3
	s_or_b64 exec, exec, s[34:35]
                                        ; implicit-def: $vgpr0
.LBB4_580:                              ;   in Loop: Header=BB4_137 Depth=3
	s_andn2_saveexec_b64 s[26:27], s[30:31]
	s_cbranch_execz .LBB4_582
; %bb.581:                              ;   in Loop: Header=BB4_137 Depth=3
	v_or_b32_e32 v0, 0x7e, v0
	buffer_store_dword v0, off, s[0:3], s33 offset:292 ; 4-byte Folded Spill
.LBB4_582:                              ;   in Loop: Header=BB4_137 Depth=3
	s_or_b64 exec, exec, s[26:27]
                                        ; implicit-def: $vgpr1
.LBB4_583:                              ;   in Loop: Header=BB4_137 Depth=3
	s_andn2_saveexec_b64 s[26:27], s[94:95]
	s_cbranch_execz .LBB4_585
; %bb.584:                              ;   in Loop: Header=BB4_137 Depth=3
	v_or_b32_sdwa v0, v1, s68 dst_sel:DWORD dst_unused:UNUSED_PAD src0_sel:BYTE_3 src1_sel:DWORD
	buffer_store_dword v0, off, s[0:3], s33 offset:292 ; 4-byte Folded Spill
.LBB4_585:                              ;   in Loop: Header=BB4_137 Depth=3
	s_or_b64 exec, exec, s[26:27]
	v_mov_b32_e32 v2, v9
	v_cmp_ne_u16_sdwa s[94:95], v9, v3 src0_sel:BYTE_0 src1_sel:DWORD
	v_mov_b32_e32 v0, 0
	s_and_saveexec_b64 s[26:27], s[94:95]
	s_cbranch_execz .LBB4_591
; %bb.586:                              ;   in Loop: Header=BB4_137 Depth=3
	v_cmp_ne_u16_sdwa vcc, v9, s70 src0_sel:BYTE_0 src1_sel:DWORD
	v_bfrev_b32_e32 v0, 1
	s_and_saveexec_b64 s[94:95], vcc
	s_cbranch_execz .LBB4_590
; %bb.587:                              ;   in Loop: Header=BB4_137 Depth=3
	v_and_b32_e32 v1, 0x7f, v9
	v_cmp_ne_u32_e32 vcc, s68, v1
	v_mov_b32_e32 v0, 0x7f800001
	s_and_saveexec_b64 s[30:31], vcc
	s_cbranch_execz .LBB4_589
; %bb.588:                              ;   in Loop: Header=BB4_137 Depth=3
	v_and_b32_e32 v0, 7, v9
	v_ffbh_u32_e32 v0, v0
	v_min_u32_e32 v0, 32, v0
	v_lshrrev_b32_e32 v4, 3, v1
	v_cmp_gt_u32_e32 vcc, 8, v1
	v_subrev_u32_e32 v1, 28, v0
	v_sub_u32_e32 v0, 29, v0
	v_cndmask_b32_e32 v4, v4, v0, vcc
	v_cndmask_b32_e32 v0, 0, v1, vcc
	v_lshlrev_b64 v[0:1], v0, v[2:3]
	v_lshlrev_b32_e32 v1, 24, v2
	v_lshlrev_b32_e32 v0, 20, v0
	v_and_b32_e32 v0, 0x700000, v0
	v_and_b32_e32 v1, 0x80000000, v1
	v_lshl_add_u32 v4, v4, 23, v5
	v_or3_b32 v0, v1, v4, v0
.LBB4_589:                              ;   in Loop: Header=BB4_137 Depth=3
	s_or_b64 exec, exec, s[30:31]
.LBB4_590:                              ;   in Loop: Header=BB4_137 Depth=3
	s_or_b64 exec, exec, s[94:95]
.LBB4_591:                              ;   in Loop: Header=BB4_137 Depth=3
	s_or_b64 exec, exec, s[26:27]
	v_mul_f32_e32 v1, v60, v0
	v_and_b32_e32 v6, 0x7f800000, v1
	v_mov_b32_e32 v7, v3
	v_cmp_ne_u64_e32 vcc, s[62:63], v[6:7]
                                        ; implicit-def: $vgpr0
                                        ; kill: killed $vgpr0
	s_and_saveexec_b64 s[26:27], vcc
	s_xor_b64 s[94:95], exec, s[26:27]
	s_cbranch_execz .LBB4_605
; %bb.592:                              ;   in Loop: Header=BB4_137 Depth=3
	v_and_b32_e32 v6, 0x7fffffff, v1
	v_mov_b32_e32 v7, v3
	v_cmp_gt_u64_e32 vcc, s[72:73], v[6:7]
	v_and_b32_sdwa v0, v1, s70 dst_sel:DWORD dst_unused:UNUSED_PAD src0_sel:BYTE_3 src1_sel:DWORD
                                        ; implicit-def: $vgpr4
                                        ; kill: killed $vgpr4
	s_and_saveexec_b64 s[26:27], vcc
	s_xor_b64 s[30:31], exec, s[26:27]
	s_cbranch_execz .LBB4_602
; %bb.593:                              ;   in Loop: Header=BB4_137 Depth=3
	v_mov_b32_e32 v4, 0
	v_cmp_ne_u32_e32 vcc, 0, v1
	buffer_store_dword v4, off, s[0:3], s33 offset:296 ; 4-byte Folded Spill
	s_and_saveexec_b64 s[34:35], vcc
	s_cbranch_execz .LBB4_601
; %bb.594:                              ;   in Loop: Header=BB4_137 Depth=3
	v_and_b32_e32 v6, 0x7fffff, v1
	v_bfe_u32 v1, v1, 23, 8
	v_cmp_gt_u32_e64 s[26:27], s71, v1
	v_sub_u32_e32 v4, 0x79, v1
	v_cmp_eq_u32_e32 vcc, 0, v1
	v_cndmask_b32_e64 v4, 0, v4, s[26:27]
	v_mov_b32_e32 v12, 0x78
	v_cndmask_b32_e32 v4, v4, v12, vcc
	v_or_b32_e32 v7, 0x800000, v6
	v_add_u32_e32 v12, 20, v4
	v_cndmask_b32_e32 v6, v7, v6, vcc
	v_mov_b32_e32 v7, v3
	v_lshlrev_b64 v[12:13], v12, -1
	v_add_u32_e32 v14, 19, v4
	v_lshlrev_b64 v[14:15], v14, 1
	v_lshrrev_b64 v[46:47], v4, v[6:7]
	v_bfi_b32 v13, v13, 0, 0
	v_bfi_b32 v12, v12, 0, v6
	v_cmp_eq_u64_e64 s[26:27], v[12:13], v[14:15]
	v_mov_b32_e32 v57, v47
	v_mov_b32_e32 v56, v46
	s_and_saveexec_b64 s[36:37], s[26:27]
; %bb.595:                              ;   in Loop: Header=BB4_137 Depth=3
	v_bfe_u32 v6, v46, 20, 1
	v_add_co_u32_e64 v6, s[26:27], v46, v6
	v_add_co_u32_e64 v56, s[26:27], -1, v6
; %bb.596:                              ;   in Loop: Header=BB4_137 Depth=3
	s_or_b64 exec, exec, s[36:37]
	v_add_u32_e32 v1, 0xffffff81, v1
	v_mov_b32_e32 v6, 0xffffff82
	v_cndmask_b32_e32 v1, v1, v6, vcc
	v_lshrrev_b32_e32 v6, 23, v46
	v_add3_u32 v6, v4, v1, v6
	v_add_u32_e32 v4, 6, v6
	v_and_b32_e32 v1, 0xfffff, v56
	v_add_u32_e32 v46, v1, v46
	v_mov_b32_e32 v47, v3
	v_cmp_ne_u32_e32 vcc, 0, v4
                                        ; implicit-def: $vgpr1
	s_and_saveexec_b64 s[26:27], vcc
	s_xor_b64 s[26:27], exec, s[26:27]
; %bb.597:                              ;   in Loop: Header=BB4_137 Depth=3
	v_cmp_lt_u64_e32 vcc, s[74:75], v[46:47]
	v_add_u32_e32 v1, 7, v6
	v_cndmask_b32_e32 v1, v4, v1, vcc
	v_cndmask_b32_e64 v4, 0, 1, vcc
	v_lshrrev_b64 v[46:47], v4, v[46:47]
; %bb.598:                              ;   in Loop: Header=BB4_137 Depth=3
	s_andn2_saveexec_b64 s[26:27], s[26:27]
; %bb.599:                              ;   in Loop: Header=BB4_137 Depth=3
	v_bfe_u32 v1, v46, 23, 1
; %bb.600:                              ;   in Loop: Header=BB4_137 Depth=3
	s_or_b64 exec, exec, s[26:27]
	v_lshrrev_b64 v[6:7], 20, v[46:47]
	v_cmp_gt_i32_e32 vcc, 16, v1
	v_cndmask_b32_e32 v7, 0, v7, vcc
	v_cndmask_b32_e32 v6, 7, v6, vcc
	v_cmp_eq_u32_e32 vcc, 0, v1
	v_min_i32_e32 v1, 15, v1
	v_cmp_eq_u64_e64 s[26:27], 0, v[6:7]
	v_lshlrev_b32_e32 v1, 3, v1
	v_and_b32_e32 v1, 0xf8, v1
	v_and_or_b32 v1, v6, 7, v1
	s_and_b64 s[26:27], vcc, s[26:27]
	v_cndmask_b32_e64 v1, v1, 0, s[26:27]
	v_or_b32_e32 v0, v1, v0
	buffer_store_dword v0, off, s[0:3], s33 offset:296 ; 4-byte Folded Spill
.LBB4_601:                              ;   in Loop: Header=BB4_137 Depth=3
	s_or_b64 exec, exec, s[34:35]
                                        ; implicit-def: $vgpr0
.LBB4_602:                              ;   in Loop: Header=BB4_137 Depth=3
	s_andn2_saveexec_b64 s[26:27], s[30:31]
	s_cbranch_execz .LBB4_604
; %bb.603:                              ;   in Loop: Header=BB4_137 Depth=3
	v_or_b32_e32 v0, 0x7e, v0
	buffer_store_dword v0, off, s[0:3], s33 offset:296 ; 4-byte Folded Spill
.LBB4_604:                              ;   in Loop: Header=BB4_137 Depth=3
	s_or_b64 exec, exec, s[26:27]
                                        ; implicit-def: $vgpr1
.LBB4_605:                              ;   in Loop: Header=BB4_137 Depth=3
	s_andn2_saveexec_b64 s[26:27], s[94:95]
	s_cbranch_execz .LBB4_607
; %bb.606:                              ;   in Loop: Header=BB4_137 Depth=3
	v_or_b32_sdwa v0, v1, s68 dst_sel:DWORD dst_unused:UNUSED_PAD src0_sel:BYTE_3 src1_sel:DWORD
	buffer_store_dword v0, off, s[0:3], s33 offset:296 ; 4-byte Folded Spill
.LBB4_607:                              ;   in Loop: Header=BB4_137 Depth=3
	s_or_b64 exec, exec, s[26:27]
	v_lshrrev_b16_e32 v13, 8, v2
	v_cmp_ne_u16_e32 vcc, 0, v13
	v_mov_b32_e32 v0, 0
	s_and_saveexec_b64 s[26:27], vcc
	s_cbranch_execz .LBB4_613
; %bb.608:                              ;   in Loop: Header=BB4_137 Depth=3
	v_cmp_ne_u16_e32 vcc, s70, v13
	v_bfrev_b32_e32 v0, 1
	s_and_saveexec_b64 s[94:95], vcc
	s_cbranch_execz .LBB4_612
; %bb.609:                              ;   in Loop: Header=BB4_137 Depth=3
	v_and_b32_e32 v1, 0x7f, v13
	v_cmp_ne_u32_e32 vcc, s68, v1
	v_mov_b32_e32 v0, 0x7f800001
	s_and_saveexec_b64 s[30:31], vcc
	s_cbranch_execz .LBB4_611
; %bb.610:                              ;   in Loop: Header=BB4_137 Depth=3
	v_and_b32_e32 v4, 7, v13
	v_ffbh_u32_e32 v0, v4
	v_min_u32_e32 v7, 32, v0
	v_subrev_u32_e32 v0, 28, v7
	v_lshrrev_b32_e32 v6, 3, v1
	v_cmp_gt_u32_e32 vcc, 8, v1
	v_lshlrev_b64 v[0:1], v0, v[13:14]
	v_sub_u32_e32 v1, 29, v7
	v_and_b32_e32 v0, 7, v0
	v_cndmask_b32_e32 v1, v6, v1, vcc
	v_cndmask_b32_e32 v0, v4, v0, vcc
	v_lshlrev_b32_e32 v2, 16, v2
	v_lshlrev_b32_e32 v0, 20, v0
	v_and_b32_e32 v2, 0x80000000, v2
	v_lshl_add_u32 v1, v1, 23, v5
	v_or3_b32 v0, v2, v1, v0
.LBB4_611:                              ;   in Loop: Header=BB4_137 Depth=3
	s_or_b64 exec, exec, s[30:31]
.LBB4_612:                              ;   in Loop: Header=BB4_137 Depth=3
	s_or_b64 exec, exec, s[94:95]
.LBB4_613:                              ;   in Loop: Header=BB4_137 Depth=3
	s_or_b64 exec, exec, s[26:27]
	v_mul_f32_e32 v1, v60, v0
	v_and_b32_e32 v2, 0x7f800000, v1
	v_cmp_ne_u64_e32 vcc, s[62:63], v[2:3]
                                        ; implicit-def: $vgpr0
                                        ; kill: killed $vgpr0
	s_and_saveexec_b64 s[26:27], vcc
	s_xor_b64 s[94:95], exec, s[26:27]
	s_cbranch_execz .LBB4_627
; %bb.614:                              ;   in Loop: Header=BB4_137 Depth=3
	v_and_b32_e32 v2, 0x7fffffff, v1
	v_cmp_gt_u64_e32 vcc, s[72:73], v[2:3]
	v_and_b32_sdwa v0, v1, s70 dst_sel:DWORD dst_unused:UNUSED_PAD src0_sel:BYTE_3 src1_sel:DWORD
                                        ; implicit-def: $vgpr2
                                        ; kill: killed $vgpr2
	s_and_saveexec_b64 s[26:27], vcc
	s_xor_b64 s[30:31], exec, s[26:27]
	s_cbranch_execz .LBB4_624
; %bb.615:                              ;   in Loop: Header=BB4_137 Depth=3
	v_mov_b32_e32 v2, 0
	v_cmp_ne_u32_e32 vcc, 0, v1
	buffer_store_dword v2, off, s[0:3], s33 offset:300 ; 4-byte Folded Spill
	s_and_saveexec_b64 s[34:35], vcc
	s_cbranch_execz .LBB4_623
; %bb.616:                              ;   in Loop: Header=BB4_137 Depth=3
	v_and_b32_e32 v2, 0x7fffff, v1
	v_bfe_u32 v1, v1, 23, 8
	v_cmp_gt_u32_e64 s[26:27], s71, v1
	v_sub_u32_e32 v4, 0x79, v1
	v_cmp_eq_u32_e32 vcc, 0, v1
	v_cndmask_b32_e64 v4, 0, v4, s[26:27]
	v_mov_b32_e32 v7, 0x78
	v_or_b32_e32 v6, 0x800000, v2
	v_cndmask_b32_e32 v4, v4, v7, vcc
	v_cndmask_b32_e32 v2, v6, v2, vcc
	v_add_u32_e32 v6, 20, v4
	v_lshlrev_b64 v[6:7], v6, -1
	v_add_u32_e32 v12, 19, v4
	v_lshlrev_b64 v[12:13], v12, 1
	v_lshrrev_b64 v[46:47], v4, v[2:3]
	v_bfi_b32 v7, v7, 0, 0
	v_bfi_b32 v6, v6, 0, v2
	v_cmp_eq_u64_e64 s[26:27], v[6:7], v[12:13]
	v_mov_b32_e32 v57, v47
	v_mov_b32_e32 v56, v46
	s_and_saveexec_b64 s[36:37], s[26:27]
; %bb.617:                              ;   in Loop: Header=BB4_137 Depth=3
	v_bfe_u32 v2, v46, 20, 1
	v_add_co_u32_e64 v2, s[26:27], v46, v2
	v_add_co_u32_e64 v56, s[26:27], -1, v2
; %bb.618:                              ;   in Loop: Header=BB4_137 Depth=3
	s_or_b64 exec, exec, s[36:37]
	v_add_u32_e32 v1, 0xffffff81, v1
	v_mov_b32_e32 v2, 0xffffff82
	v_cndmask_b32_e32 v1, v1, v2, vcc
	v_lshrrev_b32_e32 v2, 23, v46
	v_add3_u32 v6, v4, v1, v2
	v_add_u32_e32 v4, 6, v6
	v_and_b32_e32 v1, 0xfffff, v56
	v_add_u32_e32 v2, v1, v46
	v_cmp_ne_u32_e32 vcc, 0, v4
                                        ; implicit-def: $vgpr46_vgpr47
                                        ; implicit-def: $vgpr1
	s_and_saveexec_b64 s[26:27], vcc
	s_xor_b64 s[26:27], exec, s[26:27]
; %bb.619:                              ;   in Loop: Header=BB4_137 Depth=3
	v_cmp_lt_u64_e32 vcc, s[74:75], v[2:3]
	v_add_u32_e32 v1, 7, v6
	v_cndmask_b32_e32 v1, v4, v1, vcc
	v_cndmask_b32_e64 v4, 0, 1, vcc
	v_lshrrev_b64 v[46:47], v4, v[2:3]
; %bb.620:                              ;   in Loop: Header=BB4_137 Depth=3
	s_andn2_saveexec_b64 s[26:27], s[26:27]
; %bb.621:                              ;   in Loop: Header=BB4_137 Depth=3
	v_mov_b32_e32 v47, v3
	v_bfe_u32 v1, v2, 23, 1
	v_mov_b32_e32 v46, v2
; %bb.622:                              ;   in Loop: Header=BB4_137 Depth=3
	s_or_b64 exec, exec, s[26:27]
	v_lshrrev_b64 v[6:7], 20, v[46:47]
	v_cmp_gt_i32_e32 vcc, 16, v1
	v_cndmask_b32_e32 v7, 0, v7, vcc
	v_cndmask_b32_e32 v6, 7, v6, vcc
	v_cmp_eq_u32_e32 vcc, 0, v1
	v_min_i32_e32 v1, 15, v1
	v_cmp_eq_u64_e64 s[26:27], 0, v[6:7]
	v_lshlrev_b32_e32 v1, 3, v1
	v_and_b32_e32 v1, 0xf8, v1
	v_and_or_b32 v1, v6, 7, v1
	s_and_b64 s[26:27], vcc, s[26:27]
	v_cndmask_b32_e64 v1, v1, 0, s[26:27]
	v_or_b32_e32 v0, v1, v0
	buffer_store_dword v0, off, s[0:3], s33 offset:300 ; 4-byte Folded Spill
.LBB4_623:                              ;   in Loop: Header=BB4_137 Depth=3
	s_or_b64 exec, exec, s[34:35]
                                        ; implicit-def: $vgpr0
.LBB4_624:                              ;   in Loop: Header=BB4_137 Depth=3
	s_andn2_saveexec_b64 s[26:27], s[30:31]
	s_cbranch_execz .LBB4_626
; %bb.625:                              ;   in Loop: Header=BB4_137 Depth=3
	v_or_b32_e32 v0, 0x7e, v0
	buffer_store_dword v0, off, s[0:3], s33 offset:300 ; 4-byte Folded Spill
.LBB4_626:                              ;   in Loop: Header=BB4_137 Depth=3
	s_or_b64 exec, exec, s[26:27]
                                        ; implicit-def: $vgpr1
.LBB4_627:                              ;   in Loop: Header=BB4_137 Depth=3
	s_andn2_saveexec_b64 s[26:27], s[94:95]
	s_cbranch_execz .LBB4_629
; %bb.628:                              ;   in Loop: Header=BB4_137 Depth=3
	v_or_b32_sdwa v0, v1, s68 dst_sel:DWORD dst_unused:UNUSED_PAD src0_sel:BYTE_3 src1_sel:DWORD
	buffer_store_dword v0, off, s[0:3], s33 offset:300 ; 4-byte Folded Spill
.LBB4_629:                              ;   in Loop: Header=BB4_137 Depth=3
	s_or_b64 exec, exec, s[26:27]
	v_lshrrev_b32_e32 v2, 16, v9
	v_cmp_ne_u16_sdwa s[94:95], v2, v3 src0_sel:BYTE_0 src1_sel:DWORD
	v_mov_b32_e32 v0, 0
	s_and_saveexec_b64 s[26:27], s[94:95]
	s_cbranch_execz .LBB4_635
; %bb.630:                              ;   in Loop: Header=BB4_137 Depth=3
	v_cmp_ne_u16_sdwa vcc, v2, s70 src0_sel:BYTE_0 src1_sel:DWORD
	v_bfrev_b32_e32 v0, 1
	s_and_saveexec_b64 s[94:95], vcc
	s_cbranch_execz .LBB4_634
; %bb.631:                              ;   in Loop: Header=BB4_137 Depth=3
	v_bfe_u32 v1, v9, 16, 7
	v_cmp_ne_u32_e32 vcc, s68, v1
	v_mov_b32_e32 v0, 0x7f800001
	s_and_saveexec_b64 s[30:31], vcc
	s_cbranch_execz .LBB4_633
; %bb.632:                              ;   in Loop: Header=BB4_137 Depth=3
	v_and_b32_e32 v4, 7, v2
	v_ffbh_u32_e32 v0, v4
	v_min_u32_e32 v7, 32, v0
	v_subrev_u32_e32 v0, 28, v7
	v_lshrrev_b32_e32 v6, 3, v1
	v_cmp_gt_u32_e32 vcc, 8, v1
	v_lshlrev_b64 v[0:1], v0, v[2:3]
	v_sub_u32_e32 v1, 29, v7
	v_and_b32_e32 v0, 7, v0
	v_cndmask_b32_e32 v1, v6, v1, vcc
	v_cndmask_b32_e32 v0, v4, v0, vcc
	v_lshlrev_b32_e32 v2, 24, v2
	v_lshlrev_b32_e32 v0, 20, v0
	v_and_b32_e32 v2, 0x80000000, v2
	v_lshl_add_u32 v1, v1, 23, v5
	v_or3_b32 v0, v2, v1, v0
.LBB4_633:                              ;   in Loop: Header=BB4_137 Depth=3
	s_or_b64 exec, exec, s[30:31]
.LBB4_634:                              ;   in Loop: Header=BB4_137 Depth=3
	s_or_b64 exec, exec, s[94:95]
.LBB4_635:                              ;   in Loop: Header=BB4_137 Depth=3
	s_or_b64 exec, exec, s[26:27]
	v_mul_f32_e32 v1, v60, v0
	v_and_b32_e32 v2, 0x7f800000, v1
	v_cmp_ne_u64_e32 vcc, s[62:63], v[2:3]
                                        ; implicit-def: $vgpr0
                                        ; kill: killed $vgpr0
	s_and_saveexec_b64 s[26:27], vcc
	s_xor_b64 s[94:95], exec, s[26:27]
	s_cbranch_execz .LBB4_649
; %bb.636:                              ;   in Loop: Header=BB4_137 Depth=3
	v_and_b32_e32 v2, 0x7fffffff, v1
	v_cmp_gt_u64_e32 vcc, s[72:73], v[2:3]
	v_and_b32_sdwa v0, v1, s70 dst_sel:DWORD dst_unused:UNUSED_PAD src0_sel:BYTE_3 src1_sel:DWORD
                                        ; implicit-def: $vgpr2
                                        ; kill: killed $vgpr2
	s_and_saveexec_b64 s[26:27], vcc
	s_xor_b64 s[30:31], exec, s[26:27]
	s_cbranch_execz .LBB4_646
; %bb.637:                              ;   in Loop: Header=BB4_137 Depth=3
	v_mov_b32_e32 v2, 0
	v_cmp_ne_u32_e32 vcc, 0, v1
	buffer_store_dword v2, off, s[0:3], s33 offset:304 ; 4-byte Folded Spill
	s_and_saveexec_b64 s[34:35], vcc
	s_cbranch_execz .LBB4_645
; %bb.638:                              ;   in Loop: Header=BB4_137 Depth=3
	v_and_b32_e32 v2, 0x7fffff, v1
	v_bfe_u32 v1, v1, 23, 8
	v_cmp_gt_u32_e64 s[26:27], s71, v1
	v_sub_u32_e32 v4, 0x79, v1
	v_cmp_eq_u32_e32 vcc, 0, v1
	v_cndmask_b32_e64 v4, 0, v4, s[26:27]
	v_mov_b32_e32 v7, 0x78
	v_or_b32_e32 v6, 0x800000, v2
	v_cndmask_b32_e32 v4, v4, v7, vcc
	v_cndmask_b32_e32 v2, v6, v2, vcc
	v_add_u32_e32 v6, 20, v4
	v_lshlrev_b64 v[6:7], v6, -1
	v_add_u32_e32 v12, 19, v4
	v_lshlrev_b64 v[12:13], v12, 1
	v_lshrrev_b64 v[46:47], v4, v[2:3]
	v_bfi_b32 v7, v7, 0, 0
	v_bfi_b32 v6, v6, 0, v2
	v_cmp_eq_u64_e64 s[26:27], v[6:7], v[12:13]
	v_mov_b32_e32 v57, v47
	v_mov_b32_e32 v56, v46
	s_and_saveexec_b64 s[36:37], s[26:27]
; %bb.639:                              ;   in Loop: Header=BB4_137 Depth=3
	v_bfe_u32 v2, v46, 20, 1
	v_add_co_u32_e64 v2, s[26:27], v46, v2
	v_add_co_u32_e64 v56, s[26:27], -1, v2
; %bb.640:                              ;   in Loop: Header=BB4_137 Depth=3
	s_or_b64 exec, exec, s[36:37]
	v_add_u32_e32 v1, 0xffffff81, v1
	v_mov_b32_e32 v2, 0xffffff82
	v_cndmask_b32_e32 v1, v1, v2, vcc
	v_lshrrev_b32_e32 v2, 23, v46
	v_add3_u32 v6, v4, v1, v2
	v_add_u32_e32 v4, 6, v6
	v_and_b32_e32 v1, 0xfffff, v56
	v_add_u32_e32 v2, v1, v46
	v_cmp_ne_u32_e32 vcc, 0, v4
                                        ; implicit-def: $vgpr46_vgpr47
                                        ; implicit-def: $vgpr1
	s_and_saveexec_b64 s[26:27], vcc
	s_xor_b64 s[26:27], exec, s[26:27]
; %bb.641:                              ;   in Loop: Header=BB4_137 Depth=3
	v_cmp_lt_u64_e32 vcc, s[74:75], v[2:3]
	v_add_u32_e32 v1, 7, v6
	v_cndmask_b32_e32 v1, v4, v1, vcc
	v_cndmask_b32_e64 v4, 0, 1, vcc
	v_lshrrev_b64 v[46:47], v4, v[2:3]
; %bb.642:                              ;   in Loop: Header=BB4_137 Depth=3
	s_andn2_saveexec_b64 s[26:27], s[26:27]
; %bb.643:                              ;   in Loop: Header=BB4_137 Depth=3
	v_mov_b32_e32 v47, v3
	v_bfe_u32 v1, v2, 23, 1
	v_mov_b32_e32 v46, v2
; %bb.644:                              ;   in Loop: Header=BB4_137 Depth=3
	s_or_b64 exec, exec, s[26:27]
	v_lshrrev_b64 v[6:7], 20, v[46:47]
	v_cmp_gt_i32_e32 vcc, 16, v1
	v_cndmask_b32_e32 v7, 0, v7, vcc
	v_cndmask_b32_e32 v6, 7, v6, vcc
	v_cmp_eq_u32_e32 vcc, 0, v1
	v_min_i32_e32 v1, 15, v1
	v_cmp_eq_u64_e64 s[26:27], 0, v[6:7]
	v_lshlrev_b32_e32 v1, 3, v1
	v_and_b32_e32 v1, 0xf8, v1
	v_and_or_b32 v1, v6, 7, v1
	s_and_b64 s[26:27], vcc, s[26:27]
	v_cndmask_b32_e64 v1, v1, 0, s[26:27]
	v_or_b32_e32 v0, v1, v0
	buffer_store_dword v0, off, s[0:3], s33 offset:304 ; 4-byte Folded Spill
.LBB4_645:                              ;   in Loop: Header=BB4_137 Depth=3
	s_or_b64 exec, exec, s[34:35]
                                        ; implicit-def: $vgpr0
.LBB4_646:                              ;   in Loop: Header=BB4_137 Depth=3
	s_andn2_saveexec_b64 s[26:27], s[30:31]
	s_cbranch_execz .LBB4_648
; %bb.647:                              ;   in Loop: Header=BB4_137 Depth=3
	v_or_b32_e32 v0, 0x7e, v0
	buffer_store_dword v0, off, s[0:3], s33 offset:304 ; 4-byte Folded Spill
.LBB4_648:                              ;   in Loop: Header=BB4_137 Depth=3
	s_or_b64 exec, exec, s[26:27]
                                        ; implicit-def: $vgpr1
.LBB4_649:                              ;   in Loop: Header=BB4_137 Depth=3
	s_andn2_saveexec_b64 s[26:27], s[94:95]
	s_cbranch_execz .LBB4_651
; %bb.650:                              ;   in Loop: Header=BB4_137 Depth=3
	v_or_b32_sdwa v0, v1, s68 dst_sel:DWORD dst_unused:UNUSED_PAD src0_sel:BYTE_3 src1_sel:DWORD
	buffer_store_dword v0, off, s[0:3], s33 offset:304 ; 4-byte Folded Spill
.LBB4_651:                              ;   in Loop: Header=BB4_137 Depth=3
	s_or_b64 exec, exec, s[26:27]
	v_cmp_lt_u64_e32 vcc, s[56:57], v[8:9]
	v_mov_b32_e32 v0, 0
	s_and_saveexec_b64 s[26:27], vcc
	s_cbranch_execz .LBB4_657
; %bb.652:                              ;   in Loop: Header=BB4_137 Depth=3
	v_lshrrev_b32_e32 v2, 24, v9
	v_cmp_ne_u32_e32 vcc, s70, v2
	v_bfrev_b32_e32 v0, 1
	s_and_saveexec_b64 s[94:95], vcc
	s_cbranch_execz .LBB4_656
; %bb.653:                              ;   in Loop: Header=BB4_137 Depth=3
	v_bfe_u32 v1, v9, 24, 7
	v_cmp_ne_u32_e32 vcc, s68, v1
	v_mov_b32_e32 v0, 0x7f800001
	s_and_saveexec_b64 s[30:31], vcc
	s_cbranch_execz .LBB4_655
; %bb.654:                              ;   in Loop: Header=BB4_137 Depth=3
	v_and_b32_e32 v4, 7, v2
	v_ffbh_u32_e32 v0, v4
	v_min_u32_e32 v7, 32, v0
	v_subrev_u32_e32 v0, 28, v7
	v_lshrrev_b32_e32 v6, 3, v1
	v_cmp_gt_u32_e32 vcc, 8, v1
	v_lshlrev_b64 v[0:1], v0, v[2:3]
	v_sub_u32_e32 v1, 29, v7
	v_and_b32_e32 v0, 7, v0
	v_cndmask_b32_e32 v1, v6, v1, vcc
	v_cndmask_b32_e32 v0, v4, v0, vcc
	v_lshlrev_b32_e32 v2, 24, v2
	v_lshlrev_b32_e32 v0, 20, v0
	v_and_b32_e32 v2, 0x80000000, v2
	v_lshl_add_u32 v1, v1, 23, v5
	v_or3_b32 v0, v2, v1, v0
.LBB4_655:                              ;   in Loop: Header=BB4_137 Depth=3
	s_or_b64 exec, exec, s[30:31]
.LBB4_656:                              ;   in Loop: Header=BB4_137 Depth=3
	s_or_b64 exec, exec, s[94:95]
.LBB4_657:                              ;   in Loop: Header=BB4_137 Depth=3
	s_or_b64 exec, exec, s[26:27]
	v_mul_f32_e32 v1, v60, v0
	v_and_b32_e32 v2, 0x7f800000, v1
	v_cmp_ne_u64_e32 vcc, s[62:63], v[2:3]
                                        ; implicit-def: $vgpr0
                                        ; kill: killed $vgpr0
	s_and_saveexec_b64 s[26:27], vcc
	s_xor_b64 s[94:95], exec, s[26:27]
	s_cbranch_execz .LBB4_671
; %bb.658:                              ;   in Loop: Header=BB4_137 Depth=3
	v_and_b32_e32 v2, 0x7fffffff, v1
	v_cmp_gt_u64_e32 vcc, s[72:73], v[2:3]
	v_and_b32_sdwa v0, v1, s70 dst_sel:DWORD dst_unused:UNUSED_PAD src0_sel:BYTE_3 src1_sel:DWORD
                                        ; implicit-def: $vgpr2
                                        ; kill: killed $vgpr2
	s_and_saveexec_b64 s[26:27], vcc
	s_xor_b64 s[30:31], exec, s[26:27]
	s_cbranch_execz .LBB4_668
; %bb.659:                              ;   in Loop: Header=BB4_137 Depth=3
	v_mov_b32_e32 v2, 0
	v_cmp_ne_u32_e32 vcc, 0, v1
	buffer_store_dword v2, off, s[0:3], s33 offset:308 ; 4-byte Folded Spill
	s_and_saveexec_b64 s[34:35], vcc
	s_cbranch_execz .LBB4_667
; %bb.660:                              ;   in Loop: Header=BB4_137 Depth=3
	v_and_b32_e32 v2, 0x7fffff, v1
	v_bfe_u32 v1, v1, 23, 8
	v_cmp_gt_u32_e64 s[26:27], s71, v1
	v_sub_u32_e32 v4, 0x79, v1
	v_cmp_eq_u32_e32 vcc, 0, v1
	v_cndmask_b32_e64 v4, 0, v4, s[26:27]
	v_mov_b32_e32 v7, 0x78
	v_or_b32_e32 v6, 0x800000, v2
	v_cndmask_b32_e32 v4, v4, v7, vcc
	v_cndmask_b32_e32 v2, v6, v2, vcc
	v_add_u32_e32 v6, 20, v4
	v_lshlrev_b64 v[6:7], v6, -1
	v_add_u32_e32 v8, 19, v4
	v_lshlrev_b64 v[8:9], v8, 1
	v_bfi_b32 v7, v7, 0, 0
	v_bfi_b32 v6, v6, 0, v2
	v_cmp_eq_u64_e64 s[26:27], v[6:7], v[8:9]
	v_lshrrev_b64 v[8:9], v4, v[2:3]
	v_mov_b32_e32 v47, v9
	v_mov_b32_e32 v46, v8
	s_and_saveexec_b64 s[36:37], s[26:27]
; %bb.661:                              ;   in Loop: Header=BB4_137 Depth=3
	v_bfe_u32 v2, v8, 20, 1
	v_add_co_u32_e64 v2, s[26:27], v8, v2
	v_add_co_u32_e64 v46, s[26:27], -1, v2
; %bb.662:                              ;   in Loop: Header=BB4_137 Depth=3
	s_or_b64 exec, exec, s[36:37]
	v_add_u32_e32 v1, 0xffffff81, v1
	v_mov_b32_e32 v2, 0xffffff82
	v_cndmask_b32_e32 v1, v1, v2, vcc
	v_lshrrev_b32_e32 v2, 23, v8
	v_add3_u32 v6, v4, v1, v2
	v_add_u32_e32 v4, 6, v6
	v_and_b32_e32 v1, 0xfffff, v46
	v_add_u32_e32 v2, v1, v8
	v_cmp_ne_u32_e32 vcc, 0, v4
                                        ; implicit-def: $vgpr8_vgpr9
                                        ; implicit-def: $vgpr1
	s_and_saveexec_b64 s[26:27], vcc
	s_xor_b64 s[26:27], exec, s[26:27]
; %bb.663:                              ;   in Loop: Header=BB4_137 Depth=3
	v_cmp_lt_u64_e32 vcc, s[74:75], v[2:3]
	v_add_u32_e32 v1, 7, v6
	v_cndmask_b32_e32 v1, v4, v1, vcc
	v_cndmask_b32_e64 v4, 0, 1, vcc
	v_lshrrev_b64 v[8:9], v4, v[2:3]
; %bb.664:                              ;   in Loop: Header=BB4_137 Depth=3
	s_andn2_saveexec_b64 s[26:27], s[26:27]
; %bb.665:                              ;   in Loop: Header=BB4_137 Depth=3
	v_mov_b32_e32 v9, v3
	v_bfe_u32 v1, v2, 23, 1
	v_mov_b32_e32 v8, v2
; %bb.666:                              ;   in Loop: Header=BB4_137 Depth=3
	s_or_b64 exec, exec, s[26:27]
	v_lshrrev_b64 v[6:7], 20, v[8:9]
	v_cmp_gt_i32_e32 vcc, 16, v1
	v_cndmask_b32_e32 v7, 0, v7, vcc
	v_cndmask_b32_e32 v6, 7, v6, vcc
	v_cmp_eq_u32_e32 vcc, 0, v1
	v_min_i32_e32 v1, 15, v1
	v_cmp_eq_u64_e64 s[26:27], 0, v[6:7]
	v_lshlrev_b32_e32 v1, 3, v1
	v_and_b32_e32 v1, 0xf8, v1
	v_and_or_b32 v1, v6, 7, v1
	s_and_b64 s[26:27], vcc, s[26:27]
	v_cndmask_b32_e64 v1, v1, 0, s[26:27]
	v_or_b32_e32 v0, v1, v0
	buffer_store_dword v0, off, s[0:3], s33 offset:308 ; 4-byte Folded Spill
.LBB4_667:                              ;   in Loop: Header=BB4_137 Depth=3
	s_or_b64 exec, exec, s[34:35]
                                        ; implicit-def: $vgpr0
.LBB4_668:                              ;   in Loop: Header=BB4_137 Depth=3
	s_andn2_saveexec_b64 s[26:27], s[30:31]
	s_cbranch_execz .LBB4_670
; %bb.669:                              ;   in Loop: Header=BB4_137 Depth=3
	v_or_b32_e32 v0, 0x7e, v0
	buffer_store_dword v0, off, s[0:3], s33 offset:308 ; 4-byte Folded Spill
.LBB4_670:                              ;   in Loop: Header=BB4_137 Depth=3
	s_or_b64 exec, exec, s[26:27]
                                        ; implicit-def: $vgpr1
.LBB4_671:                              ;   in Loop: Header=BB4_137 Depth=3
	s_andn2_saveexec_b64 s[26:27], s[94:95]
	s_cbranch_execz .LBB4_673
; %bb.672:                              ;   in Loop: Header=BB4_137 Depth=3
	v_or_b32_sdwa v0, v1, s68 dst_sel:DWORD dst_unused:UNUSED_PAD src0_sel:BYTE_3 src1_sel:DWORD
	buffer_store_dword v0, off, s[0:3], s33 offset:308 ; 4-byte Folded Spill
.LBB4_673:                              ;   in Loop: Header=BB4_137 Depth=3
	s_or_b64 exec, exec, s[26:27]
	v_cmp_ne_u16_sdwa s[94:95], v10, v3 src0_sel:BYTE_0 src1_sel:DWORD
	v_mov_b32_e32 v0, 0
	s_and_saveexec_b64 s[26:27], s[94:95]
	s_cbranch_execz .LBB4_679
; %bb.674:                              ;   in Loop: Header=BB4_137 Depth=3
	v_cmp_ne_u16_sdwa vcc, v10, s70 src0_sel:BYTE_0 src1_sel:DWORD
	v_bfrev_b32_e32 v0, 1
	s_and_saveexec_b64 s[94:95], vcc
	s_cbranch_execz .LBB4_678
; %bb.675:                              ;   in Loop: Header=BB4_137 Depth=3
	v_and_b32_e32 v1, 0x7f, v10
	v_cmp_ne_u32_e32 vcc, s68, v1
	v_mov_b32_e32 v0, 0x7f800001
	s_and_saveexec_b64 s[30:31], vcc
	s_cbranch_execz .LBB4_677
; %bb.676:                              ;   in Loop: Header=BB4_137 Depth=3
	v_and_b32_e32 v0, 7, v10
	v_ffbh_u32_e32 v0, v0
	v_min_u32_e32 v0, 32, v0
	v_lshrrev_b32_e32 v2, 3, v1
	v_cmp_gt_u32_e32 vcc, 8, v1
	v_subrev_u32_e32 v1, 28, v0
	v_sub_u32_e32 v0, 29, v0
	v_cndmask_b32_e32 v2, v2, v0, vcc
	v_cndmask_b32_e32 v0, 0, v1, vcc
	v_lshlrev_b64 v[0:1], v0, v[10:11]
	v_lshlrev_b32_e32 v1, 24, v10
	v_lshlrev_b32_e32 v0, 20, v0
	v_and_b32_e32 v0, 0x700000, v0
	v_and_b32_e32 v1, 0x80000000, v1
	v_lshl_add_u32 v2, v2, 23, v5
	v_or3_b32 v0, v1, v2, v0
.LBB4_677:                              ;   in Loop: Header=BB4_137 Depth=3
	s_or_b64 exec, exec, s[30:31]
.LBB4_678:                              ;   in Loop: Header=BB4_137 Depth=3
	s_or_b64 exec, exec, s[94:95]
.LBB4_679:                              ;   in Loop: Header=BB4_137 Depth=3
	s_or_b64 exec, exec, s[26:27]
	v_mul_f32_e32 v1, v60, v0
	v_and_b32_e32 v2, 0x7f800000, v1
	v_cmp_ne_u64_e32 vcc, s[62:63], v[2:3]
                                        ; implicit-def: $vgpr0
                                        ; kill: killed $vgpr0
	s_and_saveexec_b64 s[26:27], vcc
	s_xor_b64 s[94:95], exec, s[26:27]
	s_cbranch_execz .LBB4_693
; %bb.680:                              ;   in Loop: Header=BB4_137 Depth=3
	v_and_b32_e32 v2, 0x7fffffff, v1
	v_cmp_gt_u64_e32 vcc, s[72:73], v[2:3]
	v_and_b32_sdwa v0, v1, s70 dst_sel:DWORD dst_unused:UNUSED_PAD src0_sel:BYTE_3 src1_sel:DWORD
                                        ; implicit-def: $vgpr2
                                        ; kill: killed $vgpr2
	s_and_saveexec_b64 s[26:27], vcc
	s_xor_b64 s[30:31], exec, s[26:27]
	s_cbranch_execz .LBB4_690
; %bb.681:                              ;   in Loop: Header=BB4_137 Depth=3
	v_mov_b32_e32 v2, 0
	v_cmp_ne_u32_e32 vcc, 0, v1
	buffer_store_dword v2, off, s[0:3], s33 offset:312 ; 4-byte Folded Spill
	s_and_saveexec_b64 s[34:35], vcc
	s_cbranch_execz .LBB4_689
; %bb.682:                              ;   in Loop: Header=BB4_137 Depth=3
	v_and_b32_e32 v2, 0x7fffff, v1
	v_bfe_u32 v1, v1, 23, 8
	v_cmp_gt_u32_e64 s[26:27], s71, v1
	v_sub_u32_e32 v4, 0x79, v1
	v_cmp_eq_u32_e32 vcc, 0, v1
	v_cndmask_b32_e64 v4, 0, v4, s[26:27]
	v_mov_b32_e32 v7, 0x78
	v_or_b32_e32 v6, 0x800000, v2
	v_cndmask_b32_e32 v4, v4, v7, vcc
	v_cndmask_b32_e32 v2, v6, v2, vcc
	v_add_u32_e32 v6, 20, v4
	v_lshlrev_b64 v[6:7], v6, -1
	v_add_u32_e32 v8, 19, v4
	v_lshlrev_b64 v[8:9], v8, 1
	v_bfi_b32 v7, v7, 0, 0
	v_bfi_b32 v6, v6, 0, v2
	v_cmp_eq_u64_e64 s[26:27], v[6:7], v[8:9]
	v_lshrrev_b64 v[8:9], v4, v[2:3]
	v_mov_b32_e32 v47, v9
	v_mov_b32_e32 v46, v8
	s_and_saveexec_b64 s[36:37], s[26:27]
; %bb.683:                              ;   in Loop: Header=BB4_137 Depth=3
	v_bfe_u32 v2, v8, 20, 1
	v_add_co_u32_e64 v2, s[26:27], v8, v2
	v_add_co_u32_e64 v46, s[26:27], -1, v2
; %bb.684:                              ;   in Loop: Header=BB4_137 Depth=3
	s_or_b64 exec, exec, s[36:37]
	v_add_u32_e32 v1, 0xffffff81, v1
	v_mov_b32_e32 v2, 0xffffff82
	v_cndmask_b32_e32 v1, v1, v2, vcc
	v_lshrrev_b32_e32 v2, 23, v8
	v_add3_u32 v6, v4, v1, v2
	v_add_u32_e32 v4, 6, v6
	v_and_b32_e32 v1, 0xfffff, v46
	v_add_u32_e32 v2, v1, v8
	v_cmp_ne_u32_e32 vcc, 0, v4
                                        ; implicit-def: $vgpr8_vgpr9
                                        ; implicit-def: $vgpr1
	s_and_saveexec_b64 s[26:27], vcc
	s_xor_b64 s[26:27], exec, s[26:27]
; %bb.685:                              ;   in Loop: Header=BB4_137 Depth=3
	v_cmp_lt_u64_e32 vcc, s[74:75], v[2:3]
	v_add_u32_e32 v1, 7, v6
	v_cndmask_b32_e32 v1, v4, v1, vcc
	v_cndmask_b32_e64 v4, 0, 1, vcc
	v_lshrrev_b64 v[8:9], v4, v[2:3]
; %bb.686:                              ;   in Loop: Header=BB4_137 Depth=3
	s_andn2_saveexec_b64 s[26:27], s[26:27]
; %bb.687:                              ;   in Loop: Header=BB4_137 Depth=3
	v_mov_b32_e32 v9, v3
	v_bfe_u32 v1, v2, 23, 1
	v_mov_b32_e32 v8, v2
; %bb.688:                              ;   in Loop: Header=BB4_137 Depth=3
	s_or_b64 exec, exec, s[26:27]
	v_lshrrev_b64 v[6:7], 20, v[8:9]
	v_cmp_gt_i32_e32 vcc, 16, v1
	v_cndmask_b32_e32 v7, 0, v7, vcc
	v_cndmask_b32_e32 v6, 7, v6, vcc
	v_cmp_eq_u32_e32 vcc, 0, v1
	v_min_i32_e32 v1, 15, v1
	v_cmp_eq_u64_e64 s[26:27], 0, v[6:7]
	v_lshlrev_b32_e32 v1, 3, v1
	v_and_b32_e32 v1, 0xf8, v1
	v_and_or_b32 v1, v6, 7, v1
	s_and_b64 s[26:27], vcc, s[26:27]
	v_cndmask_b32_e64 v1, v1, 0, s[26:27]
	v_or_b32_e32 v0, v1, v0
	buffer_store_dword v0, off, s[0:3], s33 offset:312 ; 4-byte Folded Spill
.LBB4_689:                              ;   in Loop: Header=BB4_137 Depth=3
	s_or_b64 exec, exec, s[34:35]
                                        ; implicit-def: $vgpr0
.LBB4_690:                              ;   in Loop: Header=BB4_137 Depth=3
	s_andn2_saveexec_b64 s[26:27], s[30:31]
	s_cbranch_execz .LBB4_692
; %bb.691:                              ;   in Loop: Header=BB4_137 Depth=3
	v_or_b32_e32 v0, 0x7e, v0
	buffer_store_dword v0, off, s[0:3], s33 offset:312 ; 4-byte Folded Spill
.LBB4_692:                              ;   in Loop: Header=BB4_137 Depth=3
	s_or_b64 exec, exec, s[26:27]
                                        ; implicit-def: $vgpr1
.LBB4_693:                              ;   in Loop: Header=BB4_137 Depth=3
	s_andn2_saveexec_b64 s[26:27], s[94:95]
	s_cbranch_execz .LBB4_695
; %bb.694:                              ;   in Loop: Header=BB4_137 Depth=3
	v_or_b32_sdwa v0, v1, s68 dst_sel:DWORD dst_unused:UNUSED_PAD src0_sel:BYTE_3 src1_sel:DWORD
	buffer_store_dword v0, off, s[0:3], s33 offset:312 ; 4-byte Folded Spill
.LBB4_695:                              ;   in Loop: Header=BB4_137 Depth=3
	s_or_b64 exec, exec, s[26:27]
	v_lshrrev_b16_e32 v2, 8, v10
	v_cmp_ne_u16_e32 vcc, 0, v2
	v_mov_b32_e32 v0, 0
	s_and_saveexec_b64 s[26:27], vcc
	s_cbranch_execz .LBB4_701
; %bb.696:                              ;   in Loop: Header=BB4_137 Depth=3
	v_cmp_ne_u16_e32 vcc, s70, v2
	v_bfrev_b32_e32 v0, 1
	s_and_saveexec_b64 s[94:95], vcc
	s_cbranch_execz .LBB4_700
; %bb.697:                              ;   in Loop: Header=BB4_137 Depth=3
	v_and_b32_e32 v1, 0x7f, v2
	v_cmp_ne_u32_e32 vcc, s68, v1
	v_mov_b32_e32 v0, 0x7f800001
	s_and_saveexec_b64 s[30:31], vcc
	s_cbranch_execz .LBB4_699
; %bb.698:                              ;   in Loop: Header=BB4_137 Depth=3
	v_and_b32_e32 v4, 7, v2
	v_ffbh_u32_e32 v0, v4
	v_min_u32_e32 v7, 32, v0
	v_subrev_u32_e32 v0, 28, v7
	v_lshrrev_b32_e32 v6, 3, v1
	v_cmp_gt_u32_e32 vcc, 8, v1
	v_lshlrev_b64 v[0:1], v0, v[2:3]
	v_sub_u32_e32 v1, 29, v7
	v_and_b32_e32 v0, 7, v0
	v_cndmask_b32_e32 v1, v6, v1, vcc
	v_cndmask_b32_e32 v0, v4, v0, vcc
	v_lshlrev_b32_e32 v2, 16, v10
	v_lshlrev_b32_e32 v0, 20, v0
	v_and_b32_e32 v2, 0x80000000, v2
	v_lshl_add_u32 v1, v1, 23, v5
	v_or3_b32 v0, v2, v1, v0
.LBB4_699:                              ;   in Loop: Header=BB4_137 Depth=3
	s_or_b64 exec, exec, s[30:31]
.LBB4_700:                              ;   in Loop: Header=BB4_137 Depth=3
	s_or_b64 exec, exec, s[94:95]
.LBB4_701:                              ;   in Loop: Header=BB4_137 Depth=3
	s_or_b64 exec, exec, s[26:27]
	v_mul_f32_e32 v1, v60, v0
	v_and_b32_e32 v2, 0x7f800000, v1
	v_cmp_ne_u64_e32 vcc, s[62:63], v[2:3]
                                        ; implicit-def: $vgpr0
                                        ; kill: killed $vgpr0
	s_and_saveexec_b64 s[26:27], vcc
	s_xor_b64 s[94:95], exec, s[26:27]
	s_cbranch_execz .LBB4_715
; %bb.702:                              ;   in Loop: Header=BB4_137 Depth=3
	v_and_b32_e32 v2, 0x7fffffff, v1
	v_cmp_gt_u64_e32 vcc, s[72:73], v[2:3]
	v_and_b32_sdwa v0, v1, s70 dst_sel:DWORD dst_unused:UNUSED_PAD src0_sel:BYTE_3 src1_sel:DWORD
                                        ; implicit-def: $vgpr2
                                        ; kill: killed $vgpr2
	s_and_saveexec_b64 s[26:27], vcc
	s_xor_b64 s[30:31], exec, s[26:27]
	s_cbranch_execz .LBB4_712
; %bb.703:                              ;   in Loop: Header=BB4_137 Depth=3
	v_mov_b32_e32 v2, 0
	v_cmp_ne_u32_e32 vcc, 0, v1
	buffer_store_dword v2, off, s[0:3], s33 offset:316 ; 4-byte Folded Spill
	s_and_saveexec_b64 s[34:35], vcc
	s_cbranch_execz .LBB4_711
; %bb.704:                              ;   in Loop: Header=BB4_137 Depth=3
	v_and_b32_e32 v2, 0x7fffff, v1
	v_bfe_u32 v1, v1, 23, 8
	v_cmp_gt_u32_e64 s[26:27], s71, v1
	v_sub_u32_e32 v4, 0x79, v1
	v_cmp_eq_u32_e32 vcc, 0, v1
	v_cndmask_b32_e64 v4, 0, v4, s[26:27]
	v_mov_b32_e32 v7, 0x78
	v_or_b32_e32 v6, 0x800000, v2
	v_cndmask_b32_e32 v4, v4, v7, vcc
	v_cndmask_b32_e32 v2, v6, v2, vcc
	v_add_u32_e32 v6, 20, v4
	v_lshlrev_b64 v[6:7], v6, -1
	v_add_u32_e32 v8, 19, v4
	v_lshlrev_b64 v[8:9], v8, 1
	v_bfi_b32 v7, v7, 0, 0
	v_bfi_b32 v6, v6, 0, v2
	v_cmp_eq_u64_e64 s[26:27], v[6:7], v[8:9]
	v_lshrrev_b64 v[8:9], v4, v[2:3]
	v_mov_b32_e32 v47, v9
	v_mov_b32_e32 v46, v8
	s_and_saveexec_b64 s[36:37], s[26:27]
; %bb.705:                              ;   in Loop: Header=BB4_137 Depth=3
	v_bfe_u32 v2, v8, 20, 1
	v_add_co_u32_e64 v2, s[26:27], v8, v2
	v_add_co_u32_e64 v46, s[26:27], -1, v2
; %bb.706:                              ;   in Loop: Header=BB4_137 Depth=3
	s_or_b64 exec, exec, s[36:37]
	v_add_u32_e32 v1, 0xffffff81, v1
	v_mov_b32_e32 v2, 0xffffff82
	v_cndmask_b32_e32 v1, v1, v2, vcc
	v_lshrrev_b32_e32 v2, 23, v8
	v_add3_u32 v6, v4, v1, v2
	v_add_u32_e32 v4, 6, v6
	v_and_b32_e32 v1, 0xfffff, v46
	v_add_u32_e32 v2, v1, v8
	v_cmp_ne_u32_e32 vcc, 0, v4
                                        ; implicit-def: $vgpr8_vgpr9
                                        ; implicit-def: $vgpr1
	s_and_saveexec_b64 s[26:27], vcc
	s_xor_b64 s[26:27], exec, s[26:27]
; %bb.707:                              ;   in Loop: Header=BB4_137 Depth=3
	v_cmp_lt_u64_e32 vcc, s[74:75], v[2:3]
	v_add_u32_e32 v1, 7, v6
	v_cndmask_b32_e32 v1, v4, v1, vcc
	v_cndmask_b32_e64 v4, 0, 1, vcc
	v_lshrrev_b64 v[8:9], v4, v[2:3]
; %bb.708:                              ;   in Loop: Header=BB4_137 Depth=3
	s_andn2_saveexec_b64 s[26:27], s[26:27]
; %bb.709:                              ;   in Loop: Header=BB4_137 Depth=3
	v_mov_b32_e32 v9, v3
	v_bfe_u32 v1, v2, 23, 1
	v_mov_b32_e32 v8, v2
; %bb.710:                              ;   in Loop: Header=BB4_137 Depth=3
	s_or_b64 exec, exec, s[26:27]
	v_lshrrev_b64 v[6:7], 20, v[8:9]
	v_cmp_gt_i32_e32 vcc, 16, v1
	v_cndmask_b32_e32 v7, 0, v7, vcc
	v_cndmask_b32_e32 v6, 7, v6, vcc
	v_cmp_eq_u32_e32 vcc, 0, v1
	v_min_i32_e32 v1, 15, v1
	v_cmp_eq_u64_e64 s[26:27], 0, v[6:7]
	v_lshlrev_b32_e32 v1, 3, v1
	v_and_b32_e32 v1, 0xf8, v1
	v_and_or_b32 v1, v6, 7, v1
	s_and_b64 s[26:27], vcc, s[26:27]
	v_cndmask_b32_e64 v1, v1, 0, s[26:27]
	v_or_b32_e32 v0, v1, v0
	buffer_store_dword v0, off, s[0:3], s33 offset:316 ; 4-byte Folded Spill
.LBB4_711:                              ;   in Loop: Header=BB4_137 Depth=3
	s_or_b64 exec, exec, s[34:35]
                                        ; implicit-def: $vgpr0
.LBB4_712:                              ;   in Loop: Header=BB4_137 Depth=3
	s_andn2_saveexec_b64 s[26:27], s[30:31]
	s_cbranch_execz .LBB4_714
; %bb.713:                              ;   in Loop: Header=BB4_137 Depth=3
	v_or_b32_e32 v0, 0x7e, v0
	buffer_store_dword v0, off, s[0:3], s33 offset:316 ; 4-byte Folded Spill
.LBB4_714:                              ;   in Loop: Header=BB4_137 Depth=3
	s_or_b64 exec, exec, s[26:27]
                                        ; implicit-def: $vgpr1
.LBB4_715:                              ;   in Loop: Header=BB4_137 Depth=3
	s_andn2_saveexec_b64 s[26:27], s[94:95]
	s_cbranch_execz .LBB4_717
; %bb.716:                              ;   in Loop: Header=BB4_137 Depth=3
	v_or_b32_sdwa v0, v1, s68 dst_sel:DWORD dst_unused:UNUSED_PAD src0_sel:BYTE_3 src1_sel:DWORD
	buffer_store_dword v0, off, s[0:3], s33 offset:316 ; 4-byte Folded Spill
.LBB4_717:                              ;   in Loop: Header=BB4_137 Depth=3
	s_or_b64 exec, exec, s[26:27]
	v_lshrrev_b32_e32 v2, 16, v10
	v_cmp_ne_u16_sdwa s[94:95], v2, v3 src0_sel:BYTE_0 src1_sel:DWORD
	v_mov_b32_e32 v0, 0
	s_and_saveexec_b64 s[26:27], s[94:95]
	s_cbranch_execz .LBB4_723
; %bb.718:                              ;   in Loop: Header=BB4_137 Depth=3
	v_cmp_ne_u16_sdwa vcc, v2, s70 src0_sel:BYTE_0 src1_sel:DWORD
	v_bfrev_b32_e32 v0, 1
	s_and_saveexec_b64 s[94:95], vcc
	s_cbranch_execz .LBB4_722
; %bb.719:                              ;   in Loop: Header=BB4_137 Depth=3
	v_bfe_u32 v1, v10, 16, 7
	v_cmp_ne_u32_e32 vcc, s68, v1
	v_mov_b32_e32 v0, 0x7f800001
	s_and_saveexec_b64 s[30:31], vcc
	s_cbranch_execz .LBB4_721
; %bb.720:                              ;   in Loop: Header=BB4_137 Depth=3
	v_and_b32_e32 v4, 7, v2
	v_ffbh_u32_e32 v0, v4
	v_min_u32_e32 v7, 32, v0
	v_subrev_u32_e32 v0, 28, v7
	v_lshrrev_b32_e32 v6, 3, v1
	v_cmp_gt_u32_e32 vcc, 8, v1
	v_lshlrev_b64 v[0:1], v0, v[2:3]
	v_sub_u32_e32 v1, 29, v7
	v_and_b32_e32 v0, 7, v0
	v_cndmask_b32_e32 v1, v6, v1, vcc
	v_cndmask_b32_e32 v0, v4, v0, vcc
	v_lshlrev_b32_e32 v2, 24, v2
	v_lshlrev_b32_e32 v0, 20, v0
	v_and_b32_e32 v2, 0x80000000, v2
	v_lshl_add_u32 v1, v1, 23, v5
	v_or3_b32 v0, v2, v1, v0
.LBB4_721:                              ;   in Loop: Header=BB4_137 Depth=3
	s_or_b64 exec, exec, s[30:31]
.LBB4_722:                              ;   in Loop: Header=BB4_137 Depth=3
	s_or_b64 exec, exec, s[94:95]
.LBB4_723:                              ;   in Loop: Header=BB4_137 Depth=3
	s_or_b64 exec, exec, s[26:27]
	v_mul_f32_e32 v0, v60, v0
	v_and_b32_e32 v2, 0x7f800000, v0
	v_cmp_ne_u64_e32 vcc, s[62:63], v[2:3]
                                        ; implicit-def: $vgpr1
                                        ; kill: killed $vgpr1
	s_and_saveexec_b64 s[26:27], vcc
	s_xor_b64 s[94:95], exec, s[26:27]
	s_cbranch_execz .LBB4_737
; %bb.724:                              ;   in Loop: Header=BB4_137 Depth=3
	v_and_b32_e32 v2, 0x7fffffff, v0
	v_cmp_gt_u64_e32 vcc, s[72:73], v[2:3]
	v_and_b32_sdwa v1, v0, s70 dst_sel:DWORD dst_unused:UNUSED_PAD src0_sel:BYTE_3 src1_sel:DWORD
                                        ; implicit-def: $vgpr2
                                        ; kill: killed $vgpr2
	s_and_saveexec_b64 s[26:27], vcc
	s_xor_b64 s[30:31], exec, s[26:27]
	s_cbranch_execz .LBB4_734
; %bb.725:                              ;   in Loop: Header=BB4_137 Depth=3
	v_mov_b32_e32 v2, 0
	v_cmp_ne_u32_e32 vcc, 0, v0
	buffer_store_dword v2, off, s[0:3], s33 offset:320 ; 4-byte Folded Spill
	s_and_saveexec_b64 s[34:35], vcc
	s_cbranch_execz .LBB4_733
; %bb.726:                              ;   in Loop: Header=BB4_137 Depth=3
	v_and_b32_e32 v2, 0x7fffff, v0
	v_bfe_u32 v0, v0, 23, 8
	v_cmp_gt_u32_e64 s[26:27], s71, v0
	v_sub_u32_e32 v4, 0x79, v0
	v_cmp_eq_u32_e32 vcc, 0, v0
	v_cndmask_b32_e64 v4, 0, v4, s[26:27]
	v_mov_b32_e32 v7, 0x78
	v_or_b32_e32 v6, 0x800000, v2
	v_cndmask_b32_e32 v4, v4, v7, vcc
	v_cndmask_b32_e32 v2, v6, v2, vcc
	v_add_u32_e32 v6, 20, v4
	v_lshlrev_b64 v[6:7], v6, -1
	v_add_u32_e32 v8, 19, v4
	v_lshlrev_b64 v[8:9], v8, 1
	v_bfi_b32 v7, v7, 0, 0
	v_bfi_b32 v6, v6, 0, v2
	v_cmp_eq_u64_e64 s[26:27], v[6:7], v[8:9]
	v_lshrrev_b64 v[8:9], v4, v[2:3]
	v_mov_b32_e32 v47, v9
	v_mov_b32_e32 v46, v8
	s_and_saveexec_b64 s[36:37], s[26:27]
; %bb.727:                              ;   in Loop: Header=BB4_137 Depth=3
	v_bfe_u32 v2, v8, 20, 1
	v_add_co_u32_e64 v2, s[26:27], v8, v2
	v_add_co_u32_e64 v46, s[26:27], -1, v2
; %bb.728:                              ;   in Loop: Header=BB4_137 Depth=3
	s_or_b64 exec, exec, s[36:37]
	v_add_u32_e32 v0, 0xffffff81, v0
	v_mov_b32_e32 v2, 0xffffff82
	v_cndmask_b32_e32 v0, v0, v2, vcc
	v_lshrrev_b32_e32 v2, 23, v8
	v_add3_u32 v6, v4, v0, v2
	v_add_u32_e32 v4, 6, v6
	v_and_b32_e32 v0, 0xfffff, v46
	v_add_u32_e32 v2, v0, v8
	v_cmp_ne_u32_e32 vcc, 0, v4
                                        ; implicit-def: $vgpr8_vgpr9
                                        ; implicit-def: $vgpr0
	s_and_saveexec_b64 s[26:27], vcc
	s_xor_b64 s[26:27], exec, s[26:27]
; %bb.729:                              ;   in Loop: Header=BB4_137 Depth=3
	v_cmp_lt_u64_e32 vcc, s[74:75], v[2:3]
	v_add_u32_e32 v0, 7, v6
	v_cndmask_b32_e32 v0, v4, v0, vcc
	v_cndmask_b32_e64 v4, 0, 1, vcc
	v_lshrrev_b64 v[8:9], v4, v[2:3]
; %bb.730:                              ;   in Loop: Header=BB4_137 Depth=3
	s_andn2_saveexec_b64 s[26:27], s[26:27]
; %bb.731:                              ;   in Loop: Header=BB4_137 Depth=3
	v_mov_b32_e32 v9, v3
	v_bfe_u32 v0, v2, 23, 1
	v_mov_b32_e32 v8, v2
; %bb.732:                              ;   in Loop: Header=BB4_137 Depth=3
	s_or_b64 exec, exec, s[26:27]
	v_lshrrev_b64 v[6:7], 20, v[8:9]
	v_cmp_gt_i32_e32 vcc, 16, v0
	v_cndmask_b32_e32 v7, 0, v7, vcc
	v_cndmask_b32_e32 v6, 7, v6, vcc
	v_cmp_eq_u32_e32 vcc, 0, v0
	v_min_i32_e32 v0, 15, v0
	v_cmp_eq_u64_e64 s[26:27], 0, v[6:7]
	v_lshlrev_b32_e32 v0, 3, v0
	v_and_b32_e32 v0, 0xf8, v0
	v_and_or_b32 v0, v6, 7, v0
	s_and_b64 s[26:27], vcc, s[26:27]
	v_cndmask_b32_e64 v0, v0, 0, s[26:27]
	v_or_b32_e32 v0, v0, v1
	buffer_store_dword v0, off, s[0:3], s33 offset:320 ; 4-byte Folded Spill
.LBB4_733:                              ;   in Loop: Header=BB4_137 Depth=3
	s_or_b64 exec, exec, s[34:35]
                                        ; implicit-def: $vgpr1
.LBB4_734:                              ;   in Loop: Header=BB4_137 Depth=3
	s_andn2_saveexec_b64 s[26:27], s[30:31]
	s_cbranch_execz .LBB4_736
; %bb.735:                              ;   in Loop: Header=BB4_137 Depth=3
	v_or_b32_e32 v0, 0x7e, v1
	buffer_store_dword v0, off, s[0:3], s33 offset:320 ; 4-byte Folded Spill
.LBB4_736:                              ;   in Loop: Header=BB4_137 Depth=3
	s_or_b64 exec, exec, s[26:27]
                                        ; implicit-def: $vgpr0
.LBB4_737:                              ;   in Loop: Header=BB4_137 Depth=3
	s_andn2_saveexec_b64 s[26:27], s[94:95]
	s_cbranch_execz .LBB4_739
; %bb.738:                              ;   in Loop: Header=BB4_137 Depth=3
	v_or_b32_sdwa v0, v0, s68 dst_sel:DWORD dst_unused:UNUSED_PAD src0_sel:BYTE_3 src1_sel:DWORD
	buffer_store_dword v0, off, s[0:3], s33 offset:320 ; 4-byte Folded Spill
.LBB4_739:                              ;   in Loop: Header=BB4_137 Depth=3
	s_or_b64 exec, exec, s[26:27]
	v_cmp_lt_u32_e32 vcc, s57, v10
	v_mov_b32_e32 v0, 0
	s_and_saveexec_b64 s[26:27], vcc
	s_cbranch_execz .LBB4_745
; %bb.740:                              ;   in Loop: Header=BB4_137 Depth=3
	v_lshrrev_b32_e32 v2, 24, v10
	v_cmp_ne_u32_e32 vcc, s70, v2
	v_bfrev_b32_e32 v0, 1
	s_and_saveexec_b64 s[94:95], vcc
	s_cbranch_execz .LBB4_744
; %bb.741:                              ;   in Loop: Header=BB4_137 Depth=3
	v_bfe_u32 v1, v10, 24, 7
	v_cmp_ne_u32_e32 vcc, s68, v1
	v_mov_b32_e32 v0, 0x7f800001
	s_and_saveexec_b64 s[30:31], vcc
	s_cbranch_execz .LBB4_743
; %bb.742:                              ;   in Loop: Header=BB4_137 Depth=3
	v_and_b32_e32 v4, 7, v2
	v_ffbh_u32_e32 v0, v4
	v_min_u32_e32 v7, 32, v0
	v_subrev_u32_e32 v0, 28, v7
	v_lshrrev_b32_e32 v6, 3, v1
	v_cmp_gt_u32_e32 vcc, 8, v1
	v_lshlrev_b64 v[0:1], v0, v[2:3]
	v_sub_u32_e32 v1, 29, v7
	v_and_b32_e32 v0, 7, v0
	v_cndmask_b32_e32 v1, v6, v1, vcc
	v_cndmask_b32_e32 v0, v4, v0, vcc
	v_lshlrev_b32_e32 v2, 24, v2
	v_lshlrev_b32_e32 v0, 20, v0
	v_and_b32_e32 v2, 0x80000000, v2
	v_lshl_add_u32 v1, v1, 23, v5
	v_or3_b32 v0, v2, v1, v0
.LBB4_743:                              ;   in Loop: Header=BB4_137 Depth=3
	s_or_b64 exec, exec, s[30:31]
.LBB4_744:                              ;   in Loop: Header=BB4_137 Depth=3
	s_or_b64 exec, exec, s[94:95]
.LBB4_745:                              ;   in Loop: Header=BB4_137 Depth=3
	s_or_b64 exec, exec, s[26:27]
	v_mul_f32_e32 v0, v60, v0
	v_and_b32_e32 v2, 0x7f800000, v0
	v_cmp_ne_u64_e32 vcc, s[62:63], v[2:3]
                                        ; implicit-def: $vgpr1
                                        ; kill: killed $vgpr1
	s_and_saveexec_b64 s[26:27], vcc
	s_xor_b64 s[94:95], exec, s[26:27]
	s_cbranch_execz .LBB4_759
; %bb.746:                              ;   in Loop: Header=BB4_137 Depth=3
	v_and_b32_e32 v2, 0x7fffffff, v0
	v_cmp_gt_u64_e32 vcc, s[72:73], v[2:3]
	v_and_b32_sdwa v1, v0, s70 dst_sel:DWORD dst_unused:UNUSED_PAD src0_sel:BYTE_3 src1_sel:DWORD
                                        ; implicit-def: $vgpr2
                                        ; kill: killed $vgpr2
	s_and_saveexec_b64 s[26:27], vcc
	s_xor_b64 s[30:31], exec, s[26:27]
	s_cbranch_execz .LBB4_756
; %bb.747:                              ;   in Loop: Header=BB4_137 Depth=3
	v_mov_b32_e32 v2, 0
	v_cmp_ne_u32_e32 vcc, 0, v0
	buffer_store_dword v2, off, s[0:3], s33 offset:324 ; 4-byte Folded Spill
	s_and_saveexec_b64 s[34:35], vcc
	s_cbranch_execz .LBB4_755
; %bb.748:                              ;   in Loop: Header=BB4_137 Depth=3
	v_bfe_u32 v4, v0, 23, 8
	v_and_b32_e32 v2, 0x7fffff, v0
	v_cmp_gt_u32_e64 s[26:27], s71, v4
	v_sub_u32_e32 v0, 0x79, v4
	v_cmp_eq_u32_e32 vcc, 0, v4
	v_cndmask_b32_e64 v0, 0, v0, s[26:27]
	v_mov_b32_e32 v7, 0x78
	v_or_b32_e32 v6, 0x800000, v2
	v_cndmask_b32_e32 v0, v0, v7, vcc
	v_cndmask_b32_e32 v2, v6, v2, vcc
	v_add_u32_e32 v6, 20, v0
	v_lshlrev_b64 v[6:7], v6, -1
	v_add_u32_e32 v8, 19, v0
	v_lshlrev_b64 v[8:9], v8, 1
	v_bfi_b32 v7, v7, 0, 0
	v_bfi_b32 v6, v6, 0, v2
	v_cmp_eq_u64_e64 s[26:27], v[6:7], v[8:9]
	v_lshrrev_b64 v[8:9], v0, v[2:3]
	v_mov_b32_e32 v47, v9
	v_mov_b32_e32 v46, v8
	s_and_saveexec_b64 s[36:37], s[26:27]
; %bb.749:                              ;   in Loop: Header=BB4_137 Depth=3
	v_bfe_u32 v2, v8, 20, 1
	v_add_co_u32_e64 v2, s[26:27], v8, v2
	v_add_co_u32_e64 v46, s[26:27], -1, v2
; %bb.750:                              ;   in Loop: Header=BB4_137 Depth=3
	s_or_b64 exec, exec, s[36:37]
	v_add_u32_e32 v2, 0xffffff81, v4
	v_mov_b32_e32 v4, 0xffffff82
	v_cndmask_b32_e32 v2, v2, v4, vcc
	v_lshrrev_b32_e32 v4, 23, v8
	v_add3_u32 v6, v0, v2, v4
	v_add_u32_e32 v4, 6, v6
	v_and_b32_e32 v0, 0xfffff, v46
	v_add_u32_e32 v2, v0, v8
	v_cmp_ne_u32_e32 vcc, 0, v4
                                        ; implicit-def: $vgpr8_vgpr9
                                        ; implicit-def: $vgpr0
	s_and_saveexec_b64 s[26:27], vcc
	s_xor_b64 s[26:27], exec, s[26:27]
; %bb.751:                              ;   in Loop: Header=BB4_137 Depth=3
	v_cmp_lt_u64_e32 vcc, s[74:75], v[2:3]
	v_add_u32_e32 v0, 7, v6
	v_cndmask_b32_e32 v0, v4, v0, vcc
	v_cndmask_b32_e64 v4, 0, 1, vcc
	v_lshrrev_b64 v[8:9], v4, v[2:3]
; %bb.752:                              ;   in Loop: Header=BB4_137 Depth=3
	s_andn2_saveexec_b64 s[26:27], s[26:27]
; %bb.753:                              ;   in Loop: Header=BB4_137 Depth=3
	v_mov_b32_e32 v9, v3
	v_bfe_u32 v0, v2, 23, 1
	v_mov_b32_e32 v8, v2
; %bb.754:                              ;   in Loop: Header=BB4_137 Depth=3
	s_or_b64 exec, exec, s[26:27]
	v_lshrrev_b64 v[6:7], 20, v[8:9]
	v_cmp_gt_i32_e32 vcc, 16, v0
	v_cndmask_b32_e32 v7, 0, v7, vcc
	v_cndmask_b32_e32 v6, 7, v6, vcc
	v_cmp_eq_u32_e32 vcc, 0, v0
	v_min_i32_e32 v0, 15, v0
	v_cmp_eq_u64_e64 s[26:27], 0, v[6:7]
	v_lshlrev_b32_e32 v0, 3, v0
	v_and_b32_e32 v0, 0xf8, v0
	v_and_or_b32 v0, v6, 7, v0
	s_and_b64 s[26:27], vcc, s[26:27]
	v_cndmask_b32_e64 v0, v0, 0, s[26:27]
	v_or_b32_e32 v0, v0, v1
	buffer_store_dword v0, off, s[0:3], s33 offset:324 ; 4-byte Folded Spill
.LBB4_755:                              ;   in Loop: Header=BB4_137 Depth=3
	s_or_b64 exec, exec, s[34:35]
                                        ; implicit-def: $vgpr1
.LBB4_756:                              ;   in Loop: Header=BB4_137 Depth=3
	s_andn2_saveexec_b64 s[26:27], s[30:31]
	s_cbranch_execz .LBB4_758
; %bb.757:                              ;   in Loop: Header=BB4_137 Depth=3
	v_or_b32_e32 v0, 0x7e, v1
	buffer_store_dword v0, off, s[0:3], s33 offset:324 ; 4-byte Folded Spill
.LBB4_758:                              ;   in Loop: Header=BB4_137 Depth=3
	s_or_b64 exec, exec, s[26:27]
                                        ; implicit-def: $vgpr0
.LBB4_759:                              ;   in Loop: Header=BB4_137 Depth=3
	s_andn2_saveexec_b64 s[26:27], s[94:95]
	s_cbranch_execz .LBB4_761
; %bb.760:                              ;   in Loop: Header=BB4_137 Depth=3
	v_or_b32_sdwa v0, v0, s68 dst_sel:DWORD dst_unused:UNUSED_PAD src0_sel:BYTE_3 src1_sel:DWORD
	buffer_store_dword v0, off, s[0:3], s33 offset:324 ; 4-byte Folded Spill
.LBB4_761:                              ;   in Loop: Header=BB4_137 Depth=3
	s_or_b64 exec, exec, s[26:27]
	v_mov_b32_e32 v2, v11
	v_cmp_ne_u16_sdwa s[94:95], v11, v3 src0_sel:BYTE_0 src1_sel:DWORD
	v_mov_b32_e32 v0, 0
	s_and_saveexec_b64 s[26:27], s[94:95]
	s_cbranch_execz .LBB4_767
; %bb.762:                              ;   in Loop: Header=BB4_137 Depth=3
	v_cmp_ne_u16_sdwa vcc, v11, s70 src0_sel:BYTE_0 src1_sel:DWORD
	v_bfrev_b32_e32 v0, 1
	s_and_saveexec_b64 s[94:95], vcc
	s_cbranch_execz .LBB4_766
; %bb.763:                              ;   in Loop: Header=BB4_137 Depth=3
	v_and_b32_e32 v1, 0x7f, v11
	v_cmp_ne_u32_e32 vcc, s68, v1
	v_mov_b32_e32 v0, 0x7f800001
	s_and_saveexec_b64 s[30:31], vcc
	s_cbranch_execz .LBB4_765
; %bb.764:                              ;   in Loop: Header=BB4_137 Depth=3
	v_and_b32_e32 v0, 7, v11
	v_ffbh_u32_e32 v0, v0
	v_min_u32_e32 v0, 32, v0
	v_lshrrev_b32_e32 v4, 3, v1
	v_cmp_gt_u32_e32 vcc, 8, v1
	v_subrev_u32_e32 v1, 28, v0
	v_sub_u32_e32 v0, 29, v0
	v_cndmask_b32_e32 v4, v4, v0, vcc
	v_cndmask_b32_e32 v0, 0, v1, vcc
	v_lshlrev_b64 v[0:1], v0, v[2:3]
	v_lshlrev_b32_e32 v1, 24, v2
	v_lshlrev_b32_e32 v0, 20, v0
	v_and_b32_e32 v0, 0x700000, v0
	v_and_b32_e32 v1, 0x80000000, v1
	v_lshl_add_u32 v4, v4, 23, v5
	v_or3_b32 v0, v1, v4, v0
.LBB4_765:                              ;   in Loop: Header=BB4_137 Depth=3
	s_or_b64 exec, exec, s[30:31]
.LBB4_766:                              ;   in Loop: Header=BB4_137 Depth=3
	s_or_b64 exec, exec, s[94:95]
.LBB4_767:                              ;   in Loop: Header=BB4_137 Depth=3
	s_or_b64 exec, exec, s[26:27]
	v_mul_f32_e32 v0, v60, v0
	v_and_b32_e32 v6, 0x7f800000, v0
	v_mov_b32_e32 v7, v3
	v_cmp_ne_u64_e32 vcc, s[62:63], v[6:7]
                                        ; implicit-def: $vgpr1
                                        ; kill: killed $vgpr1
	s_and_saveexec_b64 s[26:27], vcc
	s_xor_b64 s[94:95], exec, s[26:27]
	s_cbranch_execz .LBB4_781
; %bb.768:                              ;   in Loop: Header=BB4_137 Depth=3
	v_and_b32_e32 v6, 0x7fffffff, v0
	v_mov_b32_e32 v7, v3
	v_cmp_gt_u64_e32 vcc, s[72:73], v[6:7]
	v_and_b32_sdwa v4, v0, s70 dst_sel:DWORD dst_unused:UNUSED_PAD src0_sel:BYTE_3 src1_sel:DWORD
                                        ; implicit-def: $vgpr1
                                        ; kill: killed $vgpr1
	s_and_saveexec_b64 s[26:27], vcc
	s_xor_b64 s[30:31], exec, s[26:27]
	s_cbranch_execz .LBB4_778
; %bb.769:                              ;   in Loop: Header=BB4_137 Depth=3
	v_mov_b32_e32 v1, 0
	v_cmp_ne_u32_e32 vcc, 0, v0
	buffer_store_dword v1, off, s[0:3], s33 offset:328 ; 4-byte Folded Spill
	s_and_saveexec_b64 s[34:35], vcc
	s_cbranch_execz .LBB4_777
; %bb.770:                              ;   in Loop: Header=BB4_137 Depth=3
	v_bfe_u32 v1, v0, 23, 8
	v_and_b32_e32 v6, 0x7fffff, v0
	v_cmp_gt_u32_e64 s[26:27], s71, v1
	v_sub_u32_e32 v0, 0x79, v1
	v_cmp_eq_u32_e32 vcc, 0, v1
	v_cndmask_b32_e64 v0, 0, v0, s[26:27]
	v_mov_b32_e32 v8, 0x78
	v_cndmask_b32_e32 v0, v0, v8, vcc
	v_add_u32_e32 v8, 20, v0
	v_or_b32_e32 v7, 0x800000, v6
	v_lshlrev_b64 v[8:9], v8, -1
	v_add_u32_e32 v12, 19, v0
	v_cndmask_b32_e32 v6, v7, v6, vcc
	v_lshlrev_b64 v[12:13], v12, 1
	v_mov_b32_e32 v7, v3
	v_bfi_b32 v9, v9, 0, 0
	v_bfi_b32 v8, v8, 0, v6
	v_cmp_eq_u64_e64 s[26:27], v[8:9], v[12:13]
	v_lshrrev_b64 v[8:9], v0, v[6:7]
	v_mov_b32_e32 v47, v9
	v_mov_b32_e32 v46, v8
	s_and_saveexec_b64 s[36:37], s[26:27]
; %bb.771:                              ;   in Loop: Header=BB4_137 Depth=3
	v_bfe_u32 v6, v8, 20, 1
	v_add_co_u32_e64 v6, s[26:27], v8, v6
	v_add_co_u32_e64 v46, s[26:27], -1, v6
; %bb.772:                              ;   in Loop: Header=BB4_137 Depth=3
	s_or_b64 exec, exec, s[36:37]
	v_add_u32_e32 v1, 0xffffff81, v1
	v_mov_b32_e32 v6, 0xffffff82
	v_cndmask_b32_e32 v1, v1, v6, vcc
	v_lshrrev_b32_e32 v6, 23, v8
	v_add3_u32 v6, v0, v1, v6
	v_add_u32_e32 v1, 6, v6
	v_and_b32_e32 v0, 0xfffff, v46
	v_add_u32_e32 v8, v0, v8
	v_mov_b32_e32 v9, v3
	v_cmp_ne_u32_e32 vcc, 0, v1
                                        ; implicit-def: $vgpr0
	s_and_saveexec_b64 s[26:27], vcc
	s_xor_b64 s[26:27], exec, s[26:27]
; %bb.773:                              ;   in Loop: Header=BB4_137 Depth=3
	v_cmp_lt_u64_e32 vcc, s[74:75], v[8:9]
	v_add_u32_e32 v0, 7, v6
	v_cndmask_b32_e32 v0, v1, v0, vcc
	v_cndmask_b32_e64 v1, 0, 1, vcc
	v_lshrrev_b64 v[8:9], v1, v[8:9]
; %bb.774:                              ;   in Loop: Header=BB4_137 Depth=3
	s_andn2_saveexec_b64 s[26:27], s[26:27]
; %bb.775:                              ;   in Loop: Header=BB4_137 Depth=3
	v_bfe_u32 v0, v8, 23, 1
; %bb.776:                              ;   in Loop: Header=BB4_137 Depth=3
	s_or_b64 exec, exec, s[26:27]
	v_lshrrev_b64 v[6:7], 20, v[8:9]
	v_cmp_gt_i32_e32 vcc, 16, v0
	v_cndmask_b32_e32 v7, 0, v7, vcc
	v_cndmask_b32_e32 v6, 7, v6, vcc
	v_cmp_eq_u32_e32 vcc, 0, v0
	v_min_i32_e32 v0, 15, v0
	v_cmp_eq_u64_e64 s[26:27], 0, v[6:7]
	v_lshlrev_b32_e32 v0, 3, v0
	v_and_b32_e32 v0, 0xf8, v0
	v_and_or_b32 v0, v6, 7, v0
	s_and_b64 s[26:27], vcc, s[26:27]
	v_cndmask_b32_e64 v0, v0, 0, s[26:27]
	v_or_b32_e32 v0, v0, v4
	buffer_store_dword v0, off, s[0:3], s33 offset:328 ; 4-byte Folded Spill
.LBB4_777:                              ;   in Loop: Header=BB4_137 Depth=3
	s_or_b64 exec, exec, s[34:35]
                                        ; implicit-def: $vgpr4
.LBB4_778:                              ;   in Loop: Header=BB4_137 Depth=3
	s_andn2_saveexec_b64 s[26:27], s[30:31]
	s_cbranch_execz .LBB4_780
; %bb.779:                              ;   in Loop: Header=BB4_137 Depth=3
	v_or_b32_e32 v0, 0x7e, v4
	buffer_store_dword v0, off, s[0:3], s33 offset:328 ; 4-byte Folded Spill
.LBB4_780:                              ;   in Loop: Header=BB4_137 Depth=3
	s_or_b64 exec, exec, s[26:27]
                                        ; implicit-def: $vgpr0
.LBB4_781:                              ;   in Loop: Header=BB4_137 Depth=3
	s_andn2_saveexec_b64 s[26:27], s[94:95]
	s_cbranch_execz .LBB4_783
; %bb.782:                              ;   in Loop: Header=BB4_137 Depth=3
	v_or_b32_sdwa v0, v0, s68 dst_sel:DWORD dst_unused:UNUSED_PAD src0_sel:BYTE_3 src1_sel:DWORD
	buffer_store_dword v0, off, s[0:3], s33 offset:328 ; 4-byte Folded Spill
.LBB4_783:                              ;   in Loop: Header=BB4_137 Depth=3
	s_or_b64 exec, exec, s[26:27]
	v_lshrrev_b16_e32 v8, 8, v2
	v_cmp_ne_u16_e32 vcc, 0, v8
	v_mov_b32_e32 v0, 0
	s_and_saveexec_b64 s[26:27], vcc
	s_cbranch_execz .LBB4_789
; %bb.784:                              ;   in Loop: Header=BB4_137 Depth=3
	v_cmp_ne_u16_e32 vcc, s70, v8
	v_bfrev_b32_e32 v0, 1
	s_and_saveexec_b64 s[94:95], vcc
	s_cbranch_execz .LBB4_788
; %bb.785:                              ;   in Loop: Header=BB4_137 Depth=3
	v_and_b32_e32 v4, 0x7f, v8
	v_cmp_ne_u32_e32 vcc, s68, v4
	v_mov_b32_e32 v0, 0x7f800001
	s_and_saveexec_b64 s[30:31], vcc
	s_cbranch_execz .LBB4_787
; %bb.786:                              ;   in Loop: Header=BB4_137 Depth=3
	v_and_b32_e32 v0, 7, v8
	v_lshrrev_b32_e32 v1, 3, v4
	v_cmp_gt_u32_e32 vcc, 8, v4
	v_ffbh_u32_e32 v4, v0
	v_min_u32_e32 v4, 32, v4
	v_subrev_u32_e32 v6, 28, v4
	v_lshlrev_b64 v[6:7], v6, v[8:9]
	v_sub_u32_e32 v4, 29, v4
	v_and_b32_e32 v6, 7, v6
	v_cndmask_b32_e32 v1, v1, v4, vcc
	v_cndmask_b32_e32 v0, v0, v6, vcc
	v_lshlrev_b32_e32 v2, 16, v2
	v_lshlrev_b32_e32 v0, 20, v0
	v_and_b32_e32 v2, 0x80000000, v2
	v_lshl_add_u32 v1, v1, 23, v5
	v_or3_b32 v0, v2, v1, v0
.LBB4_787:                              ;   in Loop: Header=BB4_137 Depth=3
	s_or_b64 exec, exec, s[30:31]
.LBB4_788:                              ;   in Loop: Header=BB4_137 Depth=3
	s_or_b64 exec, exec, s[94:95]
.LBB4_789:                              ;   in Loop: Header=BB4_137 Depth=3
	s_or_b64 exec, exec, s[26:27]
	v_mul_f32_e32 v0, v60, v0
	v_and_b32_e32 v2, 0x7f800000, v0
	v_cmp_ne_u64_e32 vcc, s[62:63], v[2:3]
                                        ; implicit-def: $vgpr1
	s_and_saveexec_b64 s[26:27], vcc
	s_xor_b64 s[94:95], exec, s[26:27]
	s_cbranch_execz .LBB4_803
; %bb.790:                              ;   in Loop: Header=BB4_137 Depth=3
	v_and_b32_e32 v2, 0x7fffffff, v0
	v_cmp_gt_u64_e32 vcc, s[72:73], v[2:3]
	v_and_b32_sdwa v4, v0, s70 dst_sel:DWORD dst_unused:UNUSED_PAD src0_sel:BYTE_3 src1_sel:DWORD
                                        ; implicit-def: $vgpr1
	s_and_saveexec_b64 s[26:27], vcc
	s_xor_b64 s[30:31], exec, s[26:27]
	s_cbranch_execz .LBB4_800
; %bb.791:                              ;   in Loop: Header=BB4_137 Depth=3
	v_mov_b32_e32 v1, 0
	v_cmp_ne_u32_e32 vcc, 0, v0
	s_and_saveexec_b64 s[34:35], vcc
	s_cbranch_execz .LBB4_799
; %bb.792:                              ;   in Loop: Header=BB4_137 Depth=3
	v_bfe_u32 v6, v0, 23, 8
	v_and_b32_e32 v1, 0x7fffff, v0
	v_cmp_gt_u32_e64 s[26:27], s71, v6
	v_sub_u32_e32 v0, 0x79, v6
	v_cmp_eq_u32_e32 vcc, 0, v6
	v_cndmask_b32_e64 v0, 0, v0, s[26:27]
	v_mov_b32_e32 v7, 0x78
	v_or_b32_e32 v2, 0x800000, v1
	v_cndmask_b32_e32 v0, v0, v7, vcc
	v_cndmask_b32_e32 v2, v2, v1, vcc
	v_add_u32_e32 v1, 20, v0
	v_lshlrev_b64 v[7:8], v1, -1
	v_add_u32_e32 v1, 19, v0
	v_lshlrev_b64 v[12:13], v1, 1
	v_bfi_b32 v8, v8, 0, 0
	v_bfi_b32 v7, v7, 0, v2
	v_cmp_eq_u64_e64 s[26:27], v[7:8], v[12:13]
	v_lshrrev_b64 v[8:9], v0, v[2:3]
	v_mov_b32_e32 v47, v9
	v_mov_b32_e32 v46, v8
	s_and_saveexec_b64 s[36:37], s[26:27]
; %bb.793:                              ;   in Loop: Header=BB4_137 Depth=3
	v_bfe_u32 v1, v8, 20, 1
	v_add_co_u32_e64 v1, s[26:27], v8, v1
	v_add_co_u32_e64 v46, s[26:27], -1, v1
; %bb.794:                              ;   in Loop: Header=BB4_137 Depth=3
	s_or_b64 exec, exec, s[36:37]
	v_add_u32_e32 v1, 0xffffff81, v6
	v_mov_b32_e32 v2, 0xffffff82
	v_cndmask_b32_e32 v1, v1, v2, vcc
	v_lshrrev_b32_e32 v2, 23, v8
	v_add3_u32 v7, v0, v1, v2
	v_add_u32_e32 v6, 6, v7
	v_and_b32_e32 v0, 0xfffff, v46
	v_add_u32_e32 v2, v0, v8
	v_cmp_ne_u32_e32 vcc, 0, v6
                                        ; implicit-def: $vgpr8_vgpr9
                                        ; implicit-def: $vgpr0
	s_and_saveexec_b64 s[26:27], vcc
	s_xor_b64 s[26:27], exec, s[26:27]
; %bb.795:                              ;   in Loop: Header=BB4_137 Depth=3
	v_cmp_lt_u64_e32 vcc, s[74:75], v[2:3]
	v_add_u32_e32 v0, 7, v7
	v_cndmask_b32_e64 v1, 0, 1, vcc
	v_lshrrev_b64 v[8:9], v1, v[2:3]
	v_cndmask_b32_e32 v0, v6, v0, vcc
; %bb.796:                              ;   in Loop: Header=BB4_137 Depth=3
	s_andn2_saveexec_b64 s[26:27], s[26:27]
; %bb.797:                              ;   in Loop: Header=BB4_137 Depth=3
	v_mov_b32_e32 v9, v3
	v_bfe_u32 v0, v2, 23, 1
	v_mov_b32_e32 v8, v2
; %bb.798:                              ;   in Loop: Header=BB4_137 Depth=3
	s_or_b64 exec, exec, s[26:27]
	v_lshrrev_b64 v[6:7], 20, v[8:9]
	v_cmp_gt_i32_e32 vcc, 16, v0
	v_cndmask_b32_e32 v7, 0, v7, vcc
	v_cndmask_b32_e32 v6, 7, v6, vcc
	v_cmp_eq_u32_e32 vcc, 0, v0
	v_min_i32_e32 v0, 15, v0
	v_cmp_eq_u64_e64 s[26:27], 0, v[6:7]
	v_lshlrev_b32_e32 v0, 3, v0
	v_and_b32_e32 v0, 0xf8, v0
	v_and_or_b32 v0, v6, 7, v0
	s_and_b64 s[26:27], vcc, s[26:27]
	v_cndmask_b32_e64 v0, v0, 0, s[26:27]
	v_or_b32_e32 v1, v0, v4
.LBB4_799:                              ;   in Loop: Header=BB4_137 Depth=3
	s_or_b64 exec, exec, s[34:35]
                                        ; implicit-def: $vgpr4
.LBB4_800:                              ;   in Loop: Header=BB4_137 Depth=3
	s_andn2_saveexec_b64 s[26:27], s[30:31]
; %bb.801:                              ;   in Loop: Header=BB4_137 Depth=3
	v_or_b32_e32 v1, 0x7e, v4
; %bb.802:                              ;   in Loop: Header=BB4_137 Depth=3
	s_or_b64 exec, exec, s[26:27]
                                        ; implicit-def: $vgpr0
.LBB4_803:                              ;   in Loop: Header=BB4_137 Depth=3
	s_andn2_saveexec_b64 s[26:27], s[94:95]
; %bb.804:                              ;   in Loop: Header=BB4_137 Depth=3
	v_or_b32_sdwa v1, v0, s68 dst_sel:DWORD dst_unused:UNUSED_PAD src0_sel:BYTE_3 src1_sel:DWORD
; %bb.805:                              ;   in Loop: Header=BB4_137 Depth=3
	s_or_b64 exec, exec, s[26:27]
	v_lshrrev_b32_e32 v2, 16, v11
	v_cmp_ne_u16_sdwa s[94:95], v2, v3 src0_sel:BYTE_0 src1_sel:DWORD
	v_mov_b32_e32 v0, 0
	s_and_saveexec_b64 s[26:27], s[94:95]
	s_cbranch_execz .LBB4_811
; %bb.806:                              ;   in Loop: Header=BB4_137 Depth=3
	v_cmp_ne_u16_sdwa vcc, v2, s70 src0_sel:BYTE_0 src1_sel:DWORD
	v_bfrev_b32_e32 v0, 1
	s_and_saveexec_b64 s[94:95], vcc
	s_cbranch_execz .LBB4_810
; %bb.807:                              ;   in Loop: Header=BB4_137 Depth=3
	v_bfe_u32 v4, v11, 16, 7
	v_cmp_ne_u32_e32 vcc, s68, v4
	v_mov_b32_e32 v0, 0x7f800001
	s_and_saveexec_b64 s[30:31], vcc
	s_cbranch_execz .LBB4_809
; %bb.808:                              ;   in Loop: Header=BB4_137 Depth=3
	v_and_b32_e32 v0, 7, v2
	v_lshrrev_b32_e32 v8, 3, v4
	v_cmp_gt_u32_e32 vcc, 8, v4
	v_ffbh_u32_e32 v4, v0
	v_min_u32_e32 v4, 32, v4
	v_subrev_u32_e32 v6, 28, v4
	v_lshlrev_b64 v[6:7], v6, v[2:3]
	v_sub_u32_e32 v4, 29, v4
	v_and_b32_e32 v6, 7, v6
	v_cndmask_b32_e32 v4, v8, v4, vcc
	v_cndmask_b32_e32 v0, v0, v6, vcc
	v_lshlrev_b32_e32 v2, 24, v2
	v_lshlrev_b32_e32 v0, 20, v0
	v_and_b32_e32 v2, 0x80000000, v2
	v_lshl_add_u32 v4, v4, 23, v5
	v_or3_b32 v0, v2, v4, v0
.LBB4_809:                              ;   in Loop: Header=BB4_137 Depth=3
	s_or_b64 exec, exec, s[30:31]
.LBB4_810:                              ;   in Loop: Header=BB4_137 Depth=3
	s_or_b64 exec, exec, s[94:95]
.LBB4_811:                              ;   in Loop: Header=BB4_137 Depth=3
	s_or_b64 exec, exec, s[26:27]
	v_mul_f32_e32 v0, v60, v0
	v_and_b32_e32 v2, 0x7f800000, v0
	v_cmp_ne_u64_e32 vcc, s[62:63], v[2:3]
                                        ; implicit-def: $vgpr4
	s_and_saveexec_b64 s[26:27], vcc
	s_xor_b64 s[94:95], exec, s[26:27]
	s_cbranch_execz .LBB4_825
; %bb.812:                              ;   in Loop: Header=BB4_137 Depth=3
	v_and_b32_e32 v2, 0x7fffffff, v0
	v_cmp_gt_u64_e32 vcc, s[72:73], v[2:3]
	v_and_b32_sdwa v6, v0, s70 dst_sel:DWORD dst_unused:UNUSED_PAD src0_sel:BYTE_3 src1_sel:DWORD
                                        ; implicit-def: $vgpr4
	s_and_saveexec_b64 s[26:27], vcc
	s_xor_b64 s[30:31], exec, s[26:27]
	s_cbranch_execz .LBB4_822
; %bb.813:                              ;   in Loop: Header=BB4_137 Depth=3
	v_mov_b32_e32 v4, 0
	v_cmp_ne_u32_e32 vcc, 0, v0
	s_and_saveexec_b64 s[34:35], vcc
	s_cbranch_execz .LBB4_821
; %bb.814:                              ;   in Loop: Header=BB4_137 Depth=3
	v_bfe_u32 v4, v0, 23, 8
	v_and_b32_e32 v2, 0x7fffff, v0
	v_cmp_gt_u32_e64 s[26:27], s71, v4
	v_sub_u32_e32 v0, 0x79, v4
	v_cmp_eq_u32_e32 vcc, 0, v4
	v_cndmask_b32_e64 v0, 0, v0, s[26:27]
	v_mov_b32_e32 v8, 0x78
	v_or_b32_e32 v7, 0x800000, v2
	v_cndmask_b32_e32 v0, v0, v8, vcc
	v_cndmask_b32_e32 v2, v7, v2, vcc
	v_add_u32_e32 v7, 20, v0
	v_lshlrev_b64 v[7:8], v7, -1
	v_add_u32_e32 v9, 19, v0
	v_lshlrev_b64 v[12:13], v9, 1
	v_bfi_b32 v8, v8, 0, 0
	v_bfi_b32 v7, v7, 0, v2
	v_cmp_eq_u64_e64 s[26:27], v[7:8], v[12:13]
	v_lshrrev_b64 v[8:9], v0, v[2:3]
	v_mov_b32_e32 v47, v9
	v_mov_b32_e32 v46, v8
	s_and_saveexec_b64 s[36:37], s[26:27]
; %bb.815:                              ;   in Loop: Header=BB4_137 Depth=3
	v_bfe_u32 v2, v8, 20, 1
	v_add_co_u32_e64 v2, s[26:27], v8, v2
	v_add_co_u32_e64 v46, s[26:27], -1, v2
; %bb.816:                              ;   in Loop: Header=BB4_137 Depth=3
	s_or_b64 exec, exec, s[36:37]
	v_add_u32_e32 v2, 0xffffff81, v4
	v_mov_b32_e32 v4, 0xffffff82
	v_cndmask_b32_e32 v2, v2, v4, vcc
	v_lshrrev_b32_e32 v4, 23, v8
	v_add3_u32 v7, v0, v2, v4
	v_add_u32_e32 v4, 6, v7
	v_and_b32_e32 v0, 0xfffff, v46
	v_add_u32_e32 v2, v0, v8
	v_cmp_ne_u32_e32 vcc, 0, v4
                                        ; implicit-def: $vgpr8_vgpr9
                                        ; implicit-def: $vgpr0
	s_and_saveexec_b64 s[26:27], vcc
	s_xor_b64 s[26:27], exec, s[26:27]
; %bb.817:                              ;   in Loop: Header=BB4_137 Depth=3
	v_cmp_lt_u64_e32 vcc, s[74:75], v[2:3]
	v_add_u32_e32 v0, 7, v7
	v_cndmask_b32_e32 v0, v4, v0, vcc
	v_cndmask_b32_e64 v4, 0, 1, vcc
	v_lshrrev_b64 v[8:9], v4, v[2:3]
; %bb.818:                              ;   in Loop: Header=BB4_137 Depth=3
	s_andn2_saveexec_b64 s[26:27], s[26:27]
; %bb.819:                              ;   in Loop: Header=BB4_137 Depth=3
	v_mov_b32_e32 v9, v3
	v_bfe_u32 v0, v2, 23, 1
	v_mov_b32_e32 v8, v2
; %bb.820:                              ;   in Loop: Header=BB4_137 Depth=3
	s_or_b64 exec, exec, s[26:27]
	v_lshrrev_b64 v[7:8], 20, v[8:9]
	v_cmp_gt_i32_e32 vcc, 16, v0
	v_cndmask_b32_e32 v8, 0, v8, vcc
	v_cndmask_b32_e32 v7, 7, v7, vcc
	v_cmp_eq_u32_e32 vcc, 0, v0
	v_min_i32_e32 v0, 15, v0
	v_cmp_eq_u64_e64 s[26:27], 0, v[7:8]
	v_lshlrev_b32_e32 v0, 3, v0
	v_and_b32_e32 v0, 0xf8, v0
	v_and_or_b32 v0, v7, 7, v0
	s_and_b64 s[26:27], vcc, s[26:27]
	v_cndmask_b32_e64 v0, v0, 0, s[26:27]
	v_or_b32_e32 v4, v0, v6
.LBB4_821:                              ;   in Loop: Header=BB4_137 Depth=3
	s_or_b64 exec, exec, s[34:35]
                                        ; implicit-def: $vgpr6
.LBB4_822:                              ;   in Loop: Header=BB4_137 Depth=3
	s_andn2_saveexec_b64 s[26:27], s[30:31]
; %bb.823:                              ;   in Loop: Header=BB4_137 Depth=3
	v_or_b32_e32 v4, 0x7e, v6
; %bb.824:                              ;   in Loop: Header=BB4_137 Depth=3
	s_or_b64 exec, exec, s[26:27]
                                        ; implicit-def: $vgpr0
.LBB4_825:                              ;   in Loop: Header=BB4_137 Depth=3
	s_andn2_saveexec_b64 s[26:27], s[94:95]
; %bb.826:                              ;   in Loop: Header=BB4_137 Depth=3
	v_or_b32_sdwa v4, v0, s68 dst_sel:DWORD dst_unused:UNUSED_PAD src0_sel:BYTE_3 src1_sel:DWORD
; %bb.827:                              ;   in Loop: Header=BB4_137 Depth=3
	s_or_b64 exec, exec, s[26:27]
	v_cmp_lt_u64_e32 vcc, s[56:57], v[10:11]
	v_mov_b32_e32 v0, 0
	s_and_saveexec_b64 s[26:27], vcc
	s_cbranch_execz .LBB4_833
; %bb.828:                              ;   in Loop: Header=BB4_137 Depth=3
	v_lshrrev_b32_e32 v2, 24, v11
	v_cmp_ne_u32_e32 vcc, s70, v2
	v_bfrev_b32_e32 v0, 1
	s_and_saveexec_b64 s[94:95], vcc
	s_cbranch_execz .LBB4_832
; %bb.829:                              ;   in Loop: Header=BB4_137 Depth=3
	v_bfe_u32 v6, v11, 24, 7
	v_cmp_ne_u32_e32 vcc, s68, v6
	v_mov_b32_e32 v0, 0x7f800001
	s_and_saveexec_b64 s[30:31], vcc
	s_cbranch_execz .LBB4_831
; %bb.830:                              ;   in Loop: Header=BB4_137 Depth=3
	v_and_b32_e32 v0, 7, v2
	v_lshrrev_b32_e32 v8, 3, v6
	v_cmp_gt_u32_e32 vcc, 8, v6
	v_ffbh_u32_e32 v6, v0
	v_min_u32_e32 v9, 32, v6
	v_subrev_u32_e32 v6, 28, v9
	v_lshlrev_b64 v[6:7], v6, v[2:3]
	v_sub_u32_e32 v7, 29, v9
	v_and_b32_e32 v6, 7, v6
	v_cndmask_b32_e32 v7, v8, v7, vcc
	v_cndmask_b32_e32 v0, v0, v6, vcc
	v_lshlrev_b32_e32 v2, 24, v2
	v_lshlrev_b32_e32 v0, 20, v0
	v_and_b32_e32 v2, 0x80000000, v2
	v_lshl_add_u32 v6, v7, 23, v5
	v_or3_b32 v0, v2, v6, v0
.LBB4_831:                              ;   in Loop: Header=BB4_137 Depth=3
	s_or_b64 exec, exec, s[30:31]
.LBB4_832:                              ;   in Loop: Header=BB4_137 Depth=3
	s_or_b64 exec, exec, s[94:95]
.LBB4_833:                              ;   in Loop: Header=BB4_137 Depth=3
	s_or_b64 exec, exec, s[26:27]
	v_mul_f32_e32 v0, v60, v0
	v_and_b32_e32 v2, 0x7f800000, v0
	v_cmp_ne_u64_e32 vcc, s[62:63], v[2:3]
                                        ; implicit-def: $vgpr21
	s_and_saveexec_b64 s[26:27], vcc
	s_xor_b64 s[94:95], exec, s[26:27]
	s_cbranch_execz .LBB4_847
; %bb.834:                              ;   in Loop: Header=BB4_137 Depth=3
	v_and_b32_e32 v2, 0x7fffffff, v0
	v_cmp_gt_u64_e32 vcc, s[72:73], v[2:3]
	v_and_b32_sdwa v6, v0, s70 dst_sel:DWORD dst_unused:UNUSED_PAD src0_sel:BYTE_3 src1_sel:DWORD
                                        ; implicit-def: $vgpr21
	s_and_saveexec_b64 s[26:27], vcc
	s_xor_b64 s[30:31], exec, s[26:27]
	s_cbranch_execz .LBB4_844
; %bb.835:                              ;   in Loop: Header=BB4_137 Depth=3
	v_mov_b32_e32 v21, 0
	v_cmp_ne_u32_e32 vcc, 0, v0
	s_and_saveexec_b64 s[34:35], vcc
	s_cbranch_execz .LBB4_843
; %bb.836:                              ;   in Loop: Header=BB4_137 Depth=3
	v_bfe_u32 v7, v0, 23, 8
	v_and_b32_e32 v2, 0x7fffff, v0
	v_cmp_gt_u32_e64 s[26:27], s71, v7
	v_sub_u32_e32 v0, 0x79, v7
	v_cmp_eq_u32_e32 vcc, 0, v7
	v_cndmask_b32_e64 v0, 0, v0, s[26:27]
	v_mov_b32_e32 v9, 0x78
	v_or_b32_e32 v8, 0x800000, v2
	v_cndmask_b32_e32 v0, v0, v9, vcc
	v_cndmask_b32_e32 v2, v8, v2, vcc
	v_add_u32_e32 v8, 20, v0
	v_lshlrev_b64 v[8:9], v8, -1
	v_add_u32_e32 v10, 19, v0
	v_lshlrev_b64 v[10:11], v10, 1
	v_bfi_b32 v9, v9, 0, 0
	v_bfi_b32 v8, v8, 0, v2
	v_cmp_eq_u64_e64 s[26:27], v[8:9], v[10:11]
	v_lshrrev_b64 v[8:9], v0, v[2:3]
	v_mov_b32_e32 v10, v9
	v_mov_b32_e32 v9, v8
	s_and_saveexec_b64 s[36:37], s[26:27]
; %bb.837:                              ;   in Loop: Header=BB4_137 Depth=3
	v_bfe_u32 v2, v8, 20, 1
	v_add_co_u32_e64 v2, s[26:27], v8, v2
	v_add_co_u32_e64 v9, s[26:27], -1, v2
; %bb.838:                              ;   in Loop: Header=BB4_137 Depth=3
	s_or_b64 exec, exec, s[36:37]
	v_add_u32_e32 v2, 0xffffff81, v7
	v_mov_b32_e32 v7, 0xffffff82
	v_cndmask_b32_e32 v2, v2, v7, vcc
	v_lshrrev_b32_e32 v7, 23, v8
	v_add3_u32 v10, v0, v2, v7
	v_add_u32_e32 v7, 6, v10
	v_and_b32_e32 v0, 0xfffff, v9
	v_add_u32_e32 v2, v0, v8
	v_cmp_ne_u32_e32 vcc, 0, v7
                                        ; implicit-def: $vgpr8_vgpr9
                                        ; implicit-def: $vgpr0
	s_and_saveexec_b64 s[26:27], vcc
	s_xor_b64 s[26:27], exec, s[26:27]
; %bb.839:                              ;   in Loop: Header=BB4_137 Depth=3
	v_cmp_lt_u64_e32 vcc, s[74:75], v[2:3]
	v_add_u32_e32 v0, 7, v10
	v_cndmask_b32_e32 v0, v7, v0, vcc
	v_cndmask_b32_e64 v7, 0, 1, vcc
	v_lshrrev_b64 v[8:9], v7, v[2:3]
; %bb.840:                              ;   in Loop: Header=BB4_137 Depth=3
	s_andn2_saveexec_b64 s[26:27], s[26:27]
; %bb.841:                              ;   in Loop: Header=BB4_137 Depth=3
	v_mov_b32_e32 v9, v3
	v_bfe_u32 v0, v2, 23, 1
	v_mov_b32_e32 v8, v2
; %bb.842:                              ;   in Loop: Header=BB4_137 Depth=3
	s_or_b64 exec, exec, s[26:27]
	v_lshrrev_b64 v[7:8], 20, v[8:9]
	v_cmp_gt_i32_e32 vcc, 16, v0
	v_cndmask_b32_e32 v8, 0, v8, vcc
	v_cndmask_b32_e32 v7, 7, v7, vcc
	v_cmp_eq_u32_e32 vcc, 0, v0
	v_min_i32_e32 v0, 15, v0
	v_cmp_eq_u64_e64 s[26:27], 0, v[7:8]
	v_lshlrev_b32_e32 v0, 3, v0
	v_and_b32_e32 v0, 0xf8, v0
	v_and_or_b32 v0, v7, 7, v0
	s_and_b64 s[26:27], vcc, s[26:27]
	v_cndmask_b32_e64 v0, v0, 0, s[26:27]
	v_or_b32_e32 v21, v0, v6
.LBB4_843:                              ;   in Loop: Header=BB4_137 Depth=3
	s_or_b64 exec, exec, s[34:35]
                                        ; implicit-def: $vgpr6
.LBB4_844:                              ;   in Loop: Header=BB4_137 Depth=3
	s_andn2_saveexec_b64 s[26:27], s[30:31]
; %bb.845:                              ;   in Loop: Header=BB4_137 Depth=3
	v_or_b32_e32 v21, 0x7e, v6
; %bb.846:                              ;   in Loop: Header=BB4_137 Depth=3
	s_or_b64 exec, exec, s[26:27]
                                        ; implicit-def: $vgpr0
.LBB4_847:                              ;   in Loop: Header=BB4_137 Depth=3
	s_andn2_saveexec_b64 s[26:27], s[94:95]
; %bb.848:                              ;   in Loop: Header=BB4_137 Depth=3
	v_or_b32_sdwa v21, v0, s68 dst_sel:DWORD dst_unused:UNUSED_PAD src0_sel:BYTE_3 src1_sel:DWORD
; %bb.849:                              ;   in Loop: Header=BB4_137 Depth=3
	s_or_b64 exec, exec, s[26:27]
	global_load_dwordx4 v[8:11], v[44:45], off offset:2048 glc slc
	v_mov_b32_e32 v0, 0
	s_waitcnt vmcnt(0)
	v_cmp_ne_u16_sdwa s[94:95], v8, v3 src0_sel:BYTE_0 src1_sel:DWORD
	s_and_saveexec_b64 s[26:27], s[94:95]
	s_cbranch_execz .LBB4_855
; %bb.850:                              ;   in Loop: Header=BB4_137 Depth=3
	v_cmp_ne_u16_sdwa vcc, v8, s70 src0_sel:BYTE_0 src1_sel:DWORD
	v_bfrev_b32_e32 v0, 1
	s_and_saveexec_b64 s[94:95], vcc
	s_cbranch_execz .LBB4_854
; %bb.851:                              ;   in Loop: Header=BB4_137 Depth=3
	v_and_b32_e32 v2, 0x7f, v8
	v_cmp_ne_u32_e32 vcc, s68, v2
	v_mov_b32_e32 v0, 0x7f800001
	s_and_saveexec_b64 s[30:31], vcc
	s_cbranch_execz .LBB4_853
; %bb.852:                              ;   in Loop: Header=BB4_137 Depth=3
	v_and_b32_e32 v0, 7, v8
	v_ffbh_u32_e32 v0, v0
	v_min_u32_e32 v0, 32, v0
	v_lshrrev_b32_e32 v6, 3, v2
	v_cmp_gt_u32_e32 vcc, 8, v2
	v_subrev_u32_e32 v2, 28, v0
	v_sub_u32_e32 v0, 29, v0
	v_cndmask_b32_e32 v2, 0, v2, vcc
	v_cndmask_b32_e32 v0, v6, v0, vcc
	v_lshlrev_b64 v[6:7], v2, v[8:9]
	v_lshl_add_u32 v0, v0, 23, v5
	v_lshlrev_b32_e32 v2, 20, v6
	v_lshlrev_b32_e32 v6, 24, v8
	v_and_b32_e32 v2, 0x700000, v2
	v_and_b32_e32 v6, 0x80000000, v6
	v_or3_b32 v0, v6, v0, v2
.LBB4_853:                              ;   in Loop: Header=BB4_137 Depth=3
	s_or_b64 exec, exec, s[30:31]
.LBB4_854:                              ;   in Loop: Header=BB4_137 Depth=3
	s_or_b64 exec, exec, s[94:95]
.LBB4_855:                              ;   in Loop: Header=BB4_137 Depth=3
	s_or_b64 exec, exec, s[26:27]
	v_mul_f32_e32 v0, v60, v0
	v_and_b32_e32 v2, 0x7f800000, v0
	v_cmp_ne_u64_e32 vcc, s[62:63], v[2:3]
                                        ; implicit-def: $vgpr17
	s_and_saveexec_b64 s[26:27], vcc
	s_xor_b64 s[94:95], exec, s[26:27]
	s_cbranch_execz .LBB4_869
; %bb.856:                              ;   in Loop: Header=BB4_137 Depth=3
	v_and_b32_e32 v2, 0x7fffffff, v0
	v_cmp_gt_u64_e32 vcc, s[72:73], v[2:3]
	v_and_b32_sdwa v6, v0, s70 dst_sel:DWORD dst_unused:UNUSED_PAD src0_sel:BYTE_3 src1_sel:DWORD
                                        ; implicit-def: $vgpr17
	s_and_saveexec_b64 s[26:27], vcc
	s_xor_b64 s[30:31], exec, s[26:27]
	s_cbranch_execz .LBB4_866
; %bb.857:                              ;   in Loop: Header=BB4_137 Depth=3
	v_mov_b32_e32 v17, 0
	v_cmp_ne_u32_e32 vcc, 0, v0
	s_and_saveexec_b64 s[34:35], vcc
	s_cbranch_execz .LBB4_865
; %bb.858:                              ;   in Loop: Header=BB4_137 Depth=3
	v_bfe_u32 v7, v0, 23, 8
	v_and_b32_e32 v2, 0x7fffff, v0
	v_cmp_gt_u32_e64 s[26:27], s71, v7
	v_sub_u32_e32 v0, 0x79, v7
	v_cmp_eq_u32_e32 vcc, 0, v7
	v_cndmask_b32_e64 v0, 0, v0, s[26:27]
	v_mov_b32_e32 v13, 0x78
	v_or_b32_e32 v12, 0x800000, v2
	v_cndmask_b32_e32 v0, v0, v13, vcc
	v_cndmask_b32_e32 v2, v12, v2, vcc
	v_add_u32_e32 v12, 20, v0
	v_lshlrev_b64 v[12:13], v12, -1
	v_add_u32_e32 v14, 19, v0
	v_lshlrev_b64 v[14:15], v14, 1
	v_lshrrev_b64 v[46:47], v0, v[2:3]
	v_bfi_b32 v13, v13, 0, 0
	v_bfi_b32 v12, v12, 0, v2
	v_cmp_eq_u64_e64 s[26:27], v[12:13], v[14:15]
	v_mov_b32_e32 v57, v47
	v_mov_b32_e32 v56, v46
	s_and_saveexec_b64 s[36:37], s[26:27]
; %bb.859:                              ;   in Loop: Header=BB4_137 Depth=3
	v_bfe_u32 v2, v46, 20, 1
	v_add_co_u32_e64 v2, s[26:27], v46, v2
	v_add_co_u32_e64 v56, s[26:27], -1, v2
; %bb.860:                              ;   in Loop: Header=BB4_137 Depth=3
	s_or_b64 exec, exec, s[36:37]
	v_add_u32_e32 v2, 0xffffff81, v7
	v_mov_b32_e32 v7, 0xffffff82
	v_cndmask_b32_e32 v2, v2, v7, vcc
	v_lshrrev_b32_e32 v7, 23, v46
	v_add3_u32 v12, v0, v2, v7
	v_add_u32_e32 v7, 6, v12
	v_and_b32_e32 v0, 0xfffff, v56
	v_add_u32_e32 v2, v0, v46
	v_cmp_ne_u32_e32 vcc, 0, v7
                                        ; implicit-def: $vgpr46_vgpr47
                                        ; implicit-def: $vgpr0
	s_and_saveexec_b64 s[26:27], vcc
	s_xor_b64 s[26:27], exec, s[26:27]
; %bb.861:                              ;   in Loop: Header=BB4_137 Depth=3
	v_cmp_lt_u64_e32 vcc, s[74:75], v[2:3]
	v_add_u32_e32 v0, 7, v12
	v_cndmask_b32_e32 v0, v7, v0, vcc
	v_cndmask_b32_e64 v7, 0, 1, vcc
	v_lshrrev_b64 v[46:47], v7, v[2:3]
; %bb.862:                              ;   in Loop: Header=BB4_137 Depth=3
	s_andn2_saveexec_b64 s[26:27], s[26:27]
; %bb.863:                              ;   in Loop: Header=BB4_137 Depth=3
	v_mov_b32_e32 v47, v3
	v_bfe_u32 v0, v2, 23, 1
	v_mov_b32_e32 v46, v2
; %bb.864:                              ;   in Loop: Header=BB4_137 Depth=3
	s_or_b64 exec, exec, s[26:27]
	v_lshrrev_b64 v[12:13], 20, v[46:47]
	v_cmp_gt_i32_e32 vcc, 16, v0
	v_cndmask_b32_e32 v13, 0, v13, vcc
	v_cndmask_b32_e32 v12, 7, v12, vcc
	v_cmp_eq_u32_e32 vcc, 0, v0
	v_min_i32_e32 v0, 15, v0
	v_cmp_eq_u64_e64 s[26:27], 0, v[12:13]
	v_lshlrev_b32_e32 v0, 3, v0
	v_and_b32_e32 v0, 0xf8, v0
	v_and_or_b32 v0, v12, 7, v0
	s_and_b64 s[26:27], vcc, s[26:27]
	v_cndmask_b32_e64 v0, v0, 0, s[26:27]
	v_or_b32_e32 v17, v0, v6
.LBB4_865:                              ;   in Loop: Header=BB4_137 Depth=3
	s_or_b64 exec, exec, s[34:35]
                                        ; implicit-def: $vgpr6
.LBB4_866:                              ;   in Loop: Header=BB4_137 Depth=3
	s_andn2_saveexec_b64 s[26:27], s[30:31]
; %bb.867:                              ;   in Loop: Header=BB4_137 Depth=3
	v_or_b32_e32 v17, 0x7e, v6
; %bb.868:                              ;   in Loop: Header=BB4_137 Depth=3
	s_or_b64 exec, exec, s[26:27]
                                        ; implicit-def: $vgpr0
.LBB4_869:                              ;   in Loop: Header=BB4_137 Depth=3
	s_andn2_saveexec_b64 s[26:27], s[94:95]
; %bb.870:                              ;   in Loop: Header=BB4_137 Depth=3
	v_or_b32_sdwa v17, v0, s68 dst_sel:DWORD dst_unused:UNUSED_PAD src0_sel:BYTE_3 src1_sel:DWORD
; %bb.871:                              ;   in Loop: Header=BB4_137 Depth=3
	s_or_b64 exec, exec, s[26:27]
	v_lshrrev_b16_e32 v2, 8, v8
	v_cmp_ne_u16_e32 vcc, 0, v2
	v_mov_b32_e32 v0, 0
	s_and_saveexec_b64 s[26:27], vcc
	s_cbranch_execz .LBB4_877
; %bb.872:                              ;   in Loop: Header=BB4_137 Depth=3
	v_cmp_ne_u16_e32 vcc, s70, v2
	v_bfrev_b32_e32 v0, 1
	s_and_saveexec_b64 s[94:95], vcc
	s_cbranch_execz .LBB4_876
; %bb.873:                              ;   in Loop: Header=BB4_137 Depth=3
	v_and_b32_e32 v6, 0x7f, v2
	v_cmp_ne_u32_e32 vcc, s68, v6
	v_mov_b32_e32 v0, 0x7f800001
	s_and_saveexec_b64 s[30:31], vcc
	s_cbranch_execz .LBB4_875
; %bb.874:                              ;   in Loop: Header=BB4_137 Depth=3
	v_and_b32_e32 v0, 7, v2
	v_lshrrev_b32_e32 v12, 3, v6
	v_cmp_gt_u32_e32 vcc, 8, v6
	v_ffbh_u32_e32 v6, v0
	v_min_u32_e32 v13, 32, v6
	v_subrev_u32_e32 v6, 28, v13
	v_lshlrev_b64 v[6:7], v6, v[2:3]
	v_sub_u32_e32 v2, 29, v13
	v_and_b32_e32 v6, 7, v6
	v_cndmask_b32_e32 v2, v12, v2, vcc
	v_cndmask_b32_e32 v0, v0, v6, vcc
	v_lshlrev_b32_e32 v6, 16, v8
	v_lshlrev_b32_e32 v0, 20, v0
	v_and_b32_e32 v6, 0x80000000, v6
	v_lshl_add_u32 v2, v2, 23, v5
	v_or3_b32 v0, v6, v2, v0
.LBB4_875:                              ;   in Loop: Header=BB4_137 Depth=3
	s_or_b64 exec, exec, s[30:31]
.LBB4_876:                              ;   in Loop: Header=BB4_137 Depth=3
	s_or_b64 exec, exec, s[94:95]
.LBB4_877:                              ;   in Loop: Header=BB4_137 Depth=3
	s_or_b64 exec, exec, s[26:27]
	v_mul_f32_e32 v0, v60, v0
	v_and_b32_e32 v2, 0x7f800000, v0
	v_cmp_ne_u64_e32 vcc, s[62:63], v[2:3]
                                        ; implicit-def: $vgpr30
	s_and_saveexec_b64 s[26:27], vcc
	s_xor_b64 s[94:95], exec, s[26:27]
	s_cbranch_execz .LBB4_891
; %bb.878:                              ;   in Loop: Header=BB4_137 Depth=3
	v_and_b32_e32 v2, 0x7fffffff, v0
	v_cmp_gt_u64_e32 vcc, s[72:73], v[2:3]
	v_and_b32_sdwa v6, v0, s70 dst_sel:DWORD dst_unused:UNUSED_PAD src0_sel:BYTE_3 src1_sel:DWORD
                                        ; implicit-def: $vgpr30
	s_and_saveexec_b64 s[26:27], vcc
	s_xor_b64 s[30:31], exec, s[26:27]
	s_cbranch_execz .LBB4_888
; %bb.879:                              ;   in Loop: Header=BB4_137 Depth=3
	v_mov_b32_e32 v30, 0
	v_cmp_ne_u32_e32 vcc, 0, v0
	s_and_saveexec_b64 s[34:35], vcc
	s_cbranch_execz .LBB4_887
; %bb.880:                              ;   in Loop: Header=BB4_137 Depth=3
	v_bfe_u32 v7, v0, 23, 8
	v_and_b32_e32 v2, 0x7fffff, v0
	v_cmp_gt_u32_e64 s[26:27], s71, v7
	v_sub_u32_e32 v0, 0x79, v7
	v_cmp_eq_u32_e32 vcc, 0, v7
	v_cndmask_b32_e64 v0, 0, v0, s[26:27]
	v_mov_b32_e32 v13, 0x78
	v_or_b32_e32 v12, 0x800000, v2
	v_cndmask_b32_e32 v0, v0, v13, vcc
	v_cndmask_b32_e32 v2, v12, v2, vcc
	v_add_u32_e32 v12, 20, v0
	v_lshlrev_b64 v[12:13], v12, -1
	v_add_u32_e32 v14, 19, v0
	v_lshlrev_b64 v[14:15], v14, 1
	v_lshrrev_b64 v[46:47], v0, v[2:3]
	v_bfi_b32 v13, v13, 0, 0
	v_bfi_b32 v12, v12, 0, v2
	v_cmp_eq_u64_e64 s[26:27], v[12:13], v[14:15]
	v_mov_b32_e32 v57, v47
	v_mov_b32_e32 v56, v46
	s_and_saveexec_b64 s[36:37], s[26:27]
; %bb.881:                              ;   in Loop: Header=BB4_137 Depth=3
	v_bfe_u32 v2, v46, 20, 1
	v_add_co_u32_e64 v2, s[26:27], v46, v2
	v_add_co_u32_e64 v56, s[26:27], -1, v2
; %bb.882:                              ;   in Loop: Header=BB4_137 Depth=3
	s_or_b64 exec, exec, s[36:37]
	v_add_u32_e32 v2, 0xffffff81, v7
	v_mov_b32_e32 v7, 0xffffff82
	v_cndmask_b32_e32 v2, v2, v7, vcc
	v_lshrrev_b32_e32 v7, 23, v46
	v_add3_u32 v12, v0, v2, v7
	v_add_u32_e32 v7, 6, v12
	v_and_b32_e32 v0, 0xfffff, v56
	v_add_u32_e32 v2, v0, v46
	v_cmp_ne_u32_e32 vcc, 0, v7
                                        ; implicit-def: $vgpr46_vgpr47
                                        ; implicit-def: $vgpr0
	s_and_saveexec_b64 s[26:27], vcc
	s_xor_b64 s[26:27], exec, s[26:27]
; %bb.883:                              ;   in Loop: Header=BB4_137 Depth=3
	v_cmp_lt_u64_e32 vcc, s[74:75], v[2:3]
	v_add_u32_e32 v0, 7, v12
	v_cndmask_b32_e32 v0, v7, v0, vcc
	v_cndmask_b32_e64 v7, 0, 1, vcc
	v_lshrrev_b64 v[46:47], v7, v[2:3]
; %bb.884:                              ;   in Loop: Header=BB4_137 Depth=3
	s_andn2_saveexec_b64 s[26:27], s[26:27]
; %bb.885:                              ;   in Loop: Header=BB4_137 Depth=3
	v_mov_b32_e32 v47, v3
	v_bfe_u32 v0, v2, 23, 1
	v_mov_b32_e32 v46, v2
; %bb.886:                              ;   in Loop: Header=BB4_137 Depth=3
	s_or_b64 exec, exec, s[26:27]
	v_lshrrev_b64 v[12:13], 20, v[46:47]
	v_cmp_gt_i32_e32 vcc, 16, v0
	v_cndmask_b32_e32 v13, 0, v13, vcc
	v_cndmask_b32_e32 v12, 7, v12, vcc
	v_cmp_eq_u32_e32 vcc, 0, v0
	v_min_i32_e32 v0, 15, v0
	v_cmp_eq_u64_e64 s[26:27], 0, v[12:13]
	v_lshlrev_b32_e32 v0, 3, v0
	v_and_b32_e32 v0, 0xf8, v0
	v_and_or_b32 v0, v12, 7, v0
	s_and_b64 s[26:27], vcc, s[26:27]
	v_cndmask_b32_e64 v0, v0, 0, s[26:27]
	v_or_b32_e32 v30, v0, v6
.LBB4_887:                              ;   in Loop: Header=BB4_137 Depth=3
	s_or_b64 exec, exec, s[34:35]
                                        ; implicit-def: $vgpr6
.LBB4_888:                              ;   in Loop: Header=BB4_137 Depth=3
	s_andn2_saveexec_b64 s[26:27], s[30:31]
; %bb.889:                              ;   in Loop: Header=BB4_137 Depth=3
	v_or_b32_e32 v30, 0x7e, v6
; %bb.890:                              ;   in Loop: Header=BB4_137 Depth=3
	s_or_b64 exec, exec, s[26:27]
                                        ; implicit-def: $vgpr0
.LBB4_891:                              ;   in Loop: Header=BB4_137 Depth=3
	s_andn2_saveexec_b64 s[26:27], s[94:95]
; %bb.892:                              ;   in Loop: Header=BB4_137 Depth=3
	v_or_b32_sdwa v30, v0, s68 dst_sel:DWORD dst_unused:UNUSED_PAD src0_sel:BYTE_3 src1_sel:DWORD
; %bb.893:                              ;   in Loop: Header=BB4_137 Depth=3
	s_or_b64 exec, exec, s[26:27]
	v_lshrrev_b32_e32 v2, 16, v8
	v_cmp_ne_u16_sdwa s[94:95], v2, v3 src0_sel:BYTE_0 src1_sel:DWORD
	v_mov_b32_e32 v0, 0
	s_and_saveexec_b64 s[26:27], s[94:95]
	s_cbranch_execz .LBB4_899
; %bb.894:                              ;   in Loop: Header=BB4_137 Depth=3
	v_cmp_ne_u16_sdwa vcc, v2, s70 src0_sel:BYTE_0 src1_sel:DWORD
	v_bfrev_b32_e32 v0, 1
	s_and_saveexec_b64 s[94:95], vcc
	s_cbranch_execz .LBB4_898
; %bb.895:                              ;   in Loop: Header=BB4_137 Depth=3
	v_bfe_u32 v6, v8, 16, 7
	v_cmp_ne_u32_e32 vcc, s68, v6
	v_mov_b32_e32 v0, 0x7f800001
	s_and_saveexec_b64 s[30:31], vcc
	s_cbranch_execz .LBB4_897
; %bb.896:                              ;   in Loop: Header=BB4_137 Depth=3
	v_and_b32_e32 v0, 7, v2
	v_lshrrev_b32_e32 v12, 3, v6
	v_cmp_gt_u32_e32 vcc, 8, v6
	v_ffbh_u32_e32 v6, v0
	v_min_u32_e32 v13, 32, v6
	v_subrev_u32_e32 v6, 28, v13
	v_lshlrev_b64 v[6:7], v6, v[2:3]
	v_sub_u32_e32 v7, 29, v13
	v_and_b32_e32 v6, 7, v6
	v_cndmask_b32_e32 v7, v12, v7, vcc
	v_cndmask_b32_e32 v0, v0, v6, vcc
	v_lshlrev_b32_e32 v2, 24, v2
	v_lshlrev_b32_e32 v0, 20, v0
	v_and_b32_e32 v2, 0x80000000, v2
	v_lshl_add_u32 v6, v7, 23, v5
	v_or3_b32 v0, v2, v6, v0
.LBB4_897:                              ;   in Loop: Header=BB4_137 Depth=3
	s_or_b64 exec, exec, s[30:31]
.LBB4_898:                              ;   in Loop: Header=BB4_137 Depth=3
	s_or_b64 exec, exec, s[94:95]
.LBB4_899:                              ;   in Loop: Header=BB4_137 Depth=3
	s_or_b64 exec, exec, s[26:27]
	v_mul_f32_e32 v0, v60, v0
	v_and_b32_e32 v2, 0x7f800000, v0
	v_cmp_ne_u64_e32 vcc, s[62:63], v[2:3]
                                        ; implicit-def: $vgpr28
	s_and_saveexec_b64 s[26:27], vcc
	s_xor_b64 s[94:95], exec, s[26:27]
	s_cbranch_execz .LBB4_913
; %bb.900:                              ;   in Loop: Header=BB4_137 Depth=3
	v_and_b32_e32 v2, 0x7fffffff, v0
	v_cmp_gt_u64_e32 vcc, s[72:73], v[2:3]
	v_and_b32_sdwa v6, v0, s70 dst_sel:DWORD dst_unused:UNUSED_PAD src0_sel:BYTE_3 src1_sel:DWORD
                                        ; implicit-def: $vgpr28
	s_and_saveexec_b64 s[26:27], vcc
	s_xor_b64 s[30:31], exec, s[26:27]
	s_cbranch_execz .LBB4_910
; %bb.901:                              ;   in Loop: Header=BB4_137 Depth=3
	v_mov_b32_e32 v28, 0
	v_cmp_ne_u32_e32 vcc, 0, v0
	s_and_saveexec_b64 s[34:35], vcc
	s_cbranch_execz .LBB4_909
; %bb.902:                              ;   in Loop: Header=BB4_137 Depth=3
	v_bfe_u32 v7, v0, 23, 8
	v_and_b32_e32 v2, 0x7fffff, v0
	v_cmp_gt_u32_e64 s[26:27], s71, v7
	v_sub_u32_e32 v0, 0x79, v7
	v_cmp_eq_u32_e32 vcc, 0, v7
	v_cndmask_b32_e64 v0, 0, v0, s[26:27]
	v_mov_b32_e32 v13, 0x78
	v_or_b32_e32 v12, 0x800000, v2
	v_cndmask_b32_e32 v0, v0, v13, vcc
	v_cndmask_b32_e32 v2, v12, v2, vcc
	v_add_u32_e32 v12, 20, v0
	v_lshlrev_b64 v[12:13], v12, -1
	v_add_u32_e32 v14, 19, v0
	v_lshlrev_b64 v[14:15], v14, 1
	v_lshrrev_b64 v[46:47], v0, v[2:3]
	v_bfi_b32 v13, v13, 0, 0
	v_bfi_b32 v12, v12, 0, v2
	v_cmp_eq_u64_e64 s[26:27], v[12:13], v[14:15]
	v_mov_b32_e32 v57, v47
	v_mov_b32_e32 v56, v46
	s_and_saveexec_b64 s[36:37], s[26:27]
; %bb.903:                              ;   in Loop: Header=BB4_137 Depth=3
	v_bfe_u32 v2, v46, 20, 1
	v_add_co_u32_e64 v2, s[26:27], v46, v2
	v_add_co_u32_e64 v56, s[26:27], -1, v2
; %bb.904:                              ;   in Loop: Header=BB4_137 Depth=3
	s_or_b64 exec, exec, s[36:37]
	v_add_u32_e32 v2, 0xffffff81, v7
	v_mov_b32_e32 v7, 0xffffff82
	v_cndmask_b32_e32 v2, v2, v7, vcc
	v_lshrrev_b32_e32 v7, 23, v46
	v_add3_u32 v12, v0, v2, v7
	v_add_u32_e32 v7, 6, v12
	v_and_b32_e32 v0, 0xfffff, v56
	v_add_u32_e32 v2, v0, v46
	v_cmp_ne_u32_e32 vcc, 0, v7
                                        ; implicit-def: $vgpr46_vgpr47
                                        ; implicit-def: $vgpr0
	s_and_saveexec_b64 s[26:27], vcc
	s_xor_b64 s[26:27], exec, s[26:27]
; %bb.905:                              ;   in Loop: Header=BB4_137 Depth=3
	v_cmp_lt_u64_e32 vcc, s[74:75], v[2:3]
	v_add_u32_e32 v0, 7, v12
	v_cndmask_b32_e32 v0, v7, v0, vcc
	v_cndmask_b32_e64 v7, 0, 1, vcc
	v_lshrrev_b64 v[46:47], v7, v[2:3]
; %bb.906:                              ;   in Loop: Header=BB4_137 Depth=3
	s_andn2_saveexec_b64 s[26:27], s[26:27]
; %bb.907:                              ;   in Loop: Header=BB4_137 Depth=3
	v_mov_b32_e32 v47, v3
	v_bfe_u32 v0, v2, 23, 1
	v_mov_b32_e32 v46, v2
; %bb.908:                              ;   in Loop: Header=BB4_137 Depth=3
	s_or_b64 exec, exec, s[26:27]
	v_lshrrev_b64 v[12:13], 20, v[46:47]
	v_cmp_gt_i32_e32 vcc, 16, v0
	v_cndmask_b32_e32 v13, 0, v13, vcc
	v_cndmask_b32_e32 v12, 7, v12, vcc
	v_cmp_eq_u32_e32 vcc, 0, v0
	v_min_i32_e32 v0, 15, v0
	v_cmp_eq_u64_e64 s[26:27], 0, v[12:13]
	v_lshlrev_b32_e32 v0, 3, v0
	v_and_b32_e32 v0, 0xf8, v0
	v_and_or_b32 v0, v12, 7, v0
	s_and_b64 s[26:27], vcc, s[26:27]
	v_cndmask_b32_e64 v0, v0, 0, s[26:27]
	v_or_b32_e32 v28, v0, v6
.LBB4_909:                              ;   in Loop: Header=BB4_137 Depth=3
	s_or_b64 exec, exec, s[34:35]
                                        ; implicit-def: $vgpr6
.LBB4_910:                              ;   in Loop: Header=BB4_137 Depth=3
	s_andn2_saveexec_b64 s[26:27], s[30:31]
; %bb.911:                              ;   in Loop: Header=BB4_137 Depth=3
	v_or_b32_e32 v28, 0x7e, v6
; %bb.912:                              ;   in Loop: Header=BB4_137 Depth=3
	s_or_b64 exec, exec, s[26:27]
                                        ; implicit-def: $vgpr0
.LBB4_913:                              ;   in Loop: Header=BB4_137 Depth=3
	s_andn2_saveexec_b64 s[26:27], s[94:95]
; %bb.914:                              ;   in Loop: Header=BB4_137 Depth=3
	v_or_b32_sdwa v28, v0, s68 dst_sel:DWORD dst_unused:UNUSED_PAD src0_sel:BYTE_3 src1_sel:DWORD
; %bb.915:                              ;   in Loop: Header=BB4_137 Depth=3
	s_or_b64 exec, exec, s[26:27]
	v_cmp_lt_u32_e32 vcc, s57, v8
	v_mov_b32_e32 v0, 0
	s_and_saveexec_b64 s[26:27], vcc
	s_cbranch_execz .LBB4_921
; %bb.916:                              ;   in Loop: Header=BB4_137 Depth=3
	v_lshrrev_b32_e32 v2, 24, v8
	v_cmp_ne_u32_e32 vcc, s70, v2
	v_bfrev_b32_e32 v0, 1
	s_and_saveexec_b64 s[94:95], vcc
	s_cbranch_execz .LBB4_920
; %bb.917:                              ;   in Loop: Header=BB4_137 Depth=3
	v_bfe_u32 v6, v8, 24, 7
	v_cmp_ne_u32_e32 vcc, s68, v6
	v_mov_b32_e32 v0, 0x7f800001
	s_and_saveexec_b64 s[30:31], vcc
	s_cbranch_execz .LBB4_919
; %bb.918:                              ;   in Loop: Header=BB4_137 Depth=3
	v_and_b32_e32 v0, 7, v2
	v_lshrrev_b32_e32 v12, 3, v6
	v_cmp_gt_u32_e32 vcc, 8, v6
	v_ffbh_u32_e32 v6, v0
	v_min_u32_e32 v13, 32, v6
	v_subrev_u32_e32 v6, 28, v13
	v_lshlrev_b64 v[6:7], v6, v[2:3]
	v_sub_u32_e32 v7, 29, v13
	v_and_b32_e32 v6, 7, v6
	v_cndmask_b32_e32 v7, v12, v7, vcc
	v_cndmask_b32_e32 v0, v0, v6, vcc
	v_lshlrev_b32_e32 v2, 24, v2
	v_lshlrev_b32_e32 v0, 20, v0
	v_and_b32_e32 v2, 0x80000000, v2
	v_lshl_add_u32 v6, v7, 23, v5
	v_or3_b32 v0, v2, v6, v0
.LBB4_919:                              ;   in Loop: Header=BB4_137 Depth=3
	s_or_b64 exec, exec, s[30:31]
.LBB4_920:                              ;   in Loop: Header=BB4_137 Depth=3
	s_or_b64 exec, exec, s[94:95]
.LBB4_921:                              ;   in Loop: Header=BB4_137 Depth=3
	s_or_b64 exec, exec, s[26:27]
	v_mul_f32_e32 v0, v60, v0
	v_and_b32_e32 v2, 0x7f800000, v0
	v_cmp_ne_u64_e32 vcc, s[62:63], v[2:3]
                                        ; implicit-def: $vgpr29
	s_and_saveexec_b64 s[26:27], vcc
	s_xor_b64 s[94:95], exec, s[26:27]
	s_cbranch_execz .LBB4_935
; %bb.922:                              ;   in Loop: Header=BB4_137 Depth=3
	v_and_b32_e32 v2, 0x7fffffff, v0
	v_cmp_gt_u64_e32 vcc, s[72:73], v[2:3]
	v_and_b32_sdwa v6, v0, s70 dst_sel:DWORD dst_unused:UNUSED_PAD src0_sel:BYTE_3 src1_sel:DWORD
                                        ; implicit-def: $vgpr29
	s_and_saveexec_b64 s[26:27], vcc
	s_xor_b64 s[30:31], exec, s[26:27]
	s_cbranch_execz .LBB4_932
; %bb.923:                              ;   in Loop: Header=BB4_137 Depth=3
	v_mov_b32_e32 v29, 0
	v_cmp_ne_u32_e32 vcc, 0, v0
	s_and_saveexec_b64 s[34:35], vcc
	s_cbranch_execz .LBB4_931
; %bb.924:                              ;   in Loop: Header=BB4_137 Depth=3
	v_bfe_u32 v7, v0, 23, 8
	v_and_b32_e32 v2, 0x7fffff, v0
	v_cmp_gt_u32_e64 s[26:27], s71, v7
	v_sub_u32_e32 v0, 0x79, v7
	v_cmp_eq_u32_e32 vcc, 0, v7
	v_cndmask_b32_e64 v0, 0, v0, s[26:27]
	v_mov_b32_e32 v13, 0x78
	v_or_b32_e32 v12, 0x800000, v2
	v_cndmask_b32_e32 v0, v0, v13, vcc
	v_cndmask_b32_e32 v2, v12, v2, vcc
	v_add_u32_e32 v12, 20, v0
	v_lshlrev_b64 v[12:13], v12, -1
	v_add_u32_e32 v14, 19, v0
	v_lshlrev_b64 v[14:15], v14, 1
	v_lshrrev_b64 v[46:47], v0, v[2:3]
	v_bfi_b32 v13, v13, 0, 0
	v_bfi_b32 v12, v12, 0, v2
	v_cmp_eq_u64_e64 s[26:27], v[12:13], v[14:15]
	v_mov_b32_e32 v57, v47
	v_mov_b32_e32 v56, v46
	s_and_saveexec_b64 s[36:37], s[26:27]
; %bb.925:                              ;   in Loop: Header=BB4_137 Depth=3
	v_bfe_u32 v2, v46, 20, 1
	v_add_co_u32_e64 v2, s[26:27], v46, v2
	v_add_co_u32_e64 v56, s[26:27], -1, v2
; %bb.926:                              ;   in Loop: Header=BB4_137 Depth=3
	s_or_b64 exec, exec, s[36:37]
	v_add_u32_e32 v2, 0xffffff81, v7
	v_mov_b32_e32 v7, 0xffffff82
	v_cndmask_b32_e32 v2, v2, v7, vcc
	v_lshrrev_b32_e32 v7, 23, v46
	v_add3_u32 v12, v0, v2, v7
	v_add_u32_e32 v7, 6, v12
	v_and_b32_e32 v0, 0xfffff, v56
	v_add_u32_e32 v2, v0, v46
	v_cmp_ne_u32_e32 vcc, 0, v7
                                        ; implicit-def: $vgpr46_vgpr47
                                        ; implicit-def: $vgpr0
	s_and_saveexec_b64 s[26:27], vcc
	s_xor_b64 s[26:27], exec, s[26:27]
; %bb.927:                              ;   in Loop: Header=BB4_137 Depth=3
	v_cmp_lt_u64_e32 vcc, s[74:75], v[2:3]
	v_add_u32_e32 v0, 7, v12
	v_cndmask_b32_e32 v0, v7, v0, vcc
	v_cndmask_b32_e64 v7, 0, 1, vcc
	v_lshrrev_b64 v[46:47], v7, v[2:3]
; %bb.928:                              ;   in Loop: Header=BB4_137 Depth=3
	s_andn2_saveexec_b64 s[26:27], s[26:27]
; %bb.929:                              ;   in Loop: Header=BB4_137 Depth=3
	v_mov_b32_e32 v47, v3
	v_bfe_u32 v0, v2, 23, 1
	v_mov_b32_e32 v46, v2
; %bb.930:                              ;   in Loop: Header=BB4_137 Depth=3
	s_or_b64 exec, exec, s[26:27]
	v_lshrrev_b64 v[12:13], 20, v[46:47]
	v_cmp_gt_i32_e32 vcc, 16, v0
	v_cndmask_b32_e32 v13, 0, v13, vcc
	v_cndmask_b32_e32 v12, 7, v12, vcc
	v_cmp_eq_u32_e32 vcc, 0, v0
	v_min_i32_e32 v0, 15, v0
	v_cmp_eq_u64_e64 s[26:27], 0, v[12:13]
	v_lshlrev_b32_e32 v0, 3, v0
	v_and_b32_e32 v0, 0xf8, v0
	v_and_or_b32 v0, v12, 7, v0
	s_and_b64 s[26:27], vcc, s[26:27]
	v_cndmask_b32_e64 v0, v0, 0, s[26:27]
	v_or_b32_e32 v29, v0, v6
.LBB4_931:                              ;   in Loop: Header=BB4_137 Depth=3
	s_or_b64 exec, exec, s[34:35]
                                        ; implicit-def: $vgpr6
.LBB4_932:                              ;   in Loop: Header=BB4_137 Depth=3
	s_andn2_saveexec_b64 s[26:27], s[30:31]
; %bb.933:                              ;   in Loop: Header=BB4_137 Depth=3
	v_or_b32_e32 v29, 0x7e, v6
; %bb.934:                              ;   in Loop: Header=BB4_137 Depth=3
	s_or_b64 exec, exec, s[26:27]
                                        ; implicit-def: $vgpr0
.LBB4_935:                              ;   in Loop: Header=BB4_137 Depth=3
	s_andn2_saveexec_b64 s[26:27], s[94:95]
; %bb.936:                              ;   in Loop: Header=BB4_137 Depth=3
	v_or_b32_sdwa v29, v0, s68 dst_sel:DWORD dst_unused:UNUSED_PAD src0_sel:BYTE_3 src1_sel:DWORD
; %bb.937:                              ;   in Loop: Header=BB4_137 Depth=3
	s_or_b64 exec, exec, s[26:27]
	v_mov_b32_e32 v2, v9
	v_cmp_ne_u16_sdwa s[94:95], v9, v3 src0_sel:BYTE_0 src1_sel:DWORD
	v_mov_b32_e32 v0, 0
	s_and_saveexec_b64 s[26:27], s[94:95]
	s_cbranch_execz .LBB4_943
; %bb.938:                              ;   in Loop: Header=BB4_137 Depth=3
	v_cmp_ne_u16_sdwa vcc, v9, s70 src0_sel:BYTE_0 src1_sel:DWORD
	v_bfrev_b32_e32 v0, 1
	s_and_saveexec_b64 s[94:95], vcc
	s_cbranch_execz .LBB4_942
; %bb.939:                              ;   in Loop: Header=BB4_137 Depth=3
	v_and_b32_e32 v6, 0x7f, v9
	v_cmp_ne_u32_e32 vcc, s68, v6
	v_mov_b32_e32 v0, 0x7f800001
	s_and_saveexec_b64 s[30:31], vcc
	s_cbranch_execz .LBB4_941
; %bb.940:                              ;   in Loop: Header=BB4_137 Depth=3
	v_and_b32_e32 v0, 7, v9
	v_ffbh_u32_e32 v0, v0
	v_min_u32_e32 v0, 32, v0
	v_lshrrev_b32_e32 v7, 3, v6
	v_cmp_gt_u32_e32 vcc, 8, v6
	v_subrev_u32_e32 v6, 28, v0
	v_sub_u32_e32 v0, 29, v0
	v_cndmask_b32_e32 v6, 0, v6, vcc
	v_cndmask_b32_e32 v0, v7, v0, vcc
	v_lshlrev_b64 v[6:7], v6, v[2:3]
	v_lshlrev_b32_e32 v7, 24, v2
	v_lshlrev_b32_e32 v6, 20, v6
	v_and_b32_e32 v6, 0x700000, v6
	v_and_b32_e32 v7, 0x80000000, v7
	v_lshl_add_u32 v0, v0, 23, v5
	v_or3_b32 v0, v7, v0, v6
.LBB4_941:                              ;   in Loop: Header=BB4_137 Depth=3
	s_or_b64 exec, exec, s[30:31]
.LBB4_942:                              ;   in Loop: Header=BB4_137 Depth=3
	s_or_b64 exec, exec, s[94:95]
.LBB4_943:                              ;   in Loop: Header=BB4_137 Depth=3
	s_or_b64 exec, exec, s[26:27]
	v_mul_f32_e32 v0, v60, v0
	v_and_b32_e32 v6, 0x7f800000, v0
	v_mov_b32_e32 v7, v3
	v_cmp_ne_u64_e32 vcc, s[62:63], v[6:7]
                                        ; implicit-def: $vgpr34
	s_and_saveexec_b64 s[26:27], vcc
	s_xor_b64 s[94:95], exec, s[26:27]
	s_cbranch_execz .LBB4_957
; %bb.944:                              ;   in Loop: Header=BB4_137 Depth=3
	v_and_b32_e32 v6, 0x7fffffff, v0
	v_mov_b32_e32 v7, v3
	v_cmp_gt_u64_e32 vcc, s[72:73], v[6:7]
	v_and_b32_sdwa v6, v0, s70 dst_sel:DWORD dst_unused:UNUSED_PAD src0_sel:BYTE_3 src1_sel:DWORD
                                        ; implicit-def: $vgpr34
	s_and_saveexec_b64 s[26:27], vcc
	s_xor_b64 s[30:31], exec, s[26:27]
	s_cbranch_execz .LBB4_954
; %bb.945:                              ;   in Loop: Header=BB4_137 Depth=3
	v_mov_b32_e32 v34, 0
	v_cmp_ne_u32_e32 vcc, 0, v0
	s_and_saveexec_b64 s[34:35], vcc
	s_cbranch_execz .LBB4_953
; %bb.946:                              ;   in Loop: Header=BB4_137 Depth=3
	v_bfe_u32 v7, v0, 23, 8
	v_and_b32_e32 v12, 0x7fffff, v0
	v_cmp_gt_u32_e64 s[26:27], s71, v7
	v_sub_u32_e32 v0, 0x79, v7
	v_cmp_eq_u32_e32 vcc, 0, v7
	v_cndmask_b32_e64 v0, 0, v0, s[26:27]
	v_mov_b32_e32 v14, 0x78
	v_cndmask_b32_e32 v0, v0, v14, vcc
	v_or_b32_e32 v13, 0x800000, v12
	v_add_u32_e32 v14, 20, v0
	v_cndmask_b32_e32 v12, v13, v12, vcc
	v_mov_b32_e32 v13, v3
	v_lshlrev_b64 v[14:15], v14, -1
	v_add_u32_e32 v16, 19, v0
	v_lshlrev_b64 v[26:27], v16, 1
	v_lshrrev_b64 v[46:47], v0, v[12:13]
	v_bfi_b32 v15, v15, 0, 0
	v_bfi_b32 v14, v14, 0, v12
	v_cmp_eq_u64_e64 s[26:27], v[14:15], v[26:27]
	v_mov_b32_e32 v57, v47
	v_mov_b32_e32 v56, v46
	s_and_saveexec_b64 s[36:37], s[26:27]
; %bb.947:                              ;   in Loop: Header=BB4_137 Depth=3
	v_bfe_u32 v12, v46, 20, 1
	v_add_co_u32_e64 v12, s[26:27], v46, v12
	v_add_co_u32_e64 v56, s[26:27], -1, v12
; %bb.948:                              ;   in Loop: Header=BB4_137 Depth=3
	s_or_b64 exec, exec, s[36:37]
	v_add_u32_e32 v7, 0xffffff81, v7
	v_mov_b32_e32 v12, 0xffffff82
	v_cndmask_b32_e32 v7, v7, v12, vcc
	v_lshrrev_b32_e32 v12, 23, v46
	v_add3_u32 v12, v0, v7, v12
	v_add_u32_e32 v7, 6, v12
	v_and_b32_e32 v0, 0xfffff, v56
	v_add_u32_e32 v46, v0, v46
	v_mov_b32_e32 v47, v3
	v_cmp_ne_u32_e32 vcc, 0, v7
                                        ; implicit-def: $vgpr0
	s_and_saveexec_b64 s[26:27], vcc
	s_xor_b64 s[26:27], exec, s[26:27]
; %bb.949:                              ;   in Loop: Header=BB4_137 Depth=3
	v_cmp_lt_u64_e32 vcc, s[74:75], v[46:47]
	v_add_u32_e32 v0, 7, v12
	v_cndmask_b32_e32 v0, v7, v0, vcc
	v_cndmask_b32_e64 v7, 0, 1, vcc
	v_lshrrev_b64 v[46:47], v7, v[46:47]
; %bb.950:                              ;   in Loop: Header=BB4_137 Depth=3
	s_andn2_saveexec_b64 s[26:27], s[26:27]
; %bb.951:                              ;   in Loop: Header=BB4_137 Depth=3
	v_bfe_u32 v0, v46, 23, 1
; %bb.952:                              ;   in Loop: Header=BB4_137 Depth=3
	s_or_b64 exec, exec, s[26:27]
	v_lshrrev_b64 v[12:13], 20, v[46:47]
	v_cmp_gt_i32_e32 vcc, 16, v0
	v_cndmask_b32_e32 v13, 0, v13, vcc
	v_cndmask_b32_e32 v12, 7, v12, vcc
	v_cmp_eq_u32_e32 vcc, 0, v0
	v_min_i32_e32 v0, 15, v0
	v_cmp_eq_u64_e64 s[26:27], 0, v[12:13]
	v_lshlrev_b32_e32 v0, 3, v0
	v_and_b32_e32 v0, 0xf8, v0
	v_and_or_b32 v0, v12, 7, v0
	s_and_b64 s[26:27], vcc, s[26:27]
	v_cndmask_b32_e64 v0, v0, 0, s[26:27]
	v_or_b32_e32 v34, v0, v6
.LBB4_953:                              ;   in Loop: Header=BB4_137 Depth=3
	s_or_b64 exec, exec, s[34:35]
                                        ; implicit-def: $vgpr6
.LBB4_954:                              ;   in Loop: Header=BB4_137 Depth=3
	s_andn2_saveexec_b64 s[26:27], s[30:31]
; %bb.955:                              ;   in Loop: Header=BB4_137 Depth=3
	v_or_b32_e32 v34, 0x7e, v6
; %bb.956:                              ;   in Loop: Header=BB4_137 Depth=3
	s_or_b64 exec, exec, s[26:27]
                                        ; implicit-def: $vgpr0
.LBB4_957:                              ;   in Loop: Header=BB4_137 Depth=3
	s_andn2_saveexec_b64 s[26:27], s[94:95]
; %bb.958:                              ;   in Loop: Header=BB4_137 Depth=3
	v_or_b32_sdwa v34, v0, s68 dst_sel:DWORD dst_unused:UNUSED_PAD src0_sel:BYTE_3 src1_sel:DWORD
; %bb.959:                              ;   in Loop: Header=BB4_137 Depth=3
	s_or_b64 exec, exec, s[26:27]
	v_lshrrev_b16_e32 v13, 8, v2
	v_cmp_ne_u16_e32 vcc, 0, v13
	v_mov_b32_e32 v0, 0
	s_and_saveexec_b64 s[26:27], vcc
	s_cbranch_execz .LBB4_965
; %bb.960:                              ;   in Loop: Header=BB4_137 Depth=3
	v_cmp_ne_u16_e32 vcc, s70, v13
	v_bfrev_b32_e32 v0, 1
	s_and_saveexec_b64 s[94:95], vcc
	s_cbranch_execz .LBB4_964
; %bb.961:                              ;   in Loop: Header=BB4_137 Depth=3
	v_and_b32_e32 v6, 0x7f, v13
	v_cmp_ne_u32_e32 vcc, s68, v6
	v_mov_b32_e32 v0, 0x7f800001
	s_and_saveexec_b64 s[30:31], vcc
	s_cbranch_execz .LBB4_963
; %bb.962:                              ;   in Loop: Header=BB4_137 Depth=3
	v_and_b32_e32 v0, 7, v13
	v_lshrrev_b32_e32 v12, 3, v6
	v_cmp_gt_u32_e32 vcc, 8, v6
	v_ffbh_u32_e32 v6, v0
	v_min_u32_e32 v14, 32, v6
	v_subrev_u32_e32 v6, 28, v14
	v_lshlrev_b64 v[6:7], v6, v[13:14]
	v_sub_u32_e32 v7, 29, v14
	v_and_b32_e32 v6, 7, v6
	v_cndmask_b32_e32 v7, v12, v7, vcc
	v_cndmask_b32_e32 v0, v0, v6, vcc
	v_lshlrev_b32_e32 v2, 16, v2
	v_lshlrev_b32_e32 v0, 20, v0
	v_and_b32_e32 v2, 0x80000000, v2
	v_lshl_add_u32 v6, v7, 23, v5
	v_or3_b32 v0, v2, v6, v0
.LBB4_963:                              ;   in Loop: Header=BB4_137 Depth=3
	s_or_b64 exec, exec, s[30:31]
.LBB4_964:                              ;   in Loop: Header=BB4_137 Depth=3
	s_or_b64 exec, exec, s[94:95]
.LBB4_965:                              ;   in Loop: Header=BB4_137 Depth=3
	s_or_b64 exec, exec, s[26:27]
	v_mul_f32_e32 v0, v60, v0
	v_and_b32_e32 v2, 0x7f800000, v0
	v_cmp_ne_u64_e32 vcc, s[62:63], v[2:3]
                                        ; implicit-def: $vgpr36
	s_and_saveexec_b64 s[26:27], vcc
	s_xor_b64 s[94:95], exec, s[26:27]
	s_cbranch_execz .LBB4_979
; %bb.966:                              ;   in Loop: Header=BB4_137 Depth=3
	v_and_b32_e32 v2, 0x7fffffff, v0
	v_cmp_gt_u64_e32 vcc, s[72:73], v[2:3]
	v_and_b32_sdwa v6, v0, s70 dst_sel:DWORD dst_unused:UNUSED_PAD src0_sel:BYTE_3 src1_sel:DWORD
                                        ; implicit-def: $vgpr36
	s_and_saveexec_b64 s[26:27], vcc
	s_xor_b64 s[30:31], exec, s[26:27]
	s_cbranch_execz .LBB4_976
; %bb.967:                              ;   in Loop: Header=BB4_137 Depth=3
	v_mov_b32_e32 v36, 0
	v_cmp_ne_u32_e32 vcc, 0, v0
	s_and_saveexec_b64 s[34:35], vcc
	s_cbranch_execz .LBB4_975
; %bb.968:                              ;   in Loop: Header=BB4_137 Depth=3
	v_bfe_u32 v7, v0, 23, 8
	v_and_b32_e32 v2, 0x7fffff, v0
	v_cmp_gt_u32_e64 s[26:27], s71, v7
	v_sub_u32_e32 v0, 0x79, v7
	v_cmp_eq_u32_e32 vcc, 0, v7
	v_cndmask_b32_e64 v0, 0, v0, s[26:27]
	v_mov_b32_e32 v13, 0x78
	v_or_b32_e32 v12, 0x800000, v2
	v_cndmask_b32_e32 v0, v0, v13, vcc
	v_cndmask_b32_e32 v2, v12, v2, vcc
	v_add_u32_e32 v12, 20, v0
	v_lshlrev_b64 v[12:13], v12, -1
	v_add_u32_e32 v14, 19, v0
	v_lshlrev_b64 v[14:15], v14, 1
	v_lshrrev_b64 v[46:47], v0, v[2:3]
	v_bfi_b32 v13, v13, 0, 0
	v_bfi_b32 v12, v12, 0, v2
	v_cmp_eq_u64_e64 s[26:27], v[12:13], v[14:15]
	v_mov_b32_e32 v57, v47
	v_mov_b32_e32 v56, v46
	s_and_saveexec_b64 s[36:37], s[26:27]
; %bb.969:                              ;   in Loop: Header=BB4_137 Depth=3
	v_bfe_u32 v2, v46, 20, 1
	v_add_co_u32_e64 v2, s[26:27], v46, v2
	v_add_co_u32_e64 v56, s[26:27], -1, v2
; %bb.970:                              ;   in Loop: Header=BB4_137 Depth=3
	s_or_b64 exec, exec, s[36:37]
	v_add_u32_e32 v2, 0xffffff81, v7
	v_mov_b32_e32 v7, 0xffffff82
	v_cndmask_b32_e32 v2, v2, v7, vcc
	v_lshrrev_b32_e32 v7, 23, v46
	v_add3_u32 v12, v0, v2, v7
	v_add_u32_e32 v7, 6, v12
	v_and_b32_e32 v0, 0xfffff, v56
	v_add_u32_e32 v2, v0, v46
	v_cmp_ne_u32_e32 vcc, 0, v7
                                        ; implicit-def: $vgpr46_vgpr47
                                        ; implicit-def: $vgpr0
	s_and_saveexec_b64 s[26:27], vcc
	s_xor_b64 s[26:27], exec, s[26:27]
; %bb.971:                              ;   in Loop: Header=BB4_137 Depth=3
	v_cmp_lt_u64_e32 vcc, s[74:75], v[2:3]
	v_add_u32_e32 v0, 7, v12
	v_cndmask_b32_e32 v0, v7, v0, vcc
	v_cndmask_b32_e64 v7, 0, 1, vcc
	v_lshrrev_b64 v[46:47], v7, v[2:3]
; %bb.972:                              ;   in Loop: Header=BB4_137 Depth=3
	s_andn2_saveexec_b64 s[26:27], s[26:27]
; %bb.973:                              ;   in Loop: Header=BB4_137 Depth=3
	v_mov_b32_e32 v47, v3
	v_bfe_u32 v0, v2, 23, 1
	v_mov_b32_e32 v46, v2
; %bb.974:                              ;   in Loop: Header=BB4_137 Depth=3
	s_or_b64 exec, exec, s[26:27]
	v_lshrrev_b64 v[12:13], 20, v[46:47]
	v_cmp_gt_i32_e32 vcc, 16, v0
	v_cndmask_b32_e32 v13, 0, v13, vcc
	v_cndmask_b32_e32 v12, 7, v12, vcc
	v_cmp_eq_u32_e32 vcc, 0, v0
	v_min_i32_e32 v0, 15, v0
	v_cmp_eq_u64_e64 s[26:27], 0, v[12:13]
	v_lshlrev_b32_e32 v0, 3, v0
	v_and_b32_e32 v0, 0xf8, v0
	v_and_or_b32 v0, v12, 7, v0
	s_and_b64 s[26:27], vcc, s[26:27]
	v_cndmask_b32_e64 v0, v0, 0, s[26:27]
	v_or_b32_e32 v36, v0, v6
.LBB4_975:                              ;   in Loop: Header=BB4_137 Depth=3
	s_or_b64 exec, exec, s[34:35]
                                        ; implicit-def: $vgpr6
.LBB4_976:                              ;   in Loop: Header=BB4_137 Depth=3
	s_andn2_saveexec_b64 s[26:27], s[30:31]
; %bb.977:                              ;   in Loop: Header=BB4_137 Depth=3
	v_or_b32_e32 v36, 0x7e, v6
; %bb.978:                              ;   in Loop: Header=BB4_137 Depth=3
	s_or_b64 exec, exec, s[26:27]
                                        ; implicit-def: $vgpr0
.LBB4_979:                              ;   in Loop: Header=BB4_137 Depth=3
	s_andn2_saveexec_b64 s[26:27], s[94:95]
; %bb.980:                              ;   in Loop: Header=BB4_137 Depth=3
	v_or_b32_sdwa v36, v0, s68 dst_sel:DWORD dst_unused:UNUSED_PAD src0_sel:BYTE_3 src1_sel:DWORD
; %bb.981:                              ;   in Loop: Header=BB4_137 Depth=3
	s_or_b64 exec, exec, s[26:27]
	v_lshrrev_b32_e32 v2, 16, v9
	v_cmp_ne_u16_sdwa s[94:95], v2, v3 src0_sel:BYTE_0 src1_sel:DWORD
	v_mov_b32_e32 v0, 0
	s_and_saveexec_b64 s[26:27], s[94:95]
	s_cbranch_execz .LBB4_987
; %bb.982:                              ;   in Loop: Header=BB4_137 Depth=3
	v_cmp_ne_u16_sdwa vcc, v2, s70 src0_sel:BYTE_0 src1_sel:DWORD
	v_bfrev_b32_e32 v0, 1
	s_and_saveexec_b64 s[94:95], vcc
	s_cbranch_execz .LBB4_986
; %bb.983:                              ;   in Loop: Header=BB4_137 Depth=3
	v_bfe_u32 v6, v9, 16, 7
	v_cmp_ne_u32_e32 vcc, s68, v6
	v_mov_b32_e32 v0, 0x7f800001
	s_and_saveexec_b64 s[30:31], vcc
	s_cbranch_execz .LBB4_985
; %bb.984:                              ;   in Loop: Header=BB4_137 Depth=3
	v_and_b32_e32 v0, 7, v2
	v_lshrrev_b32_e32 v12, 3, v6
	v_cmp_gt_u32_e32 vcc, 8, v6
	v_ffbh_u32_e32 v6, v0
	v_min_u32_e32 v13, 32, v6
	v_subrev_u32_e32 v6, 28, v13
	v_lshlrev_b64 v[6:7], v6, v[2:3]
	v_sub_u32_e32 v7, 29, v13
	v_and_b32_e32 v6, 7, v6
	v_cndmask_b32_e32 v7, v12, v7, vcc
	v_cndmask_b32_e32 v0, v0, v6, vcc
	v_lshlrev_b32_e32 v2, 24, v2
	v_lshlrev_b32_e32 v0, 20, v0
	v_and_b32_e32 v2, 0x80000000, v2
	v_lshl_add_u32 v6, v7, 23, v5
	v_or3_b32 v0, v2, v6, v0
.LBB4_985:                              ;   in Loop: Header=BB4_137 Depth=3
	s_or_b64 exec, exec, s[30:31]
.LBB4_986:                              ;   in Loop: Header=BB4_137 Depth=3
	s_or_b64 exec, exec, s[94:95]
.LBB4_987:                              ;   in Loop: Header=BB4_137 Depth=3
	s_or_b64 exec, exec, s[26:27]
	v_mul_f32_e32 v0, v60, v0
	v_and_b32_e32 v2, 0x7f800000, v0
	v_cmp_ne_u64_e32 vcc, s[62:63], v[2:3]
                                        ; implicit-def: $vgpr37
	s_and_saveexec_b64 s[26:27], vcc
	s_xor_b64 s[94:95], exec, s[26:27]
	s_cbranch_execz .LBB4_1001
; %bb.988:                              ;   in Loop: Header=BB4_137 Depth=3
	v_and_b32_e32 v2, 0x7fffffff, v0
	v_cmp_gt_u64_e32 vcc, s[72:73], v[2:3]
	v_and_b32_sdwa v6, v0, s70 dst_sel:DWORD dst_unused:UNUSED_PAD src0_sel:BYTE_3 src1_sel:DWORD
                                        ; implicit-def: $vgpr37
	s_and_saveexec_b64 s[26:27], vcc
	s_xor_b64 s[30:31], exec, s[26:27]
	s_cbranch_execz .LBB4_998
; %bb.989:                              ;   in Loop: Header=BB4_137 Depth=3
	v_mov_b32_e32 v37, 0
	v_cmp_ne_u32_e32 vcc, 0, v0
	s_and_saveexec_b64 s[34:35], vcc
	s_cbranch_execz .LBB4_997
; %bb.990:                              ;   in Loop: Header=BB4_137 Depth=3
	v_bfe_u32 v7, v0, 23, 8
	v_and_b32_e32 v2, 0x7fffff, v0
	v_cmp_gt_u32_e64 s[26:27], s71, v7
	v_sub_u32_e32 v0, 0x79, v7
	v_cmp_eq_u32_e32 vcc, 0, v7
	v_cndmask_b32_e64 v0, 0, v0, s[26:27]
	v_mov_b32_e32 v13, 0x78
	v_or_b32_e32 v12, 0x800000, v2
	v_cndmask_b32_e32 v0, v0, v13, vcc
	v_cndmask_b32_e32 v2, v12, v2, vcc
	v_add_u32_e32 v12, 20, v0
	v_lshlrev_b64 v[12:13], v12, -1
	v_add_u32_e32 v14, 19, v0
	v_lshlrev_b64 v[14:15], v14, 1
	v_lshrrev_b64 v[46:47], v0, v[2:3]
	v_bfi_b32 v13, v13, 0, 0
	v_bfi_b32 v12, v12, 0, v2
	v_cmp_eq_u64_e64 s[26:27], v[12:13], v[14:15]
	v_mov_b32_e32 v57, v47
	v_mov_b32_e32 v56, v46
	s_and_saveexec_b64 s[36:37], s[26:27]
; %bb.991:                              ;   in Loop: Header=BB4_137 Depth=3
	v_bfe_u32 v2, v46, 20, 1
	v_add_co_u32_e64 v2, s[26:27], v46, v2
	v_add_co_u32_e64 v56, s[26:27], -1, v2
; %bb.992:                              ;   in Loop: Header=BB4_137 Depth=3
	s_or_b64 exec, exec, s[36:37]
	v_add_u32_e32 v2, 0xffffff81, v7
	v_mov_b32_e32 v7, 0xffffff82
	v_cndmask_b32_e32 v2, v2, v7, vcc
	v_lshrrev_b32_e32 v7, 23, v46
	v_add3_u32 v12, v0, v2, v7
	v_add_u32_e32 v7, 6, v12
	v_and_b32_e32 v0, 0xfffff, v56
	v_add_u32_e32 v2, v0, v46
	v_cmp_ne_u32_e32 vcc, 0, v7
                                        ; implicit-def: $vgpr46_vgpr47
                                        ; implicit-def: $vgpr0
	s_and_saveexec_b64 s[26:27], vcc
	s_xor_b64 s[26:27], exec, s[26:27]
; %bb.993:                              ;   in Loop: Header=BB4_137 Depth=3
	v_cmp_lt_u64_e32 vcc, s[74:75], v[2:3]
	v_add_u32_e32 v0, 7, v12
	v_cndmask_b32_e32 v0, v7, v0, vcc
	v_cndmask_b32_e64 v7, 0, 1, vcc
	v_lshrrev_b64 v[46:47], v7, v[2:3]
; %bb.994:                              ;   in Loop: Header=BB4_137 Depth=3
	s_andn2_saveexec_b64 s[26:27], s[26:27]
; %bb.995:                              ;   in Loop: Header=BB4_137 Depth=3
	v_mov_b32_e32 v47, v3
	v_bfe_u32 v0, v2, 23, 1
	v_mov_b32_e32 v46, v2
; %bb.996:                              ;   in Loop: Header=BB4_137 Depth=3
	s_or_b64 exec, exec, s[26:27]
	v_lshrrev_b64 v[12:13], 20, v[46:47]
	v_cmp_gt_i32_e32 vcc, 16, v0
	v_cndmask_b32_e32 v13, 0, v13, vcc
	v_cndmask_b32_e32 v12, 7, v12, vcc
	v_cmp_eq_u32_e32 vcc, 0, v0
	v_min_i32_e32 v0, 15, v0
	v_cmp_eq_u64_e64 s[26:27], 0, v[12:13]
	v_lshlrev_b32_e32 v0, 3, v0
	v_and_b32_e32 v0, 0xf8, v0
	v_and_or_b32 v0, v12, 7, v0
	s_and_b64 s[26:27], vcc, s[26:27]
	v_cndmask_b32_e64 v0, v0, 0, s[26:27]
	v_or_b32_e32 v37, v0, v6
.LBB4_997:                              ;   in Loop: Header=BB4_137 Depth=3
	s_or_b64 exec, exec, s[34:35]
                                        ; implicit-def: $vgpr6
.LBB4_998:                              ;   in Loop: Header=BB4_137 Depth=3
	s_andn2_saveexec_b64 s[26:27], s[30:31]
; %bb.999:                              ;   in Loop: Header=BB4_137 Depth=3
	v_or_b32_e32 v37, 0x7e, v6
; %bb.1000:                             ;   in Loop: Header=BB4_137 Depth=3
	s_or_b64 exec, exec, s[26:27]
                                        ; implicit-def: $vgpr0
.LBB4_1001:                             ;   in Loop: Header=BB4_137 Depth=3
	s_andn2_saveexec_b64 s[26:27], s[94:95]
; %bb.1002:                             ;   in Loop: Header=BB4_137 Depth=3
	v_or_b32_sdwa v37, v0, s68 dst_sel:DWORD dst_unused:UNUSED_PAD src0_sel:BYTE_3 src1_sel:DWORD
; %bb.1003:                             ;   in Loop: Header=BB4_137 Depth=3
	s_or_b64 exec, exec, s[26:27]
	v_cmp_lt_u64_e32 vcc, s[56:57], v[8:9]
	v_mov_b32_e32 v0, 0
	s_and_saveexec_b64 s[26:27], vcc
	s_cbranch_execz .LBB4_1009
; %bb.1004:                             ;   in Loop: Header=BB4_137 Depth=3
	v_lshrrev_b32_e32 v2, 24, v9
	v_cmp_ne_u32_e32 vcc, s70, v2
	v_bfrev_b32_e32 v0, 1
	s_and_saveexec_b64 s[94:95], vcc
	s_cbranch_execz .LBB4_1008
; %bb.1005:                             ;   in Loop: Header=BB4_137 Depth=3
	v_bfe_u32 v6, v9, 24, 7
	v_cmp_ne_u32_e32 vcc, s68, v6
	v_mov_b32_e32 v0, 0x7f800001
	s_and_saveexec_b64 s[30:31], vcc
	s_cbranch_execz .LBB4_1007
; %bb.1006:                             ;   in Loop: Header=BB4_137 Depth=3
	v_and_b32_e32 v0, 7, v2
	v_lshrrev_b32_e32 v8, 3, v6
	v_cmp_gt_u32_e32 vcc, 8, v6
	v_ffbh_u32_e32 v6, v0
	v_min_u32_e32 v9, 32, v6
	v_subrev_u32_e32 v6, 28, v9
	v_lshlrev_b64 v[6:7], v6, v[2:3]
	v_sub_u32_e32 v7, 29, v9
	v_and_b32_e32 v6, 7, v6
	v_cndmask_b32_e32 v7, v8, v7, vcc
	v_cndmask_b32_e32 v0, v0, v6, vcc
	v_lshlrev_b32_e32 v2, 24, v2
	v_lshlrev_b32_e32 v0, 20, v0
	v_and_b32_e32 v2, 0x80000000, v2
	v_lshl_add_u32 v6, v7, 23, v5
	v_or3_b32 v0, v2, v6, v0
.LBB4_1007:                             ;   in Loop: Header=BB4_137 Depth=3
	s_or_b64 exec, exec, s[30:31]
.LBB4_1008:                             ;   in Loop: Header=BB4_137 Depth=3
	s_or_b64 exec, exec, s[94:95]
.LBB4_1009:                             ;   in Loop: Header=BB4_137 Depth=3
	s_or_b64 exec, exec, s[26:27]
	v_mul_f32_e32 v0, v60, v0
	v_and_b32_e32 v2, 0x7f800000, v0
	v_cmp_ne_u64_e32 vcc, s[62:63], v[2:3]
                                        ; implicit-def: $vgpr48
	s_and_saveexec_b64 s[26:27], vcc
	s_xor_b64 s[94:95], exec, s[26:27]
	s_cbranch_execz .LBB4_1023
; %bb.1010:                             ;   in Loop: Header=BB4_137 Depth=3
	v_and_b32_e32 v2, 0x7fffffff, v0
	v_cmp_gt_u64_e32 vcc, s[72:73], v[2:3]
	v_and_b32_sdwa v6, v0, s70 dst_sel:DWORD dst_unused:UNUSED_PAD src0_sel:BYTE_3 src1_sel:DWORD
                                        ; implicit-def: $vgpr48
	s_and_saveexec_b64 s[26:27], vcc
	s_xor_b64 s[30:31], exec, s[26:27]
	s_cbranch_execz .LBB4_1020
; %bb.1011:                             ;   in Loop: Header=BB4_137 Depth=3
	v_mov_b32_e32 v48, 0
	v_cmp_ne_u32_e32 vcc, 0, v0
	s_and_saveexec_b64 s[34:35], vcc
	s_cbranch_execz .LBB4_1019
; %bb.1012:                             ;   in Loop: Header=BB4_137 Depth=3
	v_bfe_u32 v7, v0, 23, 8
	v_and_b32_e32 v2, 0x7fffff, v0
	v_cmp_gt_u32_e64 s[26:27], s71, v7
	v_sub_u32_e32 v0, 0x79, v7
	v_cmp_eq_u32_e32 vcc, 0, v7
	v_cndmask_b32_e64 v0, 0, v0, s[26:27]
	v_mov_b32_e32 v9, 0x78
	v_or_b32_e32 v8, 0x800000, v2
	v_cndmask_b32_e32 v0, v0, v9, vcc
	v_cndmask_b32_e32 v2, v8, v2, vcc
	v_add_u32_e32 v8, 20, v0
	v_lshlrev_b64 v[8:9], v8, -1
	v_add_u32_e32 v12, 19, v0
	v_lshlrev_b64 v[12:13], v12, 1
	v_bfi_b32 v9, v9, 0, 0
	v_bfi_b32 v8, v8, 0, v2
	v_cmp_eq_u64_e64 s[26:27], v[8:9], v[12:13]
	v_lshrrev_b64 v[8:9], v0, v[2:3]
	v_mov_b32_e32 v47, v9
	v_mov_b32_e32 v46, v8
	s_and_saveexec_b64 s[36:37], s[26:27]
; %bb.1013:                             ;   in Loop: Header=BB4_137 Depth=3
	v_bfe_u32 v2, v8, 20, 1
	v_add_co_u32_e64 v2, s[26:27], v8, v2
	v_add_co_u32_e64 v46, s[26:27], -1, v2
; %bb.1014:                             ;   in Loop: Header=BB4_137 Depth=3
	s_or_b64 exec, exec, s[36:37]
	v_add_u32_e32 v2, 0xffffff81, v7
	v_mov_b32_e32 v7, 0xffffff82
	v_cndmask_b32_e32 v2, v2, v7, vcc
	v_lshrrev_b32_e32 v7, 23, v8
	v_add3_u32 v12, v0, v2, v7
	v_add_u32_e32 v7, 6, v12
	v_and_b32_e32 v0, 0xfffff, v46
	v_add_u32_e32 v2, v0, v8
	v_cmp_ne_u32_e32 vcc, 0, v7
                                        ; implicit-def: $vgpr8_vgpr9
                                        ; implicit-def: $vgpr0
	s_and_saveexec_b64 s[26:27], vcc
	s_xor_b64 s[26:27], exec, s[26:27]
; %bb.1015:                             ;   in Loop: Header=BB4_137 Depth=3
	v_cmp_lt_u64_e32 vcc, s[74:75], v[2:3]
	v_add_u32_e32 v0, 7, v12
	v_cndmask_b32_e32 v0, v7, v0, vcc
	v_cndmask_b32_e64 v7, 0, 1, vcc
	v_lshrrev_b64 v[8:9], v7, v[2:3]
; %bb.1016:                             ;   in Loop: Header=BB4_137 Depth=3
	s_andn2_saveexec_b64 s[26:27], s[26:27]
; %bb.1017:                             ;   in Loop: Header=BB4_137 Depth=3
	v_mov_b32_e32 v9, v3
	v_bfe_u32 v0, v2, 23, 1
	v_mov_b32_e32 v8, v2
; %bb.1018:                             ;   in Loop: Header=BB4_137 Depth=3
	s_or_b64 exec, exec, s[26:27]
	v_lshrrev_b64 v[7:8], 20, v[8:9]
	v_cmp_gt_i32_e32 vcc, 16, v0
	v_cndmask_b32_e32 v8, 0, v8, vcc
	v_cndmask_b32_e32 v7, 7, v7, vcc
	v_cmp_eq_u32_e32 vcc, 0, v0
	v_min_i32_e32 v0, 15, v0
	v_cmp_eq_u64_e64 s[26:27], 0, v[7:8]
	v_lshlrev_b32_e32 v0, 3, v0
	v_and_b32_e32 v0, 0xf8, v0
	v_and_or_b32 v0, v7, 7, v0
	s_and_b64 s[26:27], vcc, s[26:27]
	v_cndmask_b32_e64 v0, v0, 0, s[26:27]
	v_or_b32_e32 v48, v0, v6
.LBB4_1019:                             ;   in Loop: Header=BB4_137 Depth=3
	s_or_b64 exec, exec, s[34:35]
                                        ; implicit-def: $vgpr6
.LBB4_1020:                             ;   in Loop: Header=BB4_137 Depth=3
	s_andn2_saveexec_b64 s[26:27], s[30:31]
; %bb.1021:                             ;   in Loop: Header=BB4_137 Depth=3
	v_or_b32_e32 v48, 0x7e, v6
; %bb.1022:                             ;   in Loop: Header=BB4_137 Depth=3
	s_or_b64 exec, exec, s[26:27]
                                        ; implicit-def: $vgpr0
.LBB4_1023:                             ;   in Loop: Header=BB4_137 Depth=3
	s_andn2_saveexec_b64 s[26:27], s[94:95]
; %bb.1024:                             ;   in Loop: Header=BB4_137 Depth=3
	v_or_b32_sdwa v48, v0, s68 dst_sel:DWORD dst_unused:UNUSED_PAD src0_sel:BYTE_3 src1_sel:DWORD
; %bb.1025:                             ;   in Loop: Header=BB4_137 Depth=3
	s_or_b64 exec, exec, s[26:27]
	v_cmp_ne_u16_sdwa s[94:95], v10, v3 src0_sel:BYTE_0 src1_sel:DWORD
	v_mov_b32_e32 v0, 0
	s_and_saveexec_b64 s[26:27], s[94:95]
	s_cbranch_execz .LBB4_1031
; %bb.1026:                             ;   in Loop: Header=BB4_137 Depth=3
	v_cmp_ne_u16_sdwa vcc, v10, s70 src0_sel:BYTE_0 src1_sel:DWORD
	v_bfrev_b32_e32 v0, 1
	s_and_saveexec_b64 s[94:95], vcc
	s_cbranch_execz .LBB4_1030
; %bb.1027:                             ;   in Loop: Header=BB4_137 Depth=3
	v_and_b32_e32 v2, 0x7f, v10
	v_cmp_ne_u32_e32 vcc, s68, v2
	v_mov_b32_e32 v0, 0x7f800001
	s_and_saveexec_b64 s[30:31], vcc
	s_cbranch_execz .LBB4_1029
; %bb.1028:                             ;   in Loop: Header=BB4_137 Depth=3
	v_and_b32_e32 v0, 7, v10
	v_ffbh_u32_e32 v0, v0
	v_min_u32_e32 v0, 32, v0
	v_lshrrev_b32_e32 v6, 3, v2
	v_cmp_gt_u32_e32 vcc, 8, v2
	v_subrev_u32_e32 v2, 28, v0
	v_sub_u32_e32 v0, 29, v0
	v_cndmask_b32_e32 v2, 0, v2, vcc
	v_cndmask_b32_e32 v0, v6, v0, vcc
	v_lshlrev_b64 v[6:7], v2, v[10:11]
	v_lshl_add_u32 v0, v0, 23, v5
	v_lshlrev_b32_e32 v2, 20, v6
	v_lshlrev_b32_e32 v6, 24, v10
	v_and_b32_e32 v2, 0x700000, v2
	v_and_b32_e32 v6, 0x80000000, v6
	v_or3_b32 v0, v6, v0, v2
.LBB4_1029:                             ;   in Loop: Header=BB4_137 Depth=3
	s_or_b64 exec, exec, s[30:31]
.LBB4_1030:                             ;   in Loop: Header=BB4_137 Depth=3
	s_or_b64 exec, exec, s[94:95]
.LBB4_1031:                             ;   in Loop: Header=BB4_137 Depth=3
	s_or_b64 exec, exec, s[26:27]
	v_mul_f32_e32 v0, v60, v0
	v_and_b32_e32 v2, 0x7f800000, v0
	v_cmp_ne_u64_e32 vcc, s[62:63], v[2:3]
                                        ; implicit-def: $vgpr49
	s_and_saveexec_b64 s[26:27], vcc
	s_xor_b64 s[94:95], exec, s[26:27]
	s_cbranch_execz .LBB4_1045
; %bb.1032:                             ;   in Loop: Header=BB4_137 Depth=3
	v_and_b32_e32 v2, 0x7fffffff, v0
	v_cmp_gt_u64_e32 vcc, s[72:73], v[2:3]
	v_and_b32_sdwa v6, v0, s70 dst_sel:DWORD dst_unused:UNUSED_PAD src0_sel:BYTE_3 src1_sel:DWORD
                                        ; implicit-def: $vgpr49
	s_and_saveexec_b64 s[26:27], vcc
	s_xor_b64 s[30:31], exec, s[26:27]
	s_cbranch_execz .LBB4_1042
; %bb.1033:                             ;   in Loop: Header=BB4_137 Depth=3
	v_mov_b32_e32 v49, 0
	v_cmp_ne_u32_e32 vcc, 0, v0
	s_and_saveexec_b64 s[34:35], vcc
	s_cbranch_execz .LBB4_1041
; %bb.1034:                             ;   in Loop: Header=BB4_137 Depth=3
	v_bfe_u32 v7, v0, 23, 8
	v_and_b32_e32 v2, 0x7fffff, v0
	v_cmp_gt_u32_e64 s[26:27], s71, v7
	v_sub_u32_e32 v0, 0x79, v7
	v_cmp_eq_u32_e32 vcc, 0, v7
	v_cndmask_b32_e64 v0, 0, v0, s[26:27]
	v_mov_b32_e32 v9, 0x78
	v_or_b32_e32 v8, 0x800000, v2
	v_cndmask_b32_e32 v0, v0, v9, vcc
	v_cndmask_b32_e32 v2, v8, v2, vcc
	v_add_u32_e32 v8, 20, v0
	v_lshlrev_b64 v[8:9], v8, -1
	v_add_u32_e32 v12, 19, v0
	v_lshlrev_b64 v[12:13], v12, 1
	v_bfi_b32 v9, v9, 0, 0
	v_bfi_b32 v8, v8, 0, v2
	v_cmp_eq_u64_e64 s[26:27], v[8:9], v[12:13]
	v_lshrrev_b64 v[8:9], v0, v[2:3]
	v_mov_b32_e32 v47, v9
	v_mov_b32_e32 v46, v8
	s_and_saveexec_b64 s[36:37], s[26:27]
; %bb.1035:                             ;   in Loop: Header=BB4_137 Depth=3
	v_bfe_u32 v2, v8, 20, 1
	v_add_co_u32_e64 v2, s[26:27], v8, v2
	v_add_co_u32_e64 v46, s[26:27], -1, v2
; %bb.1036:                             ;   in Loop: Header=BB4_137 Depth=3
	s_or_b64 exec, exec, s[36:37]
	v_add_u32_e32 v2, 0xffffff81, v7
	v_mov_b32_e32 v7, 0xffffff82
	v_cndmask_b32_e32 v2, v2, v7, vcc
	v_lshrrev_b32_e32 v7, 23, v8
	v_add3_u32 v12, v0, v2, v7
	v_add_u32_e32 v7, 6, v12
	v_and_b32_e32 v0, 0xfffff, v46
	v_add_u32_e32 v2, v0, v8
	v_cmp_ne_u32_e32 vcc, 0, v7
                                        ; implicit-def: $vgpr8_vgpr9
                                        ; implicit-def: $vgpr0
	s_and_saveexec_b64 s[26:27], vcc
	s_xor_b64 s[26:27], exec, s[26:27]
; %bb.1037:                             ;   in Loop: Header=BB4_137 Depth=3
	v_cmp_lt_u64_e32 vcc, s[74:75], v[2:3]
	v_add_u32_e32 v0, 7, v12
	v_cndmask_b32_e32 v0, v7, v0, vcc
	v_cndmask_b32_e64 v7, 0, 1, vcc
	v_lshrrev_b64 v[8:9], v7, v[2:3]
; %bb.1038:                             ;   in Loop: Header=BB4_137 Depth=3
	s_andn2_saveexec_b64 s[26:27], s[26:27]
; %bb.1039:                             ;   in Loop: Header=BB4_137 Depth=3
	v_mov_b32_e32 v9, v3
	v_bfe_u32 v0, v2, 23, 1
	v_mov_b32_e32 v8, v2
; %bb.1040:                             ;   in Loop: Header=BB4_137 Depth=3
	s_or_b64 exec, exec, s[26:27]
	v_lshrrev_b64 v[7:8], 20, v[8:9]
	v_cmp_gt_i32_e32 vcc, 16, v0
	v_cndmask_b32_e32 v8, 0, v8, vcc
	v_cndmask_b32_e32 v7, 7, v7, vcc
	v_cmp_eq_u32_e32 vcc, 0, v0
	v_min_i32_e32 v0, 15, v0
	v_cmp_eq_u64_e64 s[26:27], 0, v[7:8]
	v_lshlrev_b32_e32 v0, 3, v0
	v_and_b32_e32 v0, 0xf8, v0
	v_and_or_b32 v0, v7, 7, v0
	s_and_b64 s[26:27], vcc, s[26:27]
	v_cndmask_b32_e64 v0, v0, 0, s[26:27]
	v_or_b32_e32 v49, v0, v6
.LBB4_1041:                             ;   in Loop: Header=BB4_137 Depth=3
	s_or_b64 exec, exec, s[34:35]
                                        ; implicit-def: $vgpr6
.LBB4_1042:                             ;   in Loop: Header=BB4_137 Depth=3
	s_andn2_saveexec_b64 s[26:27], s[30:31]
; %bb.1043:                             ;   in Loop: Header=BB4_137 Depth=3
	v_or_b32_e32 v49, 0x7e, v6
; %bb.1044:                             ;   in Loop: Header=BB4_137 Depth=3
	s_or_b64 exec, exec, s[26:27]
                                        ; implicit-def: $vgpr0
.LBB4_1045:                             ;   in Loop: Header=BB4_137 Depth=3
	s_andn2_saveexec_b64 s[26:27], s[94:95]
; %bb.1046:                             ;   in Loop: Header=BB4_137 Depth=3
	v_or_b32_sdwa v49, v0, s68 dst_sel:DWORD dst_unused:UNUSED_PAD src0_sel:BYTE_3 src1_sel:DWORD
; %bb.1047:                             ;   in Loop: Header=BB4_137 Depth=3
	s_or_b64 exec, exec, s[26:27]
	v_lshrrev_b16_e32 v2, 8, v10
	v_cmp_ne_u16_e32 vcc, 0, v2
	v_mov_b32_e32 v0, 0
	s_and_saveexec_b64 s[26:27], vcc
	s_cbranch_execz .LBB4_1053
; %bb.1048:                             ;   in Loop: Header=BB4_137 Depth=3
	v_cmp_ne_u16_e32 vcc, s70, v2
	v_bfrev_b32_e32 v0, 1
	s_and_saveexec_b64 s[94:95], vcc
	s_cbranch_execz .LBB4_1052
; %bb.1049:                             ;   in Loop: Header=BB4_137 Depth=3
	v_and_b32_e32 v6, 0x7f, v2
	v_cmp_ne_u32_e32 vcc, s68, v6
	v_mov_b32_e32 v0, 0x7f800001
	s_and_saveexec_b64 s[30:31], vcc
	s_cbranch_execz .LBB4_1051
; %bb.1050:                             ;   in Loop: Header=BB4_137 Depth=3
	v_and_b32_e32 v0, 7, v2
	v_lshrrev_b32_e32 v8, 3, v6
	v_cmp_gt_u32_e32 vcc, 8, v6
	v_ffbh_u32_e32 v6, v0
	v_min_u32_e32 v9, 32, v6
	v_subrev_u32_e32 v6, 28, v9
	v_lshlrev_b64 v[6:7], v6, v[2:3]
	v_sub_u32_e32 v2, 29, v9
	v_and_b32_e32 v6, 7, v6
	v_cndmask_b32_e32 v2, v8, v2, vcc
	v_cndmask_b32_e32 v0, v0, v6, vcc
	v_lshlrev_b32_e32 v6, 16, v10
	v_lshlrev_b32_e32 v0, 20, v0
	v_and_b32_e32 v6, 0x80000000, v6
	v_lshl_add_u32 v2, v2, 23, v5
	v_or3_b32 v0, v6, v2, v0
.LBB4_1051:                             ;   in Loop: Header=BB4_137 Depth=3
	s_or_b64 exec, exec, s[30:31]
.LBB4_1052:                             ;   in Loop: Header=BB4_137 Depth=3
	s_or_b64 exec, exec, s[94:95]
.LBB4_1053:                             ;   in Loop: Header=BB4_137 Depth=3
	s_or_b64 exec, exec, s[26:27]
	v_mul_f32_e32 v0, v60, v0
	v_and_b32_e32 v2, 0x7f800000, v0
	v_cmp_ne_u64_e32 vcc, s[62:63], v[2:3]
                                        ; implicit-def: $vgpr50
	s_and_saveexec_b64 s[26:27], vcc
	s_xor_b64 s[94:95], exec, s[26:27]
	s_cbranch_execz .LBB4_1067
; %bb.1054:                             ;   in Loop: Header=BB4_137 Depth=3
	v_and_b32_e32 v2, 0x7fffffff, v0
	v_cmp_gt_u64_e32 vcc, s[72:73], v[2:3]
	v_and_b32_sdwa v6, v0, s70 dst_sel:DWORD dst_unused:UNUSED_PAD src0_sel:BYTE_3 src1_sel:DWORD
                                        ; implicit-def: $vgpr50
	s_and_saveexec_b64 s[26:27], vcc
	s_xor_b64 s[30:31], exec, s[26:27]
	s_cbranch_execz .LBB4_1064
; %bb.1055:                             ;   in Loop: Header=BB4_137 Depth=3
	v_mov_b32_e32 v50, 0
	v_cmp_ne_u32_e32 vcc, 0, v0
	s_and_saveexec_b64 s[34:35], vcc
	s_cbranch_execz .LBB4_1063
; %bb.1056:                             ;   in Loop: Header=BB4_137 Depth=3
	v_bfe_u32 v7, v0, 23, 8
	v_and_b32_e32 v2, 0x7fffff, v0
	v_cmp_gt_u32_e64 s[26:27], s71, v7
	v_sub_u32_e32 v0, 0x79, v7
	v_cmp_eq_u32_e32 vcc, 0, v7
	v_cndmask_b32_e64 v0, 0, v0, s[26:27]
	v_mov_b32_e32 v9, 0x78
	v_or_b32_e32 v8, 0x800000, v2
	v_cndmask_b32_e32 v0, v0, v9, vcc
	v_cndmask_b32_e32 v2, v8, v2, vcc
	v_add_u32_e32 v8, 20, v0
	v_lshlrev_b64 v[8:9], v8, -1
	v_add_u32_e32 v12, 19, v0
	v_lshlrev_b64 v[12:13], v12, 1
	v_bfi_b32 v9, v9, 0, 0
	v_bfi_b32 v8, v8, 0, v2
	v_cmp_eq_u64_e64 s[26:27], v[8:9], v[12:13]
	v_lshrrev_b64 v[8:9], v0, v[2:3]
	v_mov_b32_e32 v47, v9
	v_mov_b32_e32 v46, v8
	s_and_saveexec_b64 s[36:37], s[26:27]
; %bb.1057:                             ;   in Loop: Header=BB4_137 Depth=3
	v_bfe_u32 v2, v8, 20, 1
	v_add_co_u32_e64 v2, s[26:27], v8, v2
	v_add_co_u32_e64 v46, s[26:27], -1, v2
; %bb.1058:                             ;   in Loop: Header=BB4_137 Depth=3
	s_or_b64 exec, exec, s[36:37]
	v_add_u32_e32 v2, 0xffffff81, v7
	v_mov_b32_e32 v7, 0xffffff82
	v_cndmask_b32_e32 v2, v2, v7, vcc
	v_lshrrev_b32_e32 v7, 23, v8
	v_add3_u32 v12, v0, v2, v7
	v_add_u32_e32 v7, 6, v12
	v_and_b32_e32 v0, 0xfffff, v46
	v_add_u32_e32 v2, v0, v8
	v_cmp_ne_u32_e32 vcc, 0, v7
                                        ; implicit-def: $vgpr8_vgpr9
                                        ; implicit-def: $vgpr0
	s_and_saveexec_b64 s[26:27], vcc
	s_xor_b64 s[26:27], exec, s[26:27]
; %bb.1059:                             ;   in Loop: Header=BB4_137 Depth=3
	v_cmp_lt_u64_e32 vcc, s[74:75], v[2:3]
	v_add_u32_e32 v0, 7, v12
	v_cndmask_b32_e32 v0, v7, v0, vcc
	v_cndmask_b32_e64 v7, 0, 1, vcc
	v_lshrrev_b64 v[8:9], v7, v[2:3]
; %bb.1060:                             ;   in Loop: Header=BB4_137 Depth=3
	s_andn2_saveexec_b64 s[26:27], s[26:27]
; %bb.1061:                             ;   in Loop: Header=BB4_137 Depth=3
	v_mov_b32_e32 v9, v3
	v_bfe_u32 v0, v2, 23, 1
	v_mov_b32_e32 v8, v2
; %bb.1062:                             ;   in Loop: Header=BB4_137 Depth=3
	s_or_b64 exec, exec, s[26:27]
	v_lshrrev_b64 v[7:8], 20, v[8:9]
	v_cmp_gt_i32_e32 vcc, 16, v0
	v_cndmask_b32_e32 v8, 0, v8, vcc
	v_cndmask_b32_e32 v7, 7, v7, vcc
	v_cmp_eq_u32_e32 vcc, 0, v0
	v_min_i32_e32 v0, 15, v0
	v_cmp_eq_u64_e64 s[26:27], 0, v[7:8]
	v_lshlrev_b32_e32 v0, 3, v0
	v_and_b32_e32 v0, 0xf8, v0
	v_and_or_b32 v0, v7, 7, v0
	s_and_b64 s[26:27], vcc, s[26:27]
	v_cndmask_b32_e64 v0, v0, 0, s[26:27]
	v_or_b32_e32 v50, v0, v6
.LBB4_1063:                             ;   in Loop: Header=BB4_137 Depth=3
	s_or_b64 exec, exec, s[34:35]
                                        ; implicit-def: $vgpr6
.LBB4_1064:                             ;   in Loop: Header=BB4_137 Depth=3
	s_andn2_saveexec_b64 s[26:27], s[30:31]
; %bb.1065:                             ;   in Loop: Header=BB4_137 Depth=3
	v_or_b32_e32 v50, 0x7e, v6
; %bb.1066:                             ;   in Loop: Header=BB4_137 Depth=3
	s_or_b64 exec, exec, s[26:27]
                                        ; implicit-def: $vgpr0
.LBB4_1067:                             ;   in Loop: Header=BB4_137 Depth=3
	s_andn2_saveexec_b64 s[26:27], s[94:95]
; %bb.1068:                             ;   in Loop: Header=BB4_137 Depth=3
	v_or_b32_sdwa v50, v0, s68 dst_sel:DWORD dst_unused:UNUSED_PAD src0_sel:BYTE_3 src1_sel:DWORD
; %bb.1069:                             ;   in Loop: Header=BB4_137 Depth=3
	s_or_b64 exec, exec, s[26:27]
	v_lshrrev_b32_e32 v2, 16, v10
	v_cmp_ne_u16_sdwa s[94:95], v2, v3 src0_sel:BYTE_0 src1_sel:DWORD
	v_mov_b32_e32 v0, 0
	s_and_saveexec_b64 s[26:27], s[94:95]
	s_cbranch_execz .LBB4_1075
; %bb.1070:                             ;   in Loop: Header=BB4_137 Depth=3
	v_cmp_ne_u16_sdwa vcc, v2, s70 src0_sel:BYTE_0 src1_sel:DWORD
	v_bfrev_b32_e32 v0, 1
	s_and_saveexec_b64 s[94:95], vcc
	s_cbranch_execz .LBB4_1074
; %bb.1071:                             ;   in Loop: Header=BB4_137 Depth=3
	v_bfe_u32 v6, v10, 16, 7
	v_cmp_ne_u32_e32 vcc, s68, v6
	v_mov_b32_e32 v0, 0x7f800001
	s_and_saveexec_b64 s[30:31], vcc
	s_cbranch_execz .LBB4_1073
; %bb.1072:                             ;   in Loop: Header=BB4_137 Depth=3
	v_and_b32_e32 v0, 7, v2
	v_lshrrev_b32_e32 v8, 3, v6
	v_cmp_gt_u32_e32 vcc, 8, v6
	v_ffbh_u32_e32 v6, v0
	v_min_u32_e32 v9, 32, v6
	v_subrev_u32_e32 v6, 28, v9
	v_lshlrev_b64 v[6:7], v6, v[2:3]
	v_sub_u32_e32 v7, 29, v9
	v_and_b32_e32 v6, 7, v6
	v_cndmask_b32_e32 v7, v8, v7, vcc
	v_cndmask_b32_e32 v0, v0, v6, vcc
	v_lshlrev_b32_e32 v2, 24, v2
	v_lshlrev_b32_e32 v0, 20, v0
	v_and_b32_e32 v2, 0x80000000, v2
	v_lshl_add_u32 v6, v7, 23, v5
	v_or3_b32 v0, v2, v6, v0
.LBB4_1073:                             ;   in Loop: Header=BB4_137 Depth=3
	s_or_b64 exec, exec, s[30:31]
.LBB4_1074:                             ;   in Loop: Header=BB4_137 Depth=3
	s_or_b64 exec, exec, s[94:95]
.LBB4_1075:                             ;   in Loop: Header=BB4_137 Depth=3
	s_or_b64 exec, exec, s[26:27]
	v_mul_f32_e32 v0, v60, v0
	v_and_b32_e32 v2, 0x7f800000, v0
	v_cmp_ne_u64_e32 vcc, s[62:63], v[2:3]
                                        ; implicit-def: $vgpr56
	s_and_saveexec_b64 s[26:27], vcc
	s_xor_b64 s[94:95], exec, s[26:27]
	s_cbranch_execz .LBB4_1089
; %bb.1076:                             ;   in Loop: Header=BB4_137 Depth=3
	v_and_b32_e32 v2, 0x7fffffff, v0
	v_cmp_gt_u64_e32 vcc, s[72:73], v[2:3]
	v_and_b32_sdwa v6, v0, s70 dst_sel:DWORD dst_unused:UNUSED_PAD src0_sel:BYTE_3 src1_sel:DWORD
                                        ; implicit-def: $vgpr56
	s_and_saveexec_b64 s[26:27], vcc
	s_xor_b64 s[30:31], exec, s[26:27]
	s_cbranch_execz .LBB4_1086
; %bb.1077:                             ;   in Loop: Header=BB4_137 Depth=3
	v_mov_b32_e32 v56, 0
	v_cmp_ne_u32_e32 vcc, 0, v0
	s_and_saveexec_b64 s[34:35], vcc
	s_cbranch_execz .LBB4_1085
; %bb.1078:                             ;   in Loop: Header=BB4_137 Depth=3
	v_bfe_u32 v7, v0, 23, 8
	v_and_b32_e32 v2, 0x7fffff, v0
	v_cmp_gt_u32_e64 s[26:27], s71, v7
	v_sub_u32_e32 v0, 0x79, v7
	v_cmp_eq_u32_e32 vcc, 0, v7
	v_cndmask_b32_e64 v0, 0, v0, s[26:27]
	v_mov_b32_e32 v9, 0x78
	v_or_b32_e32 v8, 0x800000, v2
	v_cndmask_b32_e32 v0, v0, v9, vcc
	v_cndmask_b32_e32 v2, v8, v2, vcc
	v_add_u32_e32 v8, 20, v0
	v_lshlrev_b64 v[8:9], v8, -1
	v_add_u32_e32 v12, 19, v0
	v_lshlrev_b64 v[12:13], v12, 1
	v_bfi_b32 v9, v9, 0, 0
	v_bfi_b32 v8, v8, 0, v2
	v_cmp_eq_u64_e64 s[26:27], v[8:9], v[12:13]
	v_lshrrev_b64 v[8:9], v0, v[2:3]
	v_mov_b32_e32 v47, v9
	v_mov_b32_e32 v46, v8
	s_and_saveexec_b64 s[36:37], s[26:27]
; %bb.1079:                             ;   in Loop: Header=BB4_137 Depth=3
	v_bfe_u32 v2, v8, 20, 1
	v_add_co_u32_e64 v2, s[26:27], v8, v2
	v_add_co_u32_e64 v46, s[26:27], -1, v2
; %bb.1080:                             ;   in Loop: Header=BB4_137 Depth=3
	s_or_b64 exec, exec, s[36:37]
	v_add_u32_e32 v2, 0xffffff81, v7
	v_mov_b32_e32 v7, 0xffffff82
	v_cndmask_b32_e32 v2, v2, v7, vcc
	v_lshrrev_b32_e32 v7, 23, v8
	v_add3_u32 v12, v0, v2, v7
	v_add_u32_e32 v7, 6, v12
	v_and_b32_e32 v0, 0xfffff, v46
	v_add_u32_e32 v2, v0, v8
	v_cmp_ne_u32_e32 vcc, 0, v7
                                        ; implicit-def: $vgpr8_vgpr9
                                        ; implicit-def: $vgpr0
	s_and_saveexec_b64 s[26:27], vcc
	s_xor_b64 s[26:27], exec, s[26:27]
; %bb.1081:                             ;   in Loop: Header=BB4_137 Depth=3
	v_cmp_lt_u64_e32 vcc, s[74:75], v[2:3]
	v_add_u32_e32 v0, 7, v12
	v_cndmask_b32_e32 v0, v7, v0, vcc
	v_cndmask_b32_e64 v7, 0, 1, vcc
	v_lshrrev_b64 v[8:9], v7, v[2:3]
; %bb.1082:                             ;   in Loop: Header=BB4_137 Depth=3
	s_andn2_saveexec_b64 s[26:27], s[26:27]
; %bb.1083:                             ;   in Loop: Header=BB4_137 Depth=3
	v_mov_b32_e32 v9, v3
	v_bfe_u32 v0, v2, 23, 1
	v_mov_b32_e32 v8, v2
; %bb.1084:                             ;   in Loop: Header=BB4_137 Depth=3
	s_or_b64 exec, exec, s[26:27]
	v_lshrrev_b64 v[7:8], 20, v[8:9]
	v_cmp_gt_i32_e32 vcc, 16, v0
	v_cndmask_b32_e32 v8, 0, v8, vcc
	v_cndmask_b32_e32 v7, 7, v7, vcc
	v_cmp_eq_u32_e32 vcc, 0, v0
	v_min_i32_e32 v0, 15, v0
	v_cmp_eq_u64_e64 s[26:27], 0, v[7:8]
	v_lshlrev_b32_e32 v0, 3, v0
	v_and_b32_e32 v0, 0xf8, v0
	v_and_or_b32 v0, v7, 7, v0
	s_and_b64 s[26:27], vcc, s[26:27]
	v_cndmask_b32_e64 v0, v0, 0, s[26:27]
	v_or_b32_e32 v56, v0, v6
.LBB4_1085:                             ;   in Loop: Header=BB4_137 Depth=3
	s_or_b64 exec, exec, s[34:35]
                                        ; implicit-def: $vgpr6
.LBB4_1086:                             ;   in Loop: Header=BB4_137 Depth=3
	s_andn2_saveexec_b64 s[26:27], s[30:31]
; %bb.1087:                             ;   in Loop: Header=BB4_137 Depth=3
	v_or_b32_e32 v56, 0x7e, v6
; %bb.1088:                             ;   in Loop: Header=BB4_137 Depth=3
	s_or_b64 exec, exec, s[26:27]
                                        ; implicit-def: $vgpr0
.LBB4_1089:                             ;   in Loop: Header=BB4_137 Depth=3
	s_andn2_saveexec_b64 s[26:27], s[94:95]
; %bb.1090:                             ;   in Loop: Header=BB4_137 Depth=3
	v_or_b32_sdwa v56, v0, s68 dst_sel:DWORD dst_unused:UNUSED_PAD src0_sel:BYTE_3 src1_sel:DWORD
; %bb.1091:                             ;   in Loop: Header=BB4_137 Depth=3
	s_or_b64 exec, exec, s[26:27]
	v_cmp_lt_u32_e32 vcc, s57, v10
	v_mov_b32_e32 v0, 0
	s_and_saveexec_b64 s[26:27], vcc
	s_cbranch_execz .LBB4_1097
; %bb.1092:                             ;   in Loop: Header=BB4_137 Depth=3
	v_lshrrev_b32_e32 v2, 24, v10
	v_cmp_ne_u32_e32 vcc, s70, v2
	v_bfrev_b32_e32 v0, 1
	s_and_saveexec_b64 s[94:95], vcc
	s_cbranch_execz .LBB4_1096
; %bb.1093:                             ;   in Loop: Header=BB4_137 Depth=3
	v_bfe_u32 v6, v10, 24, 7
	v_cmp_ne_u32_e32 vcc, s68, v6
	v_mov_b32_e32 v0, 0x7f800001
	s_and_saveexec_b64 s[30:31], vcc
	s_cbranch_execz .LBB4_1095
; %bb.1094:                             ;   in Loop: Header=BB4_137 Depth=3
	v_and_b32_e32 v0, 7, v2
	v_lshrrev_b32_e32 v8, 3, v6
	v_cmp_gt_u32_e32 vcc, 8, v6
	v_ffbh_u32_e32 v6, v0
	v_min_u32_e32 v9, 32, v6
	v_subrev_u32_e32 v6, 28, v9
	v_lshlrev_b64 v[6:7], v6, v[2:3]
	v_sub_u32_e32 v7, 29, v9
	v_and_b32_e32 v6, 7, v6
	v_cndmask_b32_e32 v7, v8, v7, vcc
	v_cndmask_b32_e32 v0, v0, v6, vcc
	v_lshlrev_b32_e32 v2, 24, v2
	v_lshlrev_b32_e32 v0, 20, v0
	v_and_b32_e32 v2, 0x80000000, v2
	v_lshl_add_u32 v6, v7, 23, v5
	v_or3_b32 v0, v2, v6, v0
.LBB4_1095:                             ;   in Loop: Header=BB4_137 Depth=3
	s_or_b64 exec, exec, s[30:31]
.LBB4_1096:                             ;   in Loop: Header=BB4_137 Depth=3
	s_or_b64 exec, exec, s[94:95]
.LBB4_1097:                             ;   in Loop: Header=BB4_137 Depth=3
	s_or_b64 exec, exec, s[26:27]
	v_mul_f32_e32 v0, v60, v0
	v_and_b32_e32 v2, 0x7f800000, v0
	v_cmp_ne_u64_e32 vcc, s[62:63], v[2:3]
                                        ; implicit-def: $vgpr57
	s_and_saveexec_b64 s[26:27], vcc
	s_xor_b64 s[94:95], exec, s[26:27]
	s_cbranch_execz .LBB4_1111
; %bb.1098:                             ;   in Loop: Header=BB4_137 Depth=3
	v_and_b32_e32 v2, 0x7fffffff, v0
	v_cmp_gt_u64_e32 vcc, s[72:73], v[2:3]
	v_and_b32_sdwa v6, v0, s70 dst_sel:DWORD dst_unused:UNUSED_PAD src0_sel:BYTE_3 src1_sel:DWORD
                                        ; implicit-def: $vgpr57
	s_and_saveexec_b64 s[26:27], vcc
	s_xor_b64 s[30:31], exec, s[26:27]
	s_cbranch_execz .LBB4_1108
; %bb.1099:                             ;   in Loop: Header=BB4_137 Depth=3
	v_mov_b32_e32 v57, 0
	v_cmp_ne_u32_e32 vcc, 0, v0
	s_and_saveexec_b64 s[34:35], vcc
	s_cbranch_execz .LBB4_1107
; %bb.1100:                             ;   in Loop: Header=BB4_137 Depth=3
	v_bfe_u32 v7, v0, 23, 8
	v_and_b32_e32 v2, 0x7fffff, v0
	v_cmp_gt_u32_e64 s[26:27], s71, v7
	v_sub_u32_e32 v0, 0x79, v7
	v_cmp_eq_u32_e32 vcc, 0, v7
	v_cndmask_b32_e64 v0, 0, v0, s[26:27]
	v_mov_b32_e32 v9, 0x78
	v_or_b32_e32 v8, 0x800000, v2
	v_cndmask_b32_e32 v0, v0, v9, vcc
	v_cndmask_b32_e32 v2, v8, v2, vcc
	v_add_u32_e32 v8, 20, v0
	v_lshlrev_b64 v[8:9], v8, -1
	v_add_u32_e32 v12, 19, v0
	v_lshlrev_b64 v[12:13], v12, 1
	v_bfi_b32 v9, v9, 0, 0
	v_bfi_b32 v8, v8, 0, v2
	v_cmp_eq_u64_e64 s[26:27], v[8:9], v[12:13]
	v_lshrrev_b64 v[8:9], v0, v[2:3]
	v_mov_b32_e32 v47, v9
	v_mov_b32_e32 v46, v8
	s_and_saveexec_b64 s[36:37], s[26:27]
; %bb.1101:                             ;   in Loop: Header=BB4_137 Depth=3
	v_bfe_u32 v2, v8, 20, 1
	v_add_co_u32_e64 v2, s[26:27], v8, v2
	v_add_co_u32_e64 v46, s[26:27], -1, v2
; %bb.1102:                             ;   in Loop: Header=BB4_137 Depth=3
	s_or_b64 exec, exec, s[36:37]
	v_add_u32_e32 v2, 0xffffff81, v7
	v_mov_b32_e32 v7, 0xffffff82
	v_cndmask_b32_e32 v2, v2, v7, vcc
	v_lshrrev_b32_e32 v7, 23, v8
	v_add3_u32 v12, v0, v2, v7
	v_add_u32_e32 v7, 6, v12
	v_and_b32_e32 v0, 0xfffff, v46
	v_add_u32_e32 v2, v0, v8
	v_cmp_ne_u32_e32 vcc, 0, v7
                                        ; implicit-def: $vgpr8_vgpr9
                                        ; implicit-def: $vgpr0
	s_and_saveexec_b64 s[26:27], vcc
	s_xor_b64 s[26:27], exec, s[26:27]
; %bb.1103:                             ;   in Loop: Header=BB4_137 Depth=3
	v_cmp_lt_u64_e32 vcc, s[74:75], v[2:3]
	v_add_u32_e32 v0, 7, v12
	v_cndmask_b32_e32 v0, v7, v0, vcc
	v_cndmask_b32_e64 v7, 0, 1, vcc
	v_lshrrev_b64 v[8:9], v7, v[2:3]
; %bb.1104:                             ;   in Loop: Header=BB4_137 Depth=3
	s_andn2_saveexec_b64 s[26:27], s[26:27]
; %bb.1105:                             ;   in Loop: Header=BB4_137 Depth=3
	v_mov_b32_e32 v9, v3
	v_bfe_u32 v0, v2, 23, 1
	v_mov_b32_e32 v8, v2
; %bb.1106:                             ;   in Loop: Header=BB4_137 Depth=3
	s_or_b64 exec, exec, s[26:27]
	v_lshrrev_b64 v[7:8], 20, v[8:9]
	v_cmp_gt_i32_e32 vcc, 16, v0
	v_cndmask_b32_e32 v8, 0, v8, vcc
	v_cndmask_b32_e32 v7, 7, v7, vcc
	v_cmp_eq_u32_e32 vcc, 0, v0
	v_min_i32_e32 v0, 15, v0
	v_cmp_eq_u64_e64 s[26:27], 0, v[7:8]
	v_lshlrev_b32_e32 v0, 3, v0
	v_and_b32_e32 v0, 0xf8, v0
	v_and_or_b32 v0, v7, 7, v0
	s_and_b64 s[26:27], vcc, s[26:27]
	v_cndmask_b32_e64 v0, v0, 0, s[26:27]
	v_or_b32_e32 v57, v0, v6
.LBB4_1107:                             ;   in Loop: Header=BB4_137 Depth=3
	s_or_b64 exec, exec, s[34:35]
                                        ; implicit-def: $vgpr6
.LBB4_1108:                             ;   in Loop: Header=BB4_137 Depth=3
	s_andn2_saveexec_b64 s[26:27], s[30:31]
; %bb.1109:                             ;   in Loop: Header=BB4_137 Depth=3
	v_or_b32_e32 v57, 0x7e, v6
; %bb.1110:                             ;   in Loop: Header=BB4_137 Depth=3
	s_or_b64 exec, exec, s[26:27]
                                        ; implicit-def: $vgpr0
.LBB4_1111:                             ;   in Loop: Header=BB4_137 Depth=3
	s_andn2_saveexec_b64 s[26:27], s[94:95]
; %bb.1112:                             ;   in Loop: Header=BB4_137 Depth=3
	v_or_b32_sdwa v57, v0, s68 dst_sel:DWORD dst_unused:UNUSED_PAD src0_sel:BYTE_3 src1_sel:DWORD
; %bb.1113:                             ;   in Loop: Header=BB4_137 Depth=3
	s_or_b64 exec, exec, s[26:27]
	v_mov_b32_e32 v2, v11
	v_cmp_ne_u16_sdwa s[94:95], v11, v3 src0_sel:BYTE_0 src1_sel:DWORD
	v_mov_b32_e32 v0, 0
	s_and_saveexec_b64 s[26:27], s[94:95]
	s_cbranch_execz .LBB4_1119
; %bb.1114:                             ;   in Loop: Header=BB4_137 Depth=3
	v_cmp_ne_u16_sdwa vcc, v11, s70 src0_sel:BYTE_0 src1_sel:DWORD
	v_bfrev_b32_e32 v0, 1
	s_and_saveexec_b64 s[94:95], vcc
	s_cbranch_execz .LBB4_1118
; %bb.1115:                             ;   in Loop: Header=BB4_137 Depth=3
	v_and_b32_e32 v6, 0x7f, v11
	v_cmp_ne_u32_e32 vcc, s68, v6
	v_mov_b32_e32 v0, 0x7f800001
	s_and_saveexec_b64 s[30:31], vcc
	s_cbranch_execz .LBB4_1117
; %bb.1116:                             ;   in Loop: Header=BB4_137 Depth=3
	v_and_b32_e32 v0, 7, v11
	v_ffbh_u32_e32 v0, v0
	v_min_u32_e32 v0, 32, v0
	v_lshrrev_b32_e32 v7, 3, v6
	v_cmp_gt_u32_e32 vcc, 8, v6
	v_subrev_u32_e32 v6, 28, v0
	v_sub_u32_e32 v0, 29, v0
	v_cndmask_b32_e32 v6, 0, v6, vcc
	v_cndmask_b32_e32 v0, v7, v0, vcc
	v_lshlrev_b64 v[6:7], v6, v[2:3]
	v_lshlrev_b32_e32 v7, 24, v2
	v_lshlrev_b32_e32 v6, 20, v6
	v_and_b32_e32 v6, 0x700000, v6
	v_and_b32_e32 v7, 0x80000000, v7
	v_lshl_add_u32 v0, v0, 23, v5
	v_or3_b32 v0, v7, v0, v6
.LBB4_1117:                             ;   in Loop: Header=BB4_137 Depth=3
	s_or_b64 exec, exec, s[30:31]
.LBB4_1118:                             ;   in Loop: Header=BB4_137 Depth=3
	s_or_b64 exec, exec, s[94:95]
.LBB4_1119:                             ;   in Loop: Header=BB4_137 Depth=3
	s_or_b64 exec, exec, s[26:27]
	v_mul_f32_e32 v0, v60, v0
	v_and_b32_e32 v6, 0x7f800000, v0
	v_mov_b32_e32 v7, v3
	v_cmp_ne_u64_e32 vcc, s[62:63], v[6:7]
                                        ; implicit-def: $vgpr16
	s_and_saveexec_b64 s[26:27], vcc
	s_xor_b64 s[94:95], exec, s[26:27]
	s_cbranch_execz .LBB4_1133
; %bb.1120:                             ;   in Loop: Header=BB4_137 Depth=3
	v_and_b32_e32 v6, 0x7fffffff, v0
	v_mov_b32_e32 v7, v3
	v_cmp_gt_u64_e32 vcc, s[72:73], v[6:7]
	v_and_b32_sdwa v6, v0, s70 dst_sel:DWORD dst_unused:UNUSED_PAD src0_sel:BYTE_3 src1_sel:DWORD
                                        ; implicit-def: $vgpr16
	s_and_saveexec_b64 s[26:27], vcc
	s_xor_b64 s[30:31], exec, s[26:27]
	s_cbranch_execz .LBB4_1130
; %bb.1121:                             ;   in Loop: Header=BB4_137 Depth=3
	v_mov_b32_e32 v16, 0
	v_cmp_ne_u32_e32 vcc, 0, v0
	s_and_saveexec_b64 s[34:35], vcc
	s_cbranch_execz .LBB4_1129
; %bb.1122:                             ;   in Loop: Header=BB4_137 Depth=3
	v_bfe_u32 v7, v0, 23, 8
	v_and_b32_e32 v8, 0x7fffff, v0
	v_cmp_gt_u32_e64 s[26:27], s71, v7
	v_sub_u32_e32 v0, 0x79, v7
	v_cmp_eq_u32_e32 vcc, 0, v7
	v_cndmask_b32_e64 v0, 0, v0, s[26:27]
	v_mov_b32_e32 v12, 0x78
	v_cndmask_b32_e32 v0, v0, v12, vcc
	v_add_u32_e32 v12, 20, v0
	v_or_b32_e32 v9, 0x800000, v8
	v_lshlrev_b64 v[12:13], v12, -1
	v_cndmask_b32_e32 v8, v9, v8, vcc
	v_mov_b32_e32 v9, v3
	v_add_u32_e32 v14, 19, v0
	v_bfi_b32 v12, v12, 0, v8
	v_lshlrev_b64 v[14:15], v14, 1
	v_lshrrev_b64 v[8:9], v0, v[8:9]
	v_bfi_b32 v13, v13, 0, 0
	v_cmp_eq_u64_e64 s[26:27], v[12:13], v[14:15]
	v_mov_b32_e32 v47, v9
	v_mov_b32_e32 v46, v8
	s_and_saveexec_b64 s[36:37], s[26:27]
; %bb.1123:                             ;   in Loop: Header=BB4_137 Depth=3
	v_bfe_u32 v9, v8, 20, 1
	v_add_co_u32_e64 v9, s[26:27], v8, v9
	v_add_co_u32_e64 v46, s[26:27], -1, v9
; %bb.1124:                             ;   in Loop: Header=BB4_137 Depth=3
	s_or_b64 exec, exec, s[36:37]
	v_add_u32_e32 v7, 0xffffff81, v7
	v_mov_b32_e32 v9, 0xffffff82
	v_cndmask_b32_e32 v7, v7, v9, vcc
	v_lshrrev_b32_e32 v9, 23, v8
	v_add3_u32 v12, v0, v7, v9
	v_add_u32_e32 v7, 6, v12
	v_and_b32_e32 v0, 0xfffff, v46
	v_add_u32_e32 v8, v0, v8
	v_mov_b32_e32 v9, v3
	v_cmp_ne_u32_e32 vcc, 0, v7
                                        ; implicit-def: $vgpr0
	s_and_saveexec_b64 s[26:27], vcc
	s_xor_b64 s[26:27], exec, s[26:27]
; %bb.1125:                             ;   in Loop: Header=BB4_137 Depth=3
	v_cmp_lt_u64_e32 vcc, s[74:75], v[8:9]
	v_add_u32_e32 v0, 7, v12
	v_cndmask_b32_e32 v0, v7, v0, vcc
	v_cndmask_b32_e64 v7, 0, 1, vcc
	v_lshrrev_b64 v[8:9], v7, v[8:9]
; %bb.1126:                             ;   in Loop: Header=BB4_137 Depth=3
	s_andn2_saveexec_b64 s[26:27], s[26:27]
; %bb.1127:                             ;   in Loop: Header=BB4_137 Depth=3
	v_bfe_u32 v0, v8, 23, 1
; %bb.1128:                             ;   in Loop: Header=BB4_137 Depth=3
	s_or_b64 exec, exec, s[26:27]
	v_lshrrev_b64 v[7:8], 20, v[8:9]
	v_cmp_gt_i32_e32 vcc, 16, v0
	v_cndmask_b32_e32 v8, 0, v8, vcc
	v_cndmask_b32_e32 v7, 7, v7, vcc
	v_cmp_eq_u32_e32 vcc, 0, v0
	v_min_i32_e32 v0, 15, v0
	v_cmp_eq_u64_e64 s[26:27], 0, v[7:8]
	v_lshlrev_b32_e32 v0, 3, v0
	v_and_b32_e32 v0, 0xf8, v0
	v_and_or_b32 v0, v7, 7, v0
	s_and_b64 s[26:27], vcc, s[26:27]
	v_cndmask_b32_e64 v0, v0, 0, s[26:27]
	v_or_b32_e32 v16, v0, v6
.LBB4_1129:                             ;   in Loop: Header=BB4_137 Depth=3
	s_or_b64 exec, exec, s[34:35]
                                        ; implicit-def: $vgpr6
.LBB4_1130:                             ;   in Loop: Header=BB4_137 Depth=3
	s_andn2_saveexec_b64 s[26:27], s[30:31]
; %bb.1131:                             ;   in Loop: Header=BB4_137 Depth=3
	v_or_b32_e32 v16, 0x7e, v6
; %bb.1132:                             ;   in Loop: Header=BB4_137 Depth=3
	s_or_b64 exec, exec, s[26:27]
                                        ; implicit-def: $vgpr0
.LBB4_1133:                             ;   in Loop: Header=BB4_137 Depth=3
	s_andn2_saveexec_b64 s[26:27], s[94:95]
; %bb.1134:                             ;   in Loop: Header=BB4_137 Depth=3
	v_or_b32_sdwa v16, v0, s68 dst_sel:DWORD dst_unused:UNUSED_PAD src0_sel:BYTE_3 src1_sel:DWORD
; %bb.1135:                             ;   in Loop: Header=BB4_137 Depth=3
	s_or_b64 exec, exec, s[26:27]
	v_lshrrev_b16_e32 v8, 8, v2
	v_cmp_ne_u16_e32 vcc, 0, v8
	v_mov_b32_e32 v0, 0
	s_and_saveexec_b64 s[26:27], vcc
	s_cbranch_execz .LBB4_1141
; %bb.1136:                             ;   in Loop: Header=BB4_137 Depth=3
	v_cmp_ne_u16_e32 vcc, s70, v8
	v_bfrev_b32_e32 v0, 1
	s_and_saveexec_b64 s[94:95], vcc
	s_cbranch_execz .LBB4_1140
; %bb.1137:                             ;   in Loop: Header=BB4_137 Depth=3
	v_and_b32_e32 v6, 0x7f, v8
	v_cmp_ne_u32_e32 vcc, s68, v6
	v_mov_b32_e32 v0, 0x7f800001
	s_and_saveexec_b64 s[30:31], vcc
	s_cbranch_execz .LBB4_1139
; %bb.1138:                             ;   in Loop: Header=BB4_137 Depth=3
	v_and_b32_e32 v0, 7, v8
	v_lshrrev_b32_e32 v9, 3, v6
	v_cmp_gt_u32_e32 vcc, 8, v6
	v_ffbh_u32_e32 v6, v0
	v_min_u32_e32 v12, 32, v6
	v_subrev_u32_e32 v6, 28, v12
	v_lshlrev_b64 v[6:7], v6, v[8:9]
	v_sub_u32_e32 v7, 29, v12
	v_and_b32_e32 v6, 7, v6
	v_cndmask_b32_e32 v7, v9, v7, vcc
	v_cndmask_b32_e32 v0, v0, v6, vcc
	v_lshlrev_b32_e32 v2, 16, v2
	v_lshlrev_b32_e32 v0, 20, v0
	v_and_b32_e32 v2, 0x80000000, v2
	v_lshl_add_u32 v6, v7, 23, v5
	v_or3_b32 v0, v2, v6, v0
.LBB4_1139:                             ;   in Loop: Header=BB4_137 Depth=3
	s_or_b64 exec, exec, s[30:31]
.LBB4_1140:                             ;   in Loop: Header=BB4_137 Depth=3
	s_or_b64 exec, exec, s[94:95]
.LBB4_1141:                             ;   in Loop: Header=BB4_137 Depth=3
	s_or_b64 exec, exec, s[26:27]
	v_mul_f32_e32 v0, v60, v0
	v_and_b32_e32 v2, 0x7f800000, v0
	v_cmp_ne_u64_e32 vcc, s[62:63], v[2:3]
                                        ; implicit-def: $vgpr26
	s_and_saveexec_b64 s[26:27], vcc
	s_xor_b64 s[94:95], exec, s[26:27]
	s_cbranch_execz .LBB4_1155
; %bb.1142:                             ;   in Loop: Header=BB4_137 Depth=3
	v_and_b32_e32 v2, 0x7fffffff, v0
	v_cmp_gt_u64_e32 vcc, s[72:73], v[2:3]
	v_and_b32_sdwa v6, v0, s70 dst_sel:DWORD dst_unused:UNUSED_PAD src0_sel:BYTE_3 src1_sel:DWORD
                                        ; implicit-def: $vgpr26
	s_and_saveexec_b64 s[26:27], vcc
	s_xor_b64 s[30:31], exec, s[26:27]
	s_cbranch_execz .LBB4_1152
; %bb.1143:                             ;   in Loop: Header=BB4_137 Depth=3
	v_mov_b32_e32 v26, 0
	v_cmp_ne_u32_e32 vcc, 0, v0
	s_and_saveexec_b64 s[34:35], vcc
	s_cbranch_execz .LBB4_1151
; %bb.1144:                             ;   in Loop: Header=BB4_137 Depth=3
	v_bfe_u32 v7, v0, 23, 8
	v_and_b32_e32 v2, 0x7fffff, v0
	v_cmp_gt_u32_e64 s[26:27], s71, v7
	v_sub_u32_e32 v0, 0x79, v7
	v_cmp_eq_u32_e32 vcc, 0, v7
	v_cndmask_b32_e64 v0, 0, v0, s[26:27]
	v_mov_b32_e32 v9, 0x78
	v_or_b32_e32 v8, 0x800000, v2
	v_cndmask_b32_e32 v0, v0, v9, vcc
	v_cndmask_b32_e32 v2, v8, v2, vcc
	v_add_u32_e32 v8, 20, v0
	v_lshlrev_b64 v[8:9], v8, -1
	v_add_u32_e32 v12, 19, v0
	v_lshlrev_b64 v[12:13], v12, 1
	v_bfi_b32 v9, v9, 0, 0
	v_bfi_b32 v8, v8, 0, v2
	v_cmp_eq_u64_e64 s[26:27], v[8:9], v[12:13]
	v_lshrrev_b64 v[8:9], v0, v[2:3]
	v_mov_b32_e32 v47, v9
	v_mov_b32_e32 v46, v8
	s_and_saveexec_b64 s[36:37], s[26:27]
; %bb.1145:                             ;   in Loop: Header=BB4_137 Depth=3
	v_bfe_u32 v2, v8, 20, 1
	v_add_co_u32_e64 v2, s[26:27], v8, v2
	v_add_co_u32_e64 v46, s[26:27], -1, v2
; %bb.1146:                             ;   in Loop: Header=BB4_137 Depth=3
	s_or_b64 exec, exec, s[36:37]
	v_add_u32_e32 v2, 0xffffff81, v7
	v_mov_b32_e32 v7, 0xffffff82
	v_cndmask_b32_e32 v2, v2, v7, vcc
	v_lshrrev_b32_e32 v7, 23, v8
	v_add3_u32 v12, v0, v2, v7
	v_add_u32_e32 v7, 6, v12
	v_and_b32_e32 v0, 0xfffff, v46
	v_add_u32_e32 v2, v0, v8
	v_cmp_ne_u32_e32 vcc, 0, v7
                                        ; implicit-def: $vgpr8_vgpr9
                                        ; implicit-def: $vgpr0
	s_and_saveexec_b64 s[26:27], vcc
	s_xor_b64 s[26:27], exec, s[26:27]
; %bb.1147:                             ;   in Loop: Header=BB4_137 Depth=3
	v_cmp_lt_u64_e32 vcc, s[74:75], v[2:3]
	v_add_u32_e32 v0, 7, v12
	v_cndmask_b32_e32 v0, v7, v0, vcc
	v_cndmask_b32_e64 v7, 0, 1, vcc
	v_lshrrev_b64 v[8:9], v7, v[2:3]
; %bb.1148:                             ;   in Loop: Header=BB4_137 Depth=3
	s_andn2_saveexec_b64 s[26:27], s[26:27]
; %bb.1149:                             ;   in Loop: Header=BB4_137 Depth=3
	v_mov_b32_e32 v9, v3
	v_bfe_u32 v0, v2, 23, 1
	v_mov_b32_e32 v8, v2
; %bb.1150:                             ;   in Loop: Header=BB4_137 Depth=3
	s_or_b64 exec, exec, s[26:27]
	v_lshrrev_b64 v[7:8], 20, v[8:9]
	v_cmp_gt_i32_e32 vcc, 16, v0
	v_cndmask_b32_e32 v8, 0, v8, vcc
	v_cndmask_b32_e32 v7, 7, v7, vcc
	v_cmp_eq_u32_e32 vcc, 0, v0
	v_min_i32_e32 v0, 15, v0
	v_cmp_eq_u64_e64 s[26:27], 0, v[7:8]
	v_lshlrev_b32_e32 v0, 3, v0
	v_and_b32_e32 v0, 0xf8, v0
	v_and_or_b32 v0, v7, 7, v0
	s_and_b64 s[26:27], vcc, s[26:27]
	v_cndmask_b32_e64 v0, v0, 0, s[26:27]
	v_or_b32_e32 v26, v0, v6
.LBB4_1151:                             ;   in Loop: Header=BB4_137 Depth=3
	s_or_b64 exec, exec, s[34:35]
                                        ; implicit-def: $vgpr6
.LBB4_1152:                             ;   in Loop: Header=BB4_137 Depth=3
	s_andn2_saveexec_b64 s[26:27], s[30:31]
; %bb.1153:                             ;   in Loop: Header=BB4_137 Depth=3
	v_or_b32_e32 v26, 0x7e, v6
; %bb.1154:                             ;   in Loop: Header=BB4_137 Depth=3
	s_or_b64 exec, exec, s[26:27]
                                        ; implicit-def: $vgpr0
.LBB4_1155:                             ;   in Loop: Header=BB4_137 Depth=3
	s_andn2_saveexec_b64 s[26:27], s[94:95]
; %bb.1156:                             ;   in Loop: Header=BB4_137 Depth=3
	v_or_b32_sdwa v26, v0, s68 dst_sel:DWORD dst_unused:UNUSED_PAD src0_sel:BYTE_3 src1_sel:DWORD
; %bb.1157:                             ;   in Loop: Header=BB4_137 Depth=3
	s_or_b64 exec, exec, s[26:27]
	v_lshrrev_b32_e32 v2, 16, v11
	v_cmp_ne_u16_sdwa s[94:95], v2, v3 src0_sel:BYTE_0 src1_sel:DWORD
	v_mov_b32_e32 v0, 0
	s_and_saveexec_b64 s[26:27], s[94:95]
	s_cbranch_execz .LBB4_1163
; %bb.1158:                             ;   in Loop: Header=BB4_137 Depth=3
	v_cmp_ne_u16_sdwa vcc, v2, s70 src0_sel:BYTE_0 src1_sel:DWORD
	v_bfrev_b32_e32 v0, 1
	s_and_saveexec_b64 s[94:95], vcc
	s_cbranch_execz .LBB4_1162
; %bb.1159:                             ;   in Loop: Header=BB4_137 Depth=3
	v_bfe_u32 v6, v11, 16, 7
	v_cmp_ne_u32_e32 vcc, s68, v6
	v_mov_b32_e32 v0, 0x7f800001
	s_and_saveexec_b64 s[30:31], vcc
	s_cbranch_execz .LBB4_1161
; %bb.1160:                             ;   in Loop: Header=BB4_137 Depth=3
	v_and_b32_e32 v0, 7, v2
	v_lshrrev_b32_e32 v8, 3, v6
	v_cmp_gt_u32_e32 vcc, 8, v6
	v_ffbh_u32_e32 v6, v0
	v_min_u32_e32 v9, 32, v6
	v_subrev_u32_e32 v6, 28, v9
	v_lshlrev_b64 v[6:7], v6, v[2:3]
	v_sub_u32_e32 v7, 29, v9
	v_and_b32_e32 v6, 7, v6
	v_cndmask_b32_e32 v7, v8, v7, vcc
	v_cndmask_b32_e32 v0, v0, v6, vcc
	v_lshlrev_b32_e32 v2, 24, v2
	v_lshlrev_b32_e32 v0, 20, v0
	v_and_b32_e32 v2, 0x80000000, v2
	v_lshl_add_u32 v6, v7, 23, v5
	v_or3_b32 v0, v2, v6, v0
.LBB4_1161:                             ;   in Loop: Header=BB4_137 Depth=3
	s_or_b64 exec, exec, s[30:31]
.LBB4_1162:                             ;   in Loop: Header=BB4_137 Depth=3
	s_or_b64 exec, exec, s[94:95]
.LBB4_1163:                             ;   in Loop: Header=BB4_137 Depth=3
	s_or_b64 exec, exec, s[26:27]
	v_mul_f32_e32 v0, v60, v0
	v_and_b32_e32 v2, 0x7f800000, v0
	v_cmp_ne_u64_e32 vcc, s[62:63], v[2:3]
                                        ; implicit-def: $vgpr47
	s_and_saveexec_b64 s[26:27], vcc
	s_xor_b64 s[94:95], exec, s[26:27]
	s_cbranch_execz .LBB4_1177
; %bb.1164:                             ;   in Loop: Header=BB4_137 Depth=3
	v_and_b32_e32 v2, 0x7fffffff, v0
	v_cmp_gt_u64_e32 vcc, s[72:73], v[2:3]
	v_and_b32_sdwa v6, v0, s70 dst_sel:DWORD dst_unused:UNUSED_PAD src0_sel:BYTE_3 src1_sel:DWORD
                                        ; implicit-def: $vgpr47
	s_and_saveexec_b64 s[26:27], vcc
	s_xor_b64 s[30:31], exec, s[26:27]
	s_cbranch_execz .LBB4_1174
; %bb.1165:                             ;   in Loop: Header=BB4_137 Depth=3
	v_mov_b32_e32 v47, 0
	v_cmp_ne_u32_e32 vcc, 0, v0
	s_and_saveexec_b64 s[34:35], vcc
	s_cbranch_execz .LBB4_1173
; %bb.1166:                             ;   in Loop: Header=BB4_137 Depth=3
	v_bfe_u32 v7, v0, 23, 8
	v_and_b32_e32 v2, 0x7fffff, v0
	v_cmp_gt_u32_e64 s[26:27], s71, v7
	v_sub_u32_e32 v0, 0x79, v7
	v_cmp_eq_u32_e32 vcc, 0, v7
	v_cndmask_b32_e64 v0, 0, v0, s[26:27]
	v_mov_b32_e32 v9, 0x78
	v_or_b32_e32 v8, 0x800000, v2
	v_cndmask_b32_e32 v0, v0, v9, vcc
	v_cndmask_b32_e32 v2, v8, v2, vcc
	v_add_u32_e32 v8, 20, v0
	v_lshlrev_b64 v[8:9], v8, -1
	v_add_u32_e32 v12, 19, v0
	v_lshlrev_b64 v[12:13], v12, 1
	v_bfi_b32 v9, v9, 0, 0
	v_bfi_b32 v8, v8, 0, v2
	v_cmp_eq_u64_e64 s[26:27], v[8:9], v[12:13]
	v_lshrrev_b64 v[8:9], v0, v[2:3]
	v_mov_b32_e32 v47, v9
	v_mov_b32_e32 v46, v8
	s_and_saveexec_b64 s[36:37], s[26:27]
; %bb.1167:                             ;   in Loop: Header=BB4_137 Depth=3
	v_bfe_u32 v2, v8, 20, 1
	v_add_co_u32_e64 v2, s[26:27], v8, v2
	v_add_co_u32_e64 v46, s[26:27], -1, v2
; %bb.1168:                             ;   in Loop: Header=BB4_137 Depth=3
	s_or_b64 exec, exec, s[36:37]
	v_add_u32_e32 v2, 0xffffff81, v7
	v_mov_b32_e32 v7, 0xffffff82
	v_cndmask_b32_e32 v2, v2, v7, vcc
	v_lshrrev_b32_e32 v7, 23, v8
	v_add3_u32 v12, v0, v2, v7
	v_add_u32_e32 v7, 6, v12
	v_and_b32_e32 v0, 0xfffff, v46
	v_add_u32_e32 v2, v0, v8
	v_cmp_ne_u32_e32 vcc, 0, v7
                                        ; implicit-def: $vgpr8_vgpr9
                                        ; implicit-def: $vgpr0
	s_and_saveexec_b64 s[26:27], vcc
	s_xor_b64 s[26:27], exec, s[26:27]
; %bb.1169:                             ;   in Loop: Header=BB4_137 Depth=3
	v_cmp_lt_u64_e32 vcc, s[74:75], v[2:3]
	v_add_u32_e32 v0, 7, v12
	v_cndmask_b32_e32 v0, v7, v0, vcc
	v_cndmask_b32_e64 v7, 0, 1, vcc
	v_lshrrev_b64 v[8:9], v7, v[2:3]
; %bb.1170:                             ;   in Loop: Header=BB4_137 Depth=3
	s_andn2_saveexec_b64 s[26:27], s[26:27]
; %bb.1171:                             ;   in Loop: Header=BB4_137 Depth=3
	v_mov_b32_e32 v9, v3
	v_bfe_u32 v0, v2, 23, 1
	v_mov_b32_e32 v8, v2
; %bb.1172:                             ;   in Loop: Header=BB4_137 Depth=3
	s_or_b64 exec, exec, s[26:27]
	v_lshrrev_b64 v[7:8], 20, v[8:9]
	v_cmp_gt_i32_e32 vcc, 16, v0
	v_cndmask_b32_e32 v8, 0, v8, vcc
	v_cndmask_b32_e32 v7, 7, v7, vcc
	v_cmp_eq_u32_e32 vcc, 0, v0
	v_min_i32_e32 v0, 15, v0
	v_cmp_eq_u64_e64 s[26:27], 0, v[7:8]
	v_lshlrev_b32_e32 v0, 3, v0
	v_and_b32_e32 v0, 0xf8, v0
	v_and_or_b32 v0, v7, 7, v0
	s_and_b64 s[26:27], vcc, s[26:27]
	v_cndmask_b32_e64 v0, v0, 0, s[26:27]
	v_or_b32_e32 v47, v0, v6
.LBB4_1173:                             ;   in Loop: Header=BB4_137 Depth=3
	s_or_b64 exec, exec, s[34:35]
                                        ; implicit-def: $vgpr6
.LBB4_1174:                             ;   in Loop: Header=BB4_137 Depth=3
	s_andn2_saveexec_b64 s[26:27], s[30:31]
; %bb.1175:                             ;   in Loop: Header=BB4_137 Depth=3
	v_or_b32_e32 v47, 0x7e, v6
; %bb.1176:                             ;   in Loop: Header=BB4_137 Depth=3
	s_or_b64 exec, exec, s[26:27]
                                        ; implicit-def: $vgpr0
.LBB4_1177:                             ;   in Loop: Header=BB4_137 Depth=3
	s_andn2_saveexec_b64 s[26:27], s[94:95]
; %bb.1178:                             ;   in Loop: Header=BB4_137 Depth=3
	v_or_b32_sdwa v47, v0, s68 dst_sel:DWORD dst_unused:UNUSED_PAD src0_sel:BYTE_3 src1_sel:DWORD
; %bb.1179:                             ;   in Loop: Header=BB4_137 Depth=3
	s_or_b64 exec, exec, s[26:27]
	v_cmp_lt_u64_e32 vcc, s[56:57], v[10:11]
	v_mov_b32_e32 v0, 0
	s_and_saveexec_b64 s[26:27], vcc
	s_cbranch_execz .LBB4_1185
; %bb.1180:                             ;   in Loop: Header=BB4_137 Depth=3
	v_lshrrev_b32_e32 v2, 24, v11
	v_cmp_ne_u32_e32 vcc, s70, v2
	v_bfrev_b32_e32 v0, 1
	s_and_saveexec_b64 s[94:95], vcc
	s_cbranch_execz .LBB4_1184
; %bb.1181:                             ;   in Loop: Header=BB4_137 Depth=3
	v_bfe_u32 v6, v11, 24, 7
	v_cmp_ne_u32_e32 vcc, s68, v6
	v_mov_b32_e32 v0, 0x7f800001
	s_and_saveexec_b64 s[30:31], vcc
	s_cbranch_execz .LBB4_1183
; %bb.1182:                             ;   in Loop: Header=BB4_137 Depth=3
	v_and_b32_e32 v0, 7, v2
	v_lshrrev_b32_e32 v8, 3, v6
	v_cmp_gt_u32_e32 vcc, 8, v6
	v_ffbh_u32_e32 v6, v0
	v_min_u32_e32 v9, 32, v6
	v_subrev_u32_e32 v6, 28, v9
	v_lshlrev_b64 v[6:7], v6, v[2:3]
	v_sub_u32_e32 v7, 29, v9
	v_and_b32_e32 v6, 7, v6
	v_cndmask_b32_e32 v7, v8, v7, vcc
	v_cndmask_b32_e32 v0, v0, v6, vcc
	v_lshlrev_b32_e32 v2, 24, v2
	v_lshlrev_b32_e32 v0, 20, v0
	v_and_b32_e32 v2, 0x80000000, v2
	v_lshl_add_u32 v6, v7, 23, v5
	v_or3_b32 v0, v2, v6, v0
.LBB4_1183:                             ;   in Loop: Header=BB4_137 Depth=3
	s_or_b64 exec, exec, s[30:31]
.LBB4_1184:                             ;   in Loop: Header=BB4_137 Depth=3
	s_or_b64 exec, exec, s[94:95]
.LBB4_1185:                             ;   in Loop: Header=BB4_137 Depth=3
	s_or_b64 exec, exec, s[26:27]
	v_mul_f32_e32 v0, v60, v0
	v_and_b32_e32 v2, 0x7f800000, v0
	v_cmp_ne_u64_e32 vcc, s[62:63], v[2:3]
                                        ; implicit-def: $vgpr27
	s_and_saveexec_b64 s[26:27], vcc
	s_xor_b64 s[94:95], exec, s[26:27]
	s_cbranch_execz .LBB4_1199
; %bb.1186:                             ;   in Loop: Header=BB4_137 Depth=3
	v_and_b32_e32 v2, 0x7fffffff, v0
	v_cmp_gt_u64_e32 vcc, s[72:73], v[2:3]
	v_and_b32_sdwa v6, v0, s70 dst_sel:DWORD dst_unused:UNUSED_PAD src0_sel:BYTE_3 src1_sel:DWORD
                                        ; implicit-def: $vgpr27
	s_and_saveexec_b64 s[26:27], vcc
	s_xor_b64 s[30:31], exec, s[26:27]
	s_cbranch_execz .LBB4_1196
; %bb.1187:                             ;   in Loop: Header=BB4_137 Depth=3
	v_mov_b32_e32 v27, 0
	v_cmp_ne_u32_e32 vcc, 0, v0
	s_and_saveexec_b64 s[34:35], vcc
	s_cbranch_execz .LBB4_1195
; %bb.1188:                             ;   in Loop: Header=BB4_137 Depth=3
	v_bfe_u32 v7, v0, 23, 8
	v_and_b32_e32 v2, 0x7fffff, v0
	v_cmp_gt_u32_e64 s[26:27], s71, v7
	v_sub_u32_e32 v0, 0x79, v7
	v_cmp_eq_u32_e32 vcc, 0, v7
	v_cndmask_b32_e64 v0, 0, v0, s[26:27]
	v_mov_b32_e32 v9, 0x78
	v_or_b32_e32 v8, 0x800000, v2
	v_cndmask_b32_e32 v0, v0, v9, vcc
	v_cndmask_b32_e32 v2, v8, v2, vcc
	v_add_u32_e32 v8, 20, v0
	v_lshlrev_b64 v[8:9], v8, -1
	v_add_u32_e32 v10, 19, v0
	v_lshlrev_b64 v[10:11], v10, 1
	v_bfi_b32 v9, v9, 0, 0
	v_bfi_b32 v8, v8, 0, v2
	v_cmp_eq_u64_e64 s[26:27], v[8:9], v[10:11]
	v_lshrrev_b64 v[8:9], v0, v[2:3]
	v_mov_b32_e32 v10, v9
	v_mov_b32_e32 v9, v8
	s_and_saveexec_b64 s[36:37], s[26:27]
; %bb.1189:                             ;   in Loop: Header=BB4_137 Depth=3
	v_bfe_u32 v2, v8, 20, 1
	v_add_co_u32_e64 v2, s[26:27], v8, v2
	v_add_co_u32_e64 v9, s[26:27], -1, v2
; %bb.1190:                             ;   in Loop: Header=BB4_137 Depth=3
	s_or_b64 exec, exec, s[36:37]
	v_add_u32_e32 v2, 0xffffff81, v7
	v_mov_b32_e32 v7, 0xffffff82
	v_cndmask_b32_e32 v2, v2, v7, vcc
	v_lshrrev_b32_e32 v7, 23, v8
	v_add3_u32 v10, v0, v2, v7
	v_add_u32_e32 v7, 6, v10
	v_and_b32_e32 v0, 0xfffff, v9
	v_add_u32_e32 v2, v0, v8
	v_cmp_ne_u32_e32 vcc, 0, v7
                                        ; implicit-def: $vgpr8_vgpr9
                                        ; implicit-def: $vgpr0
	s_and_saveexec_b64 s[26:27], vcc
	s_xor_b64 s[26:27], exec, s[26:27]
; %bb.1191:                             ;   in Loop: Header=BB4_137 Depth=3
	v_cmp_lt_u64_e32 vcc, s[74:75], v[2:3]
	v_add_u32_e32 v0, 7, v10
	v_cndmask_b32_e32 v0, v7, v0, vcc
	v_cndmask_b32_e64 v7, 0, 1, vcc
	v_lshrrev_b64 v[8:9], v7, v[2:3]
; %bb.1192:                             ;   in Loop: Header=BB4_137 Depth=3
	s_andn2_saveexec_b64 s[26:27], s[26:27]
; %bb.1193:                             ;   in Loop: Header=BB4_137 Depth=3
	v_mov_b32_e32 v9, v3
	v_bfe_u32 v0, v2, 23, 1
	v_mov_b32_e32 v8, v2
; %bb.1194:                             ;   in Loop: Header=BB4_137 Depth=3
	s_or_b64 exec, exec, s[26:27]
	v_lshrrev_b64 v[7:8], 20, v[8:9]
	v_cmp_gt_i32_e32 vcc, 16, v0
	v_cndmask_b32_e32 v8, 0, v8, vcc
	v_cndmask_b32_e32 v7, 7, v7, vcc
	v_cmp_eq_u32_e32 vcc, 0, v0
	v_min_i32_e32 v0, 15, v0
	v_cmp_eq_u64_e64 s[26:27], 0, v[7:8]
	v_lshlrev_b32_e32 v0, 3, v0
	v_and_b32_e32 v0, 0xf8, v0
	v_and_or_b32 v0, v7, 7, v0
	s_and_b64 s[26:27], vcc, s[26:27]
	v_cndmask_b32_e64 v0, v0, 0, s[26:27]
	v_or_b32_e32 v27, v0, v6
.LBB4_1195:                             ;   in Loop: Header=BB4_137 Depth=3
	s_or_b64 exec, exec, s[34:35]
                                        ; implicit-def: $vgpr6
.LBB4_1196:                             ;   in Loop: Header=BB4_137 Depth=3
	s_andn2_saveexec_b64 s[26:27], s[30:31]
; %bb.1197:                             ;   in Loop: Header=BB4_137 Depth=3
	v_or_b32_e32 v27, 0x7e, v6
; %bb.1198:                             ;   in Loop: Header=BB4_137 Depth=3
	s_or_b64 exec, exec, s[26:27]
                                        ; implicit-def: $vgpr0
.LBB4_1199:                             ;   in Loop: Header=BB4_137 Depth=3
	s_andn2_saveexec_b64 s[26:27], s[94:95]
; %bb.1200:                             ;   in Loop: Header=BB4_137 Depth=3
	v_or_b32_sdwa v27, v0, s68 dst_sel:DWORD dst_unused:UNUSED_PAD src0_sel:BYTE_3 src1_sel:DWORD
; %bb.1201:                             ;   in Loop: Header=BB4_137 Depth=3
	s_or_b64 exec, exec, s[26:27]
	global_load_dwordx4 v[8:11], v[44:45], off offset:3072 glc slc
	v_mov_b32_e32 v0, 0
	s_waitcnt vmcnt(0)
	v_cmp_ne_u16_sdwa s[94:95], v8, v3 src0_sel:BYTE_0 src1_sel:DWORD
	s_and_saveexec_b64 s[26:27], s[94:95]
	s_cbranch_execz .LBB4_1207
; %bb.1202:                             ;   in Loop: Header=BB4_137 Depth=3
	v_cmp_ne_u16_sdwa vcc, v8, s70 src0_sel:BYTE_0 src1_sel:DWORD
	v_bfrev_b32_e32 v0, 1
	s_and_saveexec_b64 s[94:95], vcc
	s_cbranch_execz .LBB4_1206
; %bb.1203:                             ;   in Loop: Header=BB4_137 Depth=3
	v_and_b32_e32 v2, 0x7f, v8
	v_cmp_ne_u32_e32 vcc, s68, v2
	v_mov_b32_e32 v0, 0x7f800001
	s_and_saveexec_b64 s[30:31], vcc
	s_cbranch_execz .LBB4_1205
; %bb.1204:                             ;   in Loop: Header=BB4_137 Depth=3
	v_and_b32_e32 v0, 7, v8
	v_ffbh_u32_e32 v0, v0
	v_min_u32_e32 v0, 32, v0
	v_lshrrev_b32_e32 v6, 3, v2
	v_cmp_gt_u32_e32 vcc, 8, v2
	v_subrev_u32_e32 v2, 28, v0
	v_sub_u32_e32 v0, 29, v0
	v_cndmask_b32_e32 v2, 0, v2, vcc
	v_cndmask_b32_e32 v0, v6, v0, vcc
	v_lshlrev_b64 v[6:7], v2, v[8:9]
	v_lshl_add_u32 v0, v0, 23, v5
	v_lshlrev_b32_e32 v2, 20, v6
	v_lshlrev_b32_e32 v6, 24, v8
	v_and_b32_e32 v2, 0x700000, v2
	v_and_b32_e32 v6, 0x80000000, v6
	v_or3_b32 v0, v6, v0, v2
.LBB4_1205:                             ;   in Loop: Header=BB4_137 Depth=3
	s_or_b64 exec, exec, s[30:31]
.LBB4_1206:                             ;   in Loop: Header=BB4_137 Depth=3
	s_or_b64 exec, exec, s[94:95]
.LBB4_1207:                             ;   in Loop: Header=BB4_137 Depth=3
	s_or_b64 exec, exec, s[26:27]
	v_mul_f32_e32 v0, v60, v0
	v_and_b32_e32 v2, 0x7f800000, v0
	v_cmp_ne_u64_e32 vcc, s[62:63], v[2:3]
                                        ; implicit-def: $vgpr18
	s_and_saveexec_b64 s[26:27], vcc
	s_xor_b64 s[94:95], exec, s[26:27]
	s_cbranch_execz .LBB4_1221
; %bb.1208:                             ;   in Loop: Header=BB4_137 Depth=3
	v_and_b32_e32 v2, 0x7fffffff, v0
	v_cmp_gt_u64_e32 vcc, s[72:73], v[2:3]
	v_and_b32_sdwa v6, v0, s70 dst_sel:DWORD dst_unused:UNUSED_PAD src0_sel:BYTE_3 src1_sel:DWORD
                                        ; implicit-def: $vgpr18
	s_and_saveexec_b64 s[26:27], vcc
	s_xor_b64 s[30:31], exec, s[26:27]
	s_cbranch_execz .LBB4_1218
; %bb.1209:                             ;   in Loop: Header=BB4_137 Depth=3
	v_mov_b32_e32 v18, 0
	v_cmp_ne_u32_e32 vcc, 0, v0
	s_and_saveexec_b64 s[34:35], vcc
	s_cbranch_execz .LBB4_1217
; %bb.1210:                             ;   in Loop: Header=BB4_137 Depth=3
	v_bfe_u32 v7, v0, 23, 8
	v_and_b32_e32 v2, 0x7fffff, v0
	v_cmp_gt_u32_e64 s[26:27], s71, v7
	v_sub_u32_e32 v0, 0x79, v7
	v_cmp_eq_u32_e32 vcc, 0, v7
	v_cndmask_b32_e64 v0, 0, v0, s[26:27]
	v_mov_b32_e32 v13, 0x78
	v_or_b32_e32 v12, 0x800000, v2
	v_cndmask_b32_e32 v0, v0, v13, vcc
	v_cndmask_b32_e32 v2, v12, v2, vcc
	v_add_u32_e32 v12, 20, v0
	v_lshlrev_b64 v[12:13], v12, -1
	v_add_u32_e32 v14, 19, v0
	v_lshlrev_b64 v[14:15], v14, 1
	v_lshrrev_b64 v[44:45], v0, v[2:3]
	v_bfi_b32 v13, v13, 0, 0
	v_bfi_b32 v12, v12, 0, v2
	v_cmp_eq_u64_e64 s[26:27], v[12:13], v[14:15]
	v_mov_b32_e32 v46, v45
	v_mov_b32_e32 v45, v44
	s_and_saveexec_b64 s[36:37], s[26:27]
; %bb.1211:                             ;   in Loop: Header=BB4_137 Depth=3
	v_bfe_u32 v2, v44, 20, 1
	v_add_co_u32_e64 v2, s[26:27], v44, v2
	v_add_co_u32_e64 v45, s[26:27], -1, v2
; %bb.1212:                             ;   in Loop: Header=BB4_137 Depth=3
	s_or_b64 exec, exec, s[36:37]
	v_add_u32_e32 v2, 0xffffff81, v7
	v_mov_b32_e32 v7, 0xffffff82
	v_cndmask_b32_e32 v2, v2, v7, vcc
	v_lshrrev_b32_e32 v7, 23, v44
	v_add3_u32 v12, v0, v2, v7
	v_add_u32_e32 v7, 6, v12
	v_and_b32_e32 v0, 0xfffff, v45
	v_add_u32_e32 v2, v0, v44
	v_cmp_ne_u32_e32 vcc, 0, v7
                                        ; implicit-def: $vgpr44_vgpr45
                                        ; implicit-def: $vgpr0
	s_and_saveexec_b64 s[26:27], vcc
	s_xor_b64 s[26:27], exec, s[26:27]
; %bb.1213:                             ;   in Loop: Header=BB4_137 Depth=3
	v_cmp_lt_u64_e32 vcc, s[74:75], v[2:3]
	v_add_u32_e32 v0, 7, v12
	v_cndmask_b32_e32 v0, v7, v0, vcc
	v_cndmask_b32_e64 v7, 0, 1, vcc
	v_lshrrev_b64 v[44:45], v7, v[2:3]
; %bb.1214:                             ;   in Loop: Header=BB4_137 Depth=3
	s_andn2_saveexec_b64 s[26:27], s[26:27]
; %bb.1215:                             ;   in Loop: Header=BB4_137 Depth=3
	v_mov_b32_e32 v45, v3
	v_bfe_u32 v0, v2, 23, 1
	v_mov_b32_e32 v44, v2
; %bb.1216:                             ;   in Loop: Header=BB4_137 Depth=3
	s_or_b64 exec, exec, s[26:27]
	v_lshrrev_b64 v[12:13], 20, v[44:45]
	v_cmp_gt_i32_e32 vcc, 16, v0
	v_cndmask_b32_e32 v13, 0, v13, vcc
	v_cndmask_b32_e32 v12, 7, v12, vcc
	v_cmp_eq_u32_e32 vcc, 0, v0
	v_min_i32_e32 v0, 15, v0
	v_cmp_eq_u64_e64 s[26:27], 0, v[12:13]
	v_lshlrev_b32_e32 v0, 3, v0
	v_and_b32_e32 v0, 0xf8, v0
	v_and_or_b32 v0, v12, 7, v0
	s_and_b64 s[26:27], vcc, s[26:27]
	v_cndmask_b32_e64 v0, v0, 0, s[26:27]
	v_or_b32_e32 v18, v0, v6
.LBB4_1217:                             ;   in Loop: Header=BB4_137 Depth=3
	s_or_b64 exec, exec, s[34:35]
                                        ; implicit-def: $vgpr6
.LBB4_1218:                             ;   in Loop: Header=BB4_137 Depth=3
	s_andn2_saveexec_b64 s[26:27], s[30:31]
; %bb.1219:                             ;   in Loop: Header=BB4_137 Depth=3
	v_or_b32_e32 v18, 0x7e, v6
; %bb.1220:                             ;   in Loop: Header=BB4_137 Depth=3
	s_or_b64 exec, exec, s[26:27]
                                        ; implicit-def: $vgpr0
.LBB4_1221:                             ;   in Loop: Header=BB4_137 Depth=3
	s_andn2_saveexec_b64 s[26:27], s[94:95]
; %bb.1222:                             ;   in Loop: Header=BB4_137 Depth=3
	v_or_b32_sdwa v18, v0, s68 dst_sel:DWORD dst_unused:UNUSED_PAD src0_sel:BYTE_3 src1_sel:DWORD
; %bb.1223:                             ;   in Loop: Header=BB4_137 Depth=3
	s_or_b64 exec, exec, s[26:27]
	v_lshrrev_b16_e32 v2, 8, v8
	v_cmp_ne_u16_e32 vcc, 0, v2
	v_mov_b32_e32 v0, 0
	s_and_saveexec_b64 s[26:27], vcc
	s_cbranch_execz .LBB4_1229
; %bb.1224:                             ;   in Loop: Header=BB4_137 Depth=3
	v_cmp_ne_u16_e32 vcc, s70, v2
	v_bfrev_b32_e32 v0, 1
	s_and_saveexec_b64 s[94:95], vcc
	s_cbranch_execz .LBB4_1228
; %bb.1225:                             ;   in Loop: Header=BB4_137 Depth=3
	v_and_b32_e32 v6, 0x7f, v2
	v_cmp_ne_u32_e32 vcc, s68, v6
	v_mov_b32_e32 v0, 0x7f800001
	s_and_saveexec_b64 s[30:31], vcc
	s_cbranch_execz .LBB4_1227
; %bb.1226:                             ;   in Loop: Header=BB4_137 Depth=3
	v_and_b32_e32 v0, 7, v2
	v_lshrrev_b32_e32 v12, 3, v6
	v_cmp_gt_u32_e32 vcc, 8, v6
	v_ffbh_u32_e32 v6, v0
	v_min_u32_e32 v13, 32, v6
	v_subrev_u32_e32 v6, 28, v13
	v_lshlrev_b64 v[6:7], v6, v[2:3]
	v_sub_u32_e32 v2, 29, v13
	v_and_b32_e32 v6, 7, v6
	v_cndmask_b32_e32 v2, v12, v2, vcc
	v_cndmask_b32_e32 v0, v0, v6, vcc
	v_lshlrev_b32_e32 v6, 16, v8
	v_lshlrev_b32_e32 v0, 20, v0
	v_and_b32_e32 v6, 0x80000000, v6
	v_lshl_add_u32 v2, v2, 23, v5
	v_or3_b32 v0, v6, v2, v0
.LBB4_1227:                             ;   in Loop: Header=BB4_137 Depth=3
	s_or_b64 exec, exec, s[30:31]
.LBB4_1228:                             ;   in Loop: Header=BB4_137 Depth=3
	s_or_b64 exec, exec, s[94:95]
.LBB4_1229:                             ;   in Loop: Header=BB4_137 Depth=3
	s_or_b64 exec, exec, s[26:27]
	v_mul_f32_e32 v0, v60, v0
	v_and_b32_e32 v2, 0x7f800000, v0
	v_cmp_ne_u64_e32 vcc, s[62:63], v[2:3]
                                        ; implicit-def: $vgpr6
	s_and_saveexec_b64 s[26:27], vcc
	s_xor_b64 s[94:95], exec, s[26:27]
	s_cbranch_execz .LBB4_1243
; %bb.1230:                             ;   in Loop: Header=BB4_137 Depth=3
	v_and_b32_e32 v2, 0x7fffffff, v0
	v_cmp_gt_u64_e32 vcc, s[72:73], v[2:3]
	v_and_b32_sdwa v7, v0, s70 dst_sel:DWORD dst_unused:UNUSED_PAD src0_sel:BYTE_3 src1_sel:DWORD
                                        ; implicit-def: $vgpr6
	s_and_saveexec_b64 s[26:27], vcc
	s_xor_b64 s[30:31], exec, s[26:27]
	s_cbranch_execz .LBB4_1240
; %bb.1231:                             ;   in Loop: Header=BB4_137 Depth=3
	v_mov_b32_e32 v6, 0
	v_cmp_ne_u32_e32 vcc, 0, v0
	s_and_saveexec_b64 s[34:35], vcc
	s_cbranch_execz .LBB4_1239
; %bb.1232:                             ;   in Loop: Header=BB4_137 Depth=3
	v_bfe_u32 v6, v0, 23, 8
	v_and_b32_e32 v2, 0x7fffff, v0
	v_cmp_gt_u32_e64 s[26:27], s71, v6
	v_sub_u32_e32 v0, 0x79, v6
	v_cmp_eq_u32_e32 vcc, 0, v6
	v_cndmask_b32_e64 v0, 0, v0, s[26:27]
	v_mov_b32_e32 v13, 0x78
	v_or_b32_e32 v12, 0x800000, v2
	v_cndmask_b32_e32 v0, v0, v13, vcc
	v_cndmask_b32_e32 v2, v12, v2, vcc
	v_add_u32_e32 v12, 20, v0
	v_lshlrev_b64 v[12:13], v12, -1
	v_add_u32_e32 v14, 19, v0
	v_lshlrev_b64 v[14:15], v14, 1
	v_lshrrev_b64 v[44:45], v0, v[2:3]
	v_bfi_b32 v13, v13, 0, 0
	v_bfi_b32 v12, v12, 0, v2
	v_cmp_eq_u64_e64 s[26:27], v[12:13], v[14:15]
	v_mov_b32_e32 v46, v45
	v_mov_b32_e32 v45, v44
	s_and_saveexec_b64 s[36:37], s[26:27]
; %bb.1233:                             ;   in Loop: Header=BB4_137 Depth=3
	v_bfe_u32 v2, v44, 20, 1
	v_add_co_u32_e64 v2, s[26:27], v44, v2
	v_add_co_u32_e64 v45, s[26:27], -1, v2
; %bb.1234:                             ;   in Loop: Header=BB4_137 Depth=3
	s_or_b64 exec, exec, s[36:37]
	v_add_u32_e32 v2, 0xffffff81, v6
	v_mov_b32_e32 v6, 0xffffff82
	v_cndmask_b32_e32 v2, v2, v6, vcc
	v_lshrrev_b32_e32 v6, 23, v44
	v_add3_u32 v12, v0, v2, v6
	v_add_u32_e32 v6, 6, v12
	v_and_b32_e32 v0, 0xfffff, v45
	v_add_u32_e32 v2, v0, v44
	v_cmp_ne_u32_e32 vcc, 0, v6
                                        ; implicit-def: $vgpr44_vgpr45
                                        ; implicit-def: $vgpr0
	s_and_saveexec_b64 s[26:27], vcc
	s_xor_b64 s[26:27], exec, s[26:27]
; %bb.1235:                             ;   in Loop: Header=BB4_137 Depth=3
	v_cmp_lt_u64_e32 vcc, s[74:75], v[2:3]
	v_add_u32_e32 v0, 7, v12
	v_cndmask_b32_e32 v0, v6, v0, vcc
	v_cndmask_b32_e64 v6, 0, 1, vcc
	v_lshrrev_b64 v[44:45], v6, v[2:3]
; %bb.1236:                             ;   in Loop: Header=BB4_137 Depth=3
	s_andn2_saveexec_b64 s[26:27], s[26:27]
; %bb.1237:                             ;   in Loop: Header=BB4_137 Depth=3
	v_mov_b32_e32 v45, v3
	v_bfe_u32 v0, v2, 23, 1
	v_mov_b32_e32 v44, v2
; %bb.1238:                             ;   in Loop: Header=BB4_137 Depth=3
	s_or_b64 exec, exec, s[26:27]
	v_lshrrev_b64 v[12:13], 20, v[44:45]
	v_cmp_gt_i32_e32 vcc, 16, v0
	v_cndmask_b32_e32 v13, 0, v13, vcc
	v_cndmask_b32_e32 v12, 7, v12, vcc
	v_cmp_eq_u32_e32 vcc, 0, v0
	v_min_i32_e32 v0, 15, v0
	v_cmp_eq_u64_e64 s[26:27], 0, v[12:13]
	v_lshlrev_b32_e32 v0, 3, v0
	v_and_b32_e32 v0, 0xf8, v0
	v_and_or_b32 v0, v12, 7, v0
	s_and_b64 s[26:27], vcc, s[26:27]
	v_cndmask_b32_e64 v0, v0, 0, s[26:27]
	v_or_b32_e32 v6, v0, v7
.LBB4_1239:                             ;   in Loop: Header=BB4_137 Depth=3
	s_or_b64 exec, exec, s[34:35]
                                        ; implicit-def: $vgpr7
.LBB4_1240:                             ;   in Loop: Header=BB4_137 Depth=3
	s_andn2_saveexec_b64 s[26:27], s[30:31]
; %bb.1241:                             ;   in Loop: Header=BB4_137 Depth=3
	v_or_b32_e32 v6, 0x7e, v7
; %bb.1242:                             ;   in Loop: Header=BB4_137 Depth=3
	s_or_b64 exec, exec, s[26:27]
                                        ; implicit-def: $vgpr0
.LBB4_1243:                             ;   in Loop: Header=BB4_137 Depth=3
	s_andn2_saveexec_b64 s[26:27], s[94:95]
; %bb.1244:                             ;   in Loop: Header=BB4_137 Depth=3
	v_or_b32_sdwa v6, v0, s68 dst_sel:DWORD dst_unused:UNUSED_PAD src0_sel:BYTE_3 src1_sel:DWORD
; %bb.1245:                             ;   in Loop: Header=BB4_137 Depth=3
	s_or_b64 exec, exec, s[26:27]
	v_lshrrev_b32_e32 v2, 16, v8
	v_cmp_ne_u16_sdwa s[94:95], v2, v3 src0_sel:BYTE_0 src1_sel:DWORD
	v_mov_b32_e32 v0, 0
	s_and_saveexec_b64 s[26:27], s[94:95]
	s_cbranch_execz .LBB4_1251
; %bb.1246:                             ;   in Loop: Header=BB4_137 Depth=3
	v_cmp_ne_u16_sdwa vcc, v2, s70 src0_sel:BYTE_0 src1_sel:DWORD
	v_bfrev_b32_e32 v0, 1
	s_and_saveexec_b64 s[94:95], vcc
	s_cbranch_execz .LBB4_1250
; %bb.1247:                             ;   in Loop: Header=BB4_137 Depth=3
	v_bfe_u32 v7, v8, 16, 7
	v_cmp_ne_u32_e32 vcc, s68, v7
	v_mov_b32_e32 v0, 0x7f800001
	s_and_saveexec_b64 s[30:31], vcc
	s_cbranch_execz .LBB4_1249
; %bb.1248:                             ;   in Loop: Header=BB4_137 Depth=3
	v_and_b32_e32 v0, 7, v2
	v_lshrrev_b32_e32 v14, 3, v7
	v_cmp_gt_u32_e32 vcc, 8, v7
	v_ffbh_u32_e32 v7, v0
	v_min_u32_e32 v7, 32, v7
	v_subrev_u32_e32 v12, 28, v7
	v_lshlrev_b64 v[12:13], v12, v[2:3]
	v_sub_u32_e32 v7, 29, v7
	v_and_b32_e32 v12, 7, v12
	v_cndmask_b32_e32 v7, v14, v7, vcc
	v_cndmask_b32_e32 v0, v0, v12, vcc
	v_lshlrev_b32_e32 v2, 24, v2
	v_lshlrev_b32_e32 v0, 20, v0
	v_and_b32_e32 v2, 0x80000000, v2
	v_lshl_add_u32 v7, v7, 23, v5
	v_or3_b32 v0, v2, v7, v0
.LBB4_1249:                             ;   in Loop: Header=BB4_137 Depth=3
	s_or_b64 exec, exec, s[30:31]
.LBB4_1250:                             ;   in Loop: Header=BB4_137 Depth=3
	s_or_b64 exec, exec, s[94:95]
.LBB4_1251:                             ;   in Loop: Header=BB4_137 Depth=3
	s_or_b64 exec, exec, s[26:27]
	v_mul_f32_e32 v0, v60, v0
	v_and_b32_e32 v2, 0x7f800000, v0
	v_cmp_ne_u64_e32 vcc, s[62:63], v[2:3]
                                        ; implicit-def: $vgpr7
	s_and_saveexec_b64 s[26:27], vcc
	s_xor_b64 s[94:95], exec, s[26:27]
	s_cbranch_execz .LBB4_1265
; %bb.1252:                             ;   in Loop: Header=BB4_137 Depth=3
	v_and_b32_e32 v2, 0x7fffffff, v0
	v_cmp_gt_u64_e32 vcc, s[72:73], v[2:3]
	v_and_b32_sdwa v12, v0, s70 dst_sel:DWORD dst_unused:UNUSED_PAD src0_sel:BYTE_3 src1_sel:DWORD
                                        ; implicit-def: $vgpr7
	s_and_saveexec_b64 s[26:27], vcc
	s_xor_b64 s[30:31], exec, s[26:27]
	s_cbranch_execz .LBB4_1262
; %bb.1253:                             ;   in Loop: Header=BB4_137 Depth=3
	v_mov_b32_e32 v7, 0
	v_cmp_ne_u32_e32 vcc, 0, v0
	s_and_saveexec_b64 s[34:35], vcc
	s_cbranch_execz .LBB4_1261
; %bb.1254:                             ;   in Loop: Header=BB4_137 Depth=3
	v_bfe_u32 v7, v0, 23, 8
	v_and_b32_e32 v2, 0x7fffff, v0
	v_cmp_gt_u32_e64 s[26:27], s71, v7
	v_sub_u32_e32 v0, 0x79, v7
	v_cmp_eq_u32_e32 vcc, 0, v7
	v_cndmask_b32_e64 v0, 0, v0, s[26:27]
	v_mov_b32_e32 v14, 0x78
	v_or_b32_e32 v13, 0x800000, v2
	v_cndmask_b32_e32 v0, v0, v14, vcc
	v_cndmask_b32_e32 v2, v13, v2, vcc
	v_add_u32_e32 v13, 20, v0
	v_lshlrev_b64 v[13:14], v13, -1
	v_add_u32_e32 v15, 19, v0
	v_lshlrev_b64 v[44:45], v15, 1
	v_bfi_b32 v14, v14, 0, 0
	v_bfi_b32 v13, v13, 0, v2
	v_cmp_eq_u64_e64 s[26:27], v[13:14], v[44:45]
	v_lshrrev_b64 v[44:45], v0, v[2:3]
	v_mov_b32_e32 v46, v45
	v_mov_b32_e32 v45, v44
	s_and_saveexec_b64 s[36:37], s[26:27]
; %bb.1255:                             ;   in Loop: Header=BB4_137 Depth=3
	v_bfe_u32 v2, v44, 20, 1
	v_add_co_u32_e64 v2, s[26:27], v44, v2
	v_add_co_u32_e64 v45, s[26:27], -1, v2
; %bb.1256:                             ;   in Loop: Header=BB4_137 Depth=3
	s_or_b64 exec, exec, s[36:37]
	v_add_u32_e32 v2, 0xffffff81, v7
	v_mov_b32_e32 v7, 0xffffff82
	v_cndmask_b32_e32 v2, v2, v7, vcc
	v_lshrrev_b32_e32 v7, 23, v44
	v_add3_u32 v13, v0, v2, v7
	v_add_u32_e32 v7, 6, v13
	v_and_b32_e32 v0, 0xfffff, v45
	v_add_u32_e32 v2, v0, v44
	v_cmp_ne_u32_e32 vcc, 0, v7
                                        ; implicit-def: $vgpr44_vgpr45
                                        ; implicit-def: $vgpr0
	s_and_saveexec_b64 s[26:27], vcc
	s_xor_b64 s[26:27], exec, s[26:27]
; %bb.1257:                             ;   in Loop: Header=BB4_137 Depth=3
	v_cmp_lt_u64_e32 vcc, s[74:75], v[2:3]
	v_add_u32_e32 v0, 7, v13
	v_cndmask_b32_e32 v0, v7, v0, vcc
	v_cndmask_b32_e64 v7, 0, 1, vcc
	v_lshrrev_b64 v[44:45], v7, v[2:3]
; %bb.1258:                             ;   in Loop: Header=BB4_137 Depth=3
	s_andn2_saveexec_b64 s[26:27], s[26:27]
; %bb.1259:                             ;   in Loop: Header=BB4_137 Depth=3
	v_mov_b32_e32 v45, v3
	v_bfe_u32 v0, v2, 23, 1
	v_mov_b32_e32 v44, v2
; %bb.1260:                             ;   in Loop: Header=BB4_137 Depth=3
	s_or_b64 exec, exec, s[26:27]
	v_lshrrev_b64 v[13:14], 20, v[44:45]
	v_cmp_gt_i32_e32 vcc, 16, v0
	v_cndmask_b32_e32 v14, 0, v14, vcc
	v_cndmask_b32_e32 v13, 7, v13, vcc
	v_cmp_eq_u32_e32 vcc, 0, v0
	v_min_i32_e32 v0, 15, v0
	v_cmp_eq_u64_e64 s[26:27], 0, v[13:14]
	v_lshlrev_b32_e32 v0, 3, v0
	v_and_b32_e32 v0, 0xf8, v0
	v_and_or_b32 v0, v13, 7, v0
	s_and_b64 s[26:27], vcc, s[26:27]
	v_cndmask_b32_e64 v0, v0, 0, s[26:27]
	v_or_b32_e32 v7, v0, v12
.LBB4_1261:                             ;   in Loop: Header=BB4_137 Depth=3
	s_or_b64 exec, exec, s[34:35]
                                        ; implicit-def: $vgpr12
.LBB4_1262:                             ;   in Loop: Header=BB4_137 Depth=3
	s_andn2_saveexec_b64 s[26:27], s[30:31]
; %bb.1263:                             ;   in Loop: Header=BB4_137 Depth=3
	v_or_b32_e32 v7, 0x7e, v12
; %bb.1264:                             ;   in Loop: Header=BB4_137 Depth=3
	s_or_b64 exec, exec, s[26:27]
                                        ; implicit-def: $vgpr0
.LBB4_1265:                             ;   in Loop: Header=BB4_137 Depth=3
	s_andn2_saveexec_b64 s[26:27], s[94:95]
; %bb.1266:                             ;   in Loop: Header=BB4_137 Depth=3
	v_or_b32_sdwa v7, v0, s68 dst_sel:DWORD dst_unused:UNUSED_PAD src0_sel:BYTE_3 src1_sel:DWORD
; %bb.1267:                             ;   in Loop: Header=BB4_137 Depth=3
	s_or_b64 exec, exec, s[26:27]
	v_cmp_lt_u32_e32 vcc, s57, v8
	v_mov_b32_e32 v0, 0
	s_and_saveexec_b64 s[26:27], vcc
	s_cbranch_execz .LBB4_1273
; %bb.1268:                             ;   in Loop: Header=BB4_137 Depth=3
	v_lshrrev_b32_e32 v2, 24, v8
	v_cmp_ne_u32_e32 vcc, s70, v2
	v_bfrev_b32_e32 v0, 1
	s_and_saveexec_b64 s[94:95], vcc
	s_cbranch_execz .LBB4_1272
; %bb.1269:                             ;   in Loop: Header=BB4_137 Depth=3
	v_bfe_u32 v12, v8, 24, 7
	v_cmp_ne_u32_e32 vcc, s68, v12
	v_mov_b32_e32 v0, 0x7f800001
	s_and_saveexec_b64 s[30:31], vcc
	s_cbranch_execz .LBB4_1271
; %bb.1270:                             ;   in Loop: Header=BB4_137 Depth=3
	v_and_b32_e32 v0, 7, v2
	v_lshrrev_b32_e32 v14, 3, v12
	v_cmp_gt_u32_e32 vcc, 8, v12
	v_ffbh_u32_e32 v12, v0
	v_min_u32_e32 v15, 32, v12
	v_subrev_u32_e32 v12, 28, v15
	v_lshlrev_b64 v[12:13], v12, v[2:3]
	v_sub_u32_e32 v13, 29, v15
	v_and_b32_e32 v12, 7, v12
	v_cndmask_b32_e32 v13, v14, v13, vcc
	v_cndmask_b32_e32 v0, v0, v12, vcc
	v_lshlrev_b32_e32 v2, 24, v2
	v_lshlrev_b32_e32 v0, 20, v0
	v_and_b32_e32 v2, 0x80000000, v2
	v_lshl_add_u32 v12, v13, 23, v5
	v_or3_b32 v0, v2, v12, v0
.LBB4_1271:                             ;   in Loop: Header=BB4_137 Depth=3
	s_or_b64 exec, exec, s[30:31]
.LBB4_1272:                             ;   in Loop: Header=BB4_137 Depth=3
	s_or_b64 exec, exec, s[94:95]
.LBB4_1273:                             ;   in Loop: Header=BB4_137 Depth=3
	s_or_b64 exec, exec, s[26:27]
	v_mul_f32_e32 v0, v60, v0
	v_and_b32_e32 v2, 0x7f800000, v0
	v_cmp_ne_u64_e32 vcc, s[62:63], v[2:3]
                                        ; implicit-def: $vgpr20
	s_and_saveexec_b64 s[26:27], vcc
	s_xor_b64 s[94:95], exec, s[26:27]
	s_cbranch_execz .LBB4_1287
; %bb.1274:                             ;   in Loop: Header=BB4_137 Depth=3
	v_and_b32_e32 v2, 0x7fffffff, v0
	v_cmp_gt_u64_e32 vcc, s[72:73], v[2:3]
	v_and_b32_sdwa v12, v0, s70 dst_sel:DWORD dst_unused:UNUSED_PAD src0_sel:BYTE_3 src1_sel:DWORD
                                        ; implicit-def: $vgpr20
	s_and_saveexec_b64 s[26:27], vcc
	s_xor_b64 s[30:31], exec, s[26:27]
	s_cbranch_execz .LBB4_1284
; %bb.1275:                             ;   in Loop: Header=BB4_137 Depth=3
	v_mov_b32_e32 v20, 0
	v_cmp_ne_u32_e32 vcc, 0, v0
	s_and_saveexec_b64 s[34:35], vcc
	s_cbranch_execz .LBB4_1283
; %bb.1276:                             ;   in Loop: Header=BB4_137 Depth=3
	v_bfe_u32 v13, v0, 23, 8
	v_and_b32_e32 v2, 0x7fffff, v0
	v_cmp_gt_u32_e64 s[26:27], s71, v13
	v_sub_u32_e32 v0, 0x79, v13
	v_cmp_eq_u32_e32 vcc, 0, v13
	v_cndmask_b32_e64 v0, 0, v0, s[26:27]
	v_mov_b32_e32 v15, 0x78
	v_or_b32_e32 v14, 0x800000, v2
	v_cndmask_b32_e32 v0, v0, v15, vcc
	v_cndmask_b32_e32 v2, v14, v2, vcc
	v_add_u32_e32 v14, 20, v0
	v_lshlrev_b64 v[14:15], v14, -1
	v_add_u32_e32 v20, 19, v0
	v_lshlrev_b64 v[44:45], v20, 1
	v_bfi_b32 v15, v15, 0, 0
	v_bfi_b32 v14, v14, 0, v2
	v_cmp_eq_u64_e64 s[26:27], v[14:15], v[44:45]
	v_lshrrev_b64 v[44:45], v0, v[2:3]
	v_mov_b32_e32 v46, v45
	v_mov_b32_e32 v45, v44
	s_and_saveexec_b64 s[36:37], s[26:27]
; %bb.1277:                             ;   in Loop: Header=BB4_137 Depth=3
	v_bfe_u32 v2, v44, 20, 1
	v_add_co_u32_e64 v2, s[26:27], v44, v2
	v_add_co_u32_e64 v45, s[26:27], -1, v2
; %bb.1278:                             ;   in Loop: Header=BB4_137 Depth=3
	s_or_b64 exec, exec, s[36:37]
	v_add_u32_e32 v2, 0xffffff81, v13
	v_mov_b32_e32 v13, 0xffffff82
	v_cndmask_b32_e32 v2, v2, v13, vcc
	v_lshrrev_b32_e32 v13, 23, v44
	v_add3_u32 v14, v0, v2, v13
	v_add_u32_e32 v13, 6, v14
	v_and_b32_e32 v0, 0xfffff, v45
	v_add_u32_e32 v2, v0, v44
	v_cmp_ne_u32_e32 vcc, 0, v13
                                        ; implicit-def: $vgpr44_vgpr45
                                        ; implicit-def: $vgpr0
	s_and_saveexec_b64 s[26:27], vcc
	s_xor_b64 s[26:27], exec, s[26:27]
; %bb.1279:                             ;   in Loop: Header=BB4_137 Depth=3
	v_cmp_lt_u64_e32 vcc, s[74:75], v[2:3]
	v_add_u32_e32 v0, 7, v14
	v_cndmask_b32_e32 v0, v13, v0, vcc
	v_cndmask_b32_e64 v13, 0, 1, vcc
	v_lshrrev_b64 v[44:45], v13, v[2:3]
; %bb.1280:                             ;   in Loop: Header=BB4_137 Depth=3
	s_andn2_saveexec_b64 s[26:27], s[26:27]
; %bb.1281:                             ;   in Loop: Header=BB4_137 Depth=3
	v_mov_b32_e32 v45, v3
	v_bfe_u32 v0, v2, 23, 1
	v_mov_b32_e32 v44, v2
; %bb.1282:                             ;   in Loop: Header=BB4_137 Depth=3
	s_or_b64 exec, exec, s[26:27]
	v_lshrrev_b64 v[13:14], 20, v[44:45]
	v_cmp_gt_i32_e32 vcc, 16, v0
	v_cndmask_b32_e32 v14, 0, v14, vcc
	v_cndmask_b32_e32 v13, 7, v13, vcc
	v_cmp_eq_u32_e32 vcc, 0, v0
	v_min_i32_e32 v0, 15, v0
	v_cmp_eq_u64_e64 s[26:27], 0, v[13:14]
	v_lshlrev_b32_e32 v0, 3, v0
	v_and_b32_e32 v0, 0xf8, v0
	v_and_or_b32 v0, v13, 7, v0
	s_and_b64 s[26:27], vcc, s[26:27]
	v_cndmask_b32_e64 v0, v0, 0, s[26:27]
	v_or_b32_e32 v20, v0, v12
.LBB4_1283:                             ;   in Loop: Header=BB4_137 Depth=3
	s_or_b64 exec, exec, s[34:35]
                                        ; implicit-def: $vgpr12
.LBB4_1284:                             ;   in Loop: Header=BB4_137 Depth=3
	s_andn2_saveexec_b64 s[26:27], s[30:31]
; %bb.1285:                             ;   in Loop: Header=BB4_137 Depth=3
	v_or_b32_e32 v20, 0x7e, v12
; %bb.1286:                             ;   in Loop: Header=BB4_137 Depth=3
	s_or_b64 exec, exec, s[26:27]
                                        ; implicit-def: $vgpr0
.LBB4_1287:                             ;   in Loop: Header=BB4_137 Depth=3
	s_andn2_saveexec_b64 s[26:27], s[94:95]
; %bb.1288:                             ;   in Loop: Header=BB4_137 Depth=3
	v_or_b32_sdwa v20, v0, s68 dst_sel:DWORD dst_unused:UNUSED_PAD src0_sel:BYTE_3 src1_sel:DWORD
; %bb.1289:                             ;   in Loop: Header=BB4_137 Depth=3
	s_or_b64 exec, exec, s[26:27]
	v_mov_b32_e32 v2, v9
	v_cmp_ne_u16_sdwa s[94:95], v9, v3 src0_sel:BYTE_0 src1_sel:DWORD
	v_mov_b32_e32 v0, 0
	s_and_saveexec_b64 s[26:27], s[94:95]
	s_cbranch_execz .LBB4_1295
; %bb.1290:                             ;   in Loop: Header=BB4_137 Depth=3
	v_cmp_ne_u16_sdwa vcc, v9, s70 src0_sel:BYTE_0 src1_sel:DWORD
	v_bfrev_b32_e32 v0, 1
	s_and_saveexec_b64 s[94:95], vcc
	s_cbranch_execz .LBB4_1294
; %bb.1291:                             ;   in Loop: Header=BB4_137 Depth=3
	v_and_b32_e32 v12, 0x7f, v9
	v_cmp_ne_u32_e32 vcc, s68, v12
	v_mov_b32_e32 v0, 0x7f800001
	s_and_saveexec_b64 s[30:31], vcc
	s_cbranch_execz .LBB4_1293
; %bb.1292:                             ;   in Loop: Header=BB4_137 Depth=3
	v_and_b32_e32 v0, 7, v9
	v_ffbh_u32_e32 v0, v0
	v_min_u32_e32 v0, 32, v0
	v_lshrrev_b32_e32 v13, 3, v12
	v_cmp_gt_u32_e32 vcc, 8, v12
	v_subrev_u32_e32 v12, 28, v0
	v_sub_u32_e32 v0, 29, v0
	v_cndmask_b32_e32 v12, 0, v12, vcc
	v_cndmask_b32_e32 v0, v13, v0, vcc
	v_lshlrev_b64 v[12:13], v12, v[2:3]
	v_lshlrev_b32_e32 v13, 24, v2
	v_lshlrev_b32_e32 v12, 20, v12
	v_and_b32_e32 v12, 0x700000, v12
	v_and_b32_e32 v13, 0x80000000, v13
	v_lshl_add_u32 v0, v0, 23, v5
	v_or3_b32 v0, v13, v0, v12
.LBB4_1293:                             ;   in Loop: Header=BB4_137 Depth=3
	s_or_b64 exec, exec, s[30:31]
.LBB4_1294:                             ;   in Loop: Header=BB4_137 Depth=3
	s_or_b64 exec, exec, s[94:95]
.LBB4_1295:                             ;   in Loop: Header=BB4_137 Depth=3
	s_or_b64 exec, exec, s[26:27]
	v_mul_f32_e32 v0, v60, v0
	v_and_b32_e32 v12, 0x7f800000, v0
	v_mov_b32_e32 v13, v3
	v_cmp_ne_u64_e32 vcc, s[62:63], v[12:13]
                                        ; implicit-def: $vgpr31
	s_and_saveexec_b64 s[26:27], vcc
	s_xor_b64 s[94:95], exec, s[26:27]
	s_cbranch_execz .LBB4_1309
; %bb.1296:                             ;   in Loop: Header=BB4_137 Depth=3
	v_and_b32_e32 v12, 0x7fffffff, v0
	v_mov_b32_e32 v13, v3
	v_cmp_gt_u64_e32 vcc, s[72:73], v[12:13]
	v_and_b32_sdwa v12, v0, s70 dst_sel:DWORD dst_unused:UNUSED_PAD src0_sel:BYTE_3 src1_sel:DWORD
                                        ; implicit-def: $vgpr31
	s_and_saveexec_b64 s[26:27], vcc
	s_xor_b64 s[30:31], exec, s[26:27]
	s_cbranch_execz .LBB4_1306
; %bb.1297:                             ;   in Loop: Header=BB4_137 Depth=3
	v_mov_b32_e32 v31, 0
	v_cmp_ne_u32_e32 vcc, 0, v0
	s_and_saveexec_b64 s[34:35], vcc
	s_cbranch_execz .LBB4_1305
; %bb.1298:                             ;   in Loop: Header=BB4_137 Depth=3
	v_bfe_u32 v13, v0, 23, 8
	v_and_b32_e32 v14, 0x7fffff, v0
	v_cmp_gt_u32_e64 s[26:27], s71, v13
	v_sub_u32_e32 v0, 0x79, v13
	v_cmp_eq_u32_e32 vcc, 0, v13
	v_cndmask_b32_e64 v0, 0, v0, s[26:27]
	v_mov_b32_e32 v22, 0x78
	v_cndmask_b32_e32 v0, v0, v22, vcc
	v_add_u32_e32 v22, 20, v0
	v_or_b32_e32 v15, 0x800000, v14
	v_lshlrev_b64 v[44:45], v22, -1
	v_add_u32_e32 v22, 19, v0
	v_cndmask_b32_e32 v14, v15, v14, vcc
	v_lshlrev_b64 v[58:59], v22, 1
	v_mov_b32_e32 v15, v3
	v_bfi_b32 v45, v45, 0, 0
	v_bfi_b32 v44, v44, 0, v14
	v_cmp_eq_u64_e64 s[26:27], v[44:45], v[58:59]
	v_lshrrev_b64 v[44:45], v0, v[14:15]
	v_mov_b32_e32 v46, v45
	v_mov_b32_e32 v45, v44
	s_and_saveexec_b64 s[36:37], s[26:27]
; %bb.1299:                             ;   in Loop: Header=BB4_137 Depth=3
	v_bfe_u32 v14, v44, 20, 1
	v_add_co_u32_e64 v14, s[26:27], v44, v14
	v_add_co_u32_e64 v45, s[26:27], -1, v14
; %bb.1300:                             ;   in Loop: Header=BB4_137 Depth=3
	s_or_b64 exec, exec, s[36:37]
	v_add_u32_e32 v13, 0xffffff81, v13
	v_mov_b32_e32 v14, 0xffffff82
	v_cndmask_b32_e32 v13, v13, v14, vcc
	v_lshrrev_b32_e32 v14, 23, v44
	v_add3_u32 v14, v0, v13, v14
	v_add_u32_e32 v13, 6, v14
	v_and_b32_e32 v0, 0xfffff, v45
	v_add_u32_e32 v44, v0, v44
	v_mov_b32_e32 v45, v3
	v_cmp_ne_u32_e32 vcc, 0, v13
                                        ; implicit-def: $vgpr0
	s_and_saveexec_b64 s[26:27], vcc
	s_xor_b64 s[26:27], exec, s[26:27]
; %bb.1301:                             ;   in Loop: Header=BB4_137 Depth=3
	v_cmp_lt_u64_e32 vcc, s[74:75], v[44:45]
	v_add_u32_e32 v0, 7, v14
	v_cndmask_b32_e32 v0, v13, v0, vcc
	v_cndmask_b32_e64 v13, 0, 1, vcc
	v_lshrrev_b64 v[44:45], v13, v[44:45]
; %bb.1302:                             ;   in Loop: Header=BB4_137 Depth=3
	s_andn2_saveexec_b64 s[26:27], s[26:27]
; %bb.1303:                             ;   in Loop: Header=BB4_137 Depth=3
	v_bfe_u32 v0, v44, 23, 1
; %bb.1304:                             ;   in Loop: Header=BB4_137 Depth=3
	s_or_b64 exec, exec, s[26:27]
	v_lshrrev_b64 v[13:14], 20, v[44:45]
	v_cmp_gt_i32_e32 vcc, 16, v0
	v_cndmask_b32_e32 v14, 0, v14, vcc
	v_cndmask_b32_e32 v13, 7, v13, vcc
	v_cmp_eq_u32_e32 vcc, 0, v0
	v_min_i32_e32 v0, 15, v0
	v_cmp_eq_u64_e64 s[26:27], 0, v[13:14]
	v_lshlrev_b32_e32 v0, 3, v0
	v_and_b32_e32 v0, 0xf8, v0
	v_and_or_b32 v0, v13, 7, v0
	s_and_b64 s[26:27], vcc, s[26:27]
	v_cndmask_b32_e64 v0, v0, 0, s[26:27]
	v_or_b32_e32 v31, v0, v12
.LBB4_1305:                             ;   in Loop: Header=BB4_137 Depth=3
	s_or_b64 exec, exec, s[34:35]
                                        ; implicit-def: $vgpr12
.LBB4_1306:                             ;   in Loop: Header=BB4_137 Depth=3
	s_andn2_saveexec_b64 s[26:27], s[30:31]
; %bb.1307:                             ;   in Loop: Header=BB4_137 Depth=3
	v_or_b32_e32 v31, 0x7e, v12
; %bb.1308:                             ;   in Loop: Header=BB4_137 Depth=3
	s_or_b64 exec, exec, s[26:27]
                                        ; implicit-def: $vgpr0
.LBB4_1309:                             ;   in Loop: Header=BB4_137 Depth=3
	s_andn2_saveexec_b64 s[26:27], s[94:95]
; %bb.1310:                             ;   in Loop: Header=BB4_137 Depth=3
	v_or_b32_sdwa v31, v0, s68 dst_sel:DWORD dst_unused:UNUSED_PAD src0_sel:BYTE_3 src1_sel:DWORD
; %bb.1311:                             ;   in Loop: Header=BB4_137 Depth=3
	s_or_b64 exec, exec, s[26:27]
	v_lshrrev_b16_e32 v13, 8, v2
	v_cmp_ne_u16_e32 vcc, 0, v13
	v_mov_b32_e32 v0, 0
	s_and_saveexec_b64 s[26:27], vcc
	s_cbranch_execz .LBB4_1317
; %bb.1312:                             ;   in Loop: Header=BB4_137 Depth=3
	v_cmp_ne_u16_e32 vcc, s70, v13
	v_bfrev_b32_e32 v0, 1
	s_and_saveexec_b64 s[94:95], vcc
	s_cbranch_execz .LBB4_1316
; %bb.1313:                             ;   in Loop: Header=BB4_137 Depth=3
	v_and_b32_e32 v12, 0x7f, v13
	v_cmp_ne_u32_e32 vcc, s68, v12
	v_mov_b32_e32 v0, 0x7f800001
	s_and_saveexec_b64 s[30:31], vcc
	s_cbranch_execz .LBB4_1315
; %bb.1314:                             ;   in Loop: Header=BB4_137 Depth=3
	v_and_b32_e32 v0, 7, v13
	v_lshrrev_b32_e32 v14, 3, v12
	v_cmp_gt_u32_e32 vcc, 8, v12
	v_ffbh_u32_e32 v12, v0
	v_min_u32_e32 v15, 32, v12
	v_subrev_u32_e32 v12, 28, v15
	v_lshlrev_b64 v[12:13], v12, v[13:14]
	v_sub_u32_e32 v13, 29, v15
	v_and_b32_e32 v12, 7, v12
	v_cndmask_b32_e32 v13, v14, v13, vcc
	v_cndmask_b32_e32 v0, v0, v12, vcc
	v_lshlrev_b32_e32 v2, 16, v2
	v_lshlrev_b32_e32 v0, 20, v0
	v_and_b32_e32 v2, 0x80000000, v2
	v_lshl_add_u32 v12, v13, 23, v5
	v_or3_b32 v0, v2, v12, v0
.LBB4_1315:                             ;   in Loop: Header=BB4_137 Depth=3
	s_or_b64 exec, exec, s[30:31]
.LBB4_1316:                             ;   in Loop: Header=BB4_137 Depth=3
	s_or_b64 exec, exec, s[94:95]
.LBB4_1317:                             ;   in Loop: Header=BB4_137 Depth=3
	s_or_b64 exec, exec, s[26:27]
	v_mul_f32_e32 v0, v60, v0
	v_and_b32_e32 v2, 0x7f800000, v0
	v_cmp_ne_u64_e32 vcc, s[62:63], v[2:3]
                                        ; implicit-def: $vgpr13
	s_and_saveexec_b64 s[26:27], vcc
	s_xor_b64 s[94:95], exec, s[26:27]
	s_cbranch_execz .LBB4_1331
; %bb.1318:                             ;   in Loop: Header=BB4_137 Depth=3
	v_and_b32_e32 v2, 0x7fffffff, v0
	v_cmp_gt_u64_e32 vcc, s[72:73], v[2:3]
	v_and_b32_sdwa v12, v0, s70 dst_sel:DWORD dst_unused:UNUSED_PAD src0_sel:BYTE_3 src1_sel:DWORD
                                        ; implicit-def: $vgpr13
	s_and_saveexec_b64 s[26:27], vcc
	s_xor_b64 s[30:31], exec, s[26:27]
	s_cbranch_execz .LBB4_1328
; %bb.1319:                             ;   in Loop: Header=BB4_137 Depth=3
	v_mov_b32_e32 v13, 0
	v_cmp_ne_u32_e32 vcc, 0, v0
	s_and_saveexec_b64 s[34:35], vcc
	s_cbranch_execz .LBB4_1327
; %bb.1320:                             ;   in Loop: Header=BB4_137 Depth=3
	v_bfe_u32 v13, v0, 23, 8
	v_and_b32_e32 v2, 0x7fffff, v0
	v_cmp_gt_u32_e64 s[26:27], s71, v13
	v_sub_u32_e32 v0, 0x79, v13
	v_cmp_eq_u32_e32 vcc, 0, v13
	v_cndmask_b32_e64 v0, 0, v0, s[26:27]
	v_mov_b32_e32 v15, 0x78
	v_or_b32_e32 v14, 0x800000, v2
	v_cndmask_b32_e32 v0, v0, v15, vcc
	v_cndmask_b32_e32 v2, v14, v2, vcc
	v_add_u32_e32 v14, 20, v0
	v_lshlrev_b64 v[14:15], v14, -1
	v_add_u32_e32 v22, 19, v0
	v_lshlrev_b64 v[44:45], v22, 1
	v_bfi_b32 v15, v15, 0, 0
	v_bfi_b32 v14, v14, 0, v2
	v_cmp_eq_u64_e64 s[26:27], v[14:15], v[44:45]
	v_lshrrev_b64 v[44:45], v0, v[2:3]
	v_mov_b32_e32 v46, v45
	v_mov_b32_e32 v45, v44
	s_and_saveexec_b64 s[36:37], s[26:27]
; %bb.1321:                             ;   in Loop: Header=BB4_137 Depth=3
	v_bfe_u32 v2, v44, 20, 1
	v_add_co_u32_e64 v2, s[26:27], v44, v2
	v_add_co_u32_e64 v45, s[26:27], -1, v2
; %bb.1322:                             ;   in Loop: Header=BB4_137 Depth=3
	s_or_b64 exec, exec, s[36:37]
	v_add_u32_e32 v2, 0xffffff81, v13
	v_mov_b32_e32 v13, 0xffffff82
	v_cndmask_b32_e32 v2, v2, v13, vcc
	v_lshrrev_b32_e32 v13, 23, v44
	v_add3_u32 v14, v0, v2, v13
	v_add_u32_e32 v13, 6, v14
	v_and_b32_e32 v0, 0xfffff, v45
	v_add_u32_e32 v2, v0, v44
	v_cmp_ne_u32_e32 vcc, 0, v13
                                        ; implicit-def: $vgpr44_vgpr45
                                        ; implicit-def: $vgpr0
	s_and_saveexec_b64 s[26:27], vcc
	s_xor_b64 s[26:27], exec, s[26:27]
; %bb.1323:                             ;   in Loop: Header=BB4_137 Depth=3
	v_cmp_lt_u64_e32 vcc, s[74:75], v[2:3]
	v_add_u32_e32 v0, 7, v14
	v_cndmask_b32_e32 v0, v13, v0, vcc
	v_cndmask_b32_e64 v13, 0, 1, vcc
	v_lshrrev_b64 v[44:45], v13, v[2:3]
; %bb.1324:                             ;   in Loop: Header=BB4_137 Depth=3
	s_andn2_saveexec_b64 s[26:27], s[26:27]
; %bb.1325:                             ;   in Loop: Header=BB4_137 Depth=3
	v_mov_b32_e32 v45, v3
	v_bfe_u32 v0, v2, 23, 1
	v_mov_b32_e32 v44, v2
; %bb.1326:                             ;   in Loop: Header=BB4_137 Depth=3
	s_or_b64 exec, exec, s[26:27]
	v_lshrrev_b64 v[13:14], 20, v[44:45]
	v_cmp_gt_i32_e32 vcc, 16, v0
	v_cndmask_b32_e32 v14, 0, v14, vcc
	v_cndmask_b32_e32 v13, 7, v13, vcc
	v_cmp_eq_u32_e32 vcc, 0, v0
	v_min_i32_e32 v0, 15, v0
	v_cmp_eq_u64_e64 s[26:27], 0, v[13:14]
	v_lshlrev_b32_e32 v0, 3, v0
	v_and_b32_e32 v0, 0xf8, v0
	v_and_or_b32 v0, v13, 7, v0
	s_and_b64 s[26:27], vcc, s[26:27]
	v_cndmask_b32_e64 v0, v0, 0, s[26:27]
	v_or_b32_e32 v13, v0, v12
.LBB4_1327:                             ;   in Loop: Header=BB4_137 Depth=3
	s_or_b64 exec, exec, s[34:35]
                                        ; implicit-def: $vgpr12
.LBB4_1328:                             ;   in Loop: Header=BB4_137 Depth=3
	s_andn2_saveexec_b64 s[26:27], s[30:31]
; %bb.1329:                             ;   in Loop: Header=BB4_137 Depth=3
	v_or_b32_e32 v13, 0x7e, v12
; %bb.1330:                             ;   in Loop: Header=BB4_137 Depth=3
	s_or_b64 exec, exec, s[26:27]
                                        ; implicit-def: $vgpr0
.LBB4_1331:                             ;   in Loop: Header=BB4_137 Depth=3
	s_andn2_saveexec_b64 s[26:27], s[94:95]
; %bb.1332:                             ;   in Loop: Header=BB4_137 Depth=3
	v_or_b32_sdwa v13, v0, s68 dst_sel:DWORD dst_unused:UNUSED_PAD src0_sel:BYTE_3 src1_sel:DWORD
; %bb.1333:                             ;   in Loop: Header=BB4_137 Depth=3
	s_or_b64 exec, exec, s[26:27]
	v_lshrrev_b32_e32 v2, 16, v9
	v_cmp_ne_u16_sdwa s[94:95], v2, v3 src0_sel:BYTE_0 src1_sel:DWORD
	v_mov_b32_e32 v0, 0
	s_and_saveexec_b64 s[26:27], s[94:95]
	s_cbranch_execz .LBB4_1339
; %bb.1334:                             ;   in Loop: Header=BB4_137 Depth=3
	v_cmp_ne_u16_sdwa vcc, v2, s70 src0_sel:BYTE_0 src1_sel:DWORD
	v_bfrev_b32_e32 v0, 1
	s_and_saveexec_b64 s[94:95], vcc
	s_cbranch_execz .LBB4_1338
; %bb.1335:                             ;   in Loop: Header=BB4_137 Depth=3
	v_bfe_u32 v12, v9, 16, 7
	v_cmp_ne_u32_e32 vcc, s68, v12
	v_mov_b32_e32 v0, 0x7f800001
	s_and_saveexec_b64 s[30:31], vcc
	s_cbranch_execz .LBB4_1337
; %bb.1336:                             ;   in Loop: Header=BB4_137 Depth=3
	v_and_b32_e32 v0, 7, v2
	v_lshrrev_b32_e32 v22, 3, v12
	v_cmp_gt_u32_e32 vcc, 8, v12
	v_ffbh_u32_e32 v12, v0
	v_min_u32_e32 v12, 32, v12
	v_subrev_u32_e32 v14, 28, v12
	v_lshlrev_b64 v[14:15], v14, v[2:3]
	v_sub_u32_e32 v12, 29, v12
	v_and_b32_e32 v14, 7, v14
	v_cndmask_b32_e32 v12, v22, v12, vcc
	v_cndmask_b32_e32 v0, v0, v14, vcc
	v_lshlrev_b32_e32 v2, 24, v2
	v_lshlrev_b32_e32 v0, 20, v0
	v_and_b32_e32 v2, 0x80000000, v2
	v_lshl_add_u32 v12, v12, 23, v5
	v_or3_b32 v0, v2, v12, v0
.LBB4_1337:                             ;   in Loop: Header=BB4_137 Depth=3
	s_or_b64 exec, exec, s[30:31]
.LBB4_1338:                             ;   in Loop: Header=BB4_137 Depth=3
	s_or_b64 exec, exec, s[94:95]
.LBB4_1339:                             ;   in Loop: Header=BB4_137 Depth=3
	s_or_b64 exec, exec, s[26:27]
	v_mul_f32_e32 v0, v60, v0
	v_and_b32_e32 v2, 0x7f800000, v0
	v_cmp_ne_u64_e32 vcc, s[62:63], v[2:3]
                                        ; implicit-def: $vgpr46
	s_and_saveexec_b64 s[26:27], vcc
	s_xor_b64 s[94:95], exec, s[26:27]
	s_cbranch_execz .LBB4_1353
; %bb.1340:                             ;   in Loop: Header=BB4_137 Depth=3
	v_and_b32_e32 v2, 0x7fffffff, v0
	v_cmp_gt_u64_e32 vcc, s[72:73], v[2:3]
	v_and_b32_sdwa v12, v0, s70 dst_sel:DWORD dst_unused:UNUSED_PAD src0_sel:BYTE_3 src1_sel:DWORD
                                        ; implicit-def: $vgpr46
	s_and_saveexec_b64 s[26:27], vcc
	s_xor_b64 s[30:31], exec, s[26:27]
	s_cbranch_execz .LBB4_1350
; %bb.1341:                             ;   in Loop: Header=BB4_137 Depth=3
	v_mov_b32_e32 v46, 0
	v_cmp_ne_u32_e32 vcc, 0, v0
	s_and_saveexec_b64 s[34:35], vcc
	s_cbranch_execz .LBB4_1349
; %bb.1342:                             ;   in Loop: Header=BB4_137 Depth=3
	v_bfe_u32 v14, v0, 23, 8
	v_and_b32_e32 v2, 0x7fffff, v0
	v_cmp_gt_u32_e64 s[26:27], s71, v14
	v_sub_u32_e32 v0, 0x79, v14
	v_cmp_eq_u32_e32 vcc, 0, v14
	v_cndmask_b32_e64 v0, 0, v0, s[26:27]
	v_mov_b32_e32 v22, 0x78
	v_or_b32_e32 v15, 0x800000, v2
	v_cndmask_b32_e32 v0, v0, v22, vcc
	v_cndmask_b32_e32 v2, v15, v2, vcc
	v_add_u32_e32 v15, 20, v0
	v_lshlrev_b64 v[44:45], v15, -1
	v_add_u32_e32 v15, 19, v0
	v_lshlrev_b64 v[58:59], v15, 1
	v_bfi_b32 v45, v45, 0, 0
	v_bfi_b32 v44, v44, 0, v2
	v_cmp_eq_u64_e64 s[26:27], v[44:45], v[58:59]
	v_lshrrev_b64 v[44:45], v0, v[2:3]
	v_mov_b32_e32 v46, v45
	v_mov_b32_e32 v45, v44
	s_and_saveexec_b64 s[36:37], s[26:27]
; %bb.1343:                             ;   in Loop: Header=BB4_137 Depth=3
	v_bfe_u32 v2, v44, 20, 1
	v_add_co_u32_e64 v2, s[26:27], v44, v2
	v_add_co_u32_e64 v45, s[26:27], -1, v2
; %bb.1344:                             ;   in Loop: Header=BB4_137 Depth=3
	s_or_b64 exec, exec, s[36:37]
	v_add_u32_e32 v2, 0xffffff81, v14
	v_mov_b32_e32 v14, 0xffffff82
	v_cndmask_b32_e32 v2, v2, v14, vcc
	v_lshrrev_b32_e32 v14, 23, v44
	v_add3_u32 v15, v0, v2, v14
	v_add_u32_e32 v14, 6, v15
	v_and_b32_e32 v0, 0xfffff, v45
	v_add_u32_e32 v2, v0, v44
	v_cmp_ne_u32_e32 vcc, 0, v14
                                        ; implicit-def: $vgpr44_vgpr45
                                        ; implicit-def: $vgpr0
	s_and_saveexec_b64 s[26:27], vcc
	s_xor_b64 s[26:27], exec, s[26:27]
; %bb.1345:                             ;   in Loop: Header=BB4_137 Depth=3
	v_cmp_lt_u64_e32 vcc, s[74:75], v[2:3]
	v_add_u32_e32 v0, 7, v15
	v_cndmask_b32_e32 v0, v14, v0, vcc
	v_cndmask_b32_e64 v14, 0, 1, vcc
	v_lshrrev_b64 v[44:45], v14, v[2:3]
; %bb.1346:                             ;   in Loop: Header=BB4_137 Depth=3
	s_andn2_saveexec_b64 s[26:27], s[26:27]
; %bb.1347:                             ;   in Loop: Header=BB4_137 Depth=3
	v_mov_b32_e32 v45, v3
	v_bfe_u32 v0, v2, 23, 1
	v_mov_b32_e32 v44, v2
; %bb.1348:                             ;   in Loop: Header=BB4_137 Depth=3
	s_or_b64 exec, exec, s[26:27]
	v_lshrrev_b64 v[14:15], 20, v[44:45]
	v_cmp_gt_i32_e32 vcc, 16, v0
	v_cndmask_b32_e32 v15, 0, v15, vcc
	v_cndmask_b32_e32 v14, 7, v14, vcc
	v_cmp_eq_u32_e32 vcc, 0, v0
	v_min_i32_e32 v0, 15, v0
	v_cmp_eq_u64_e64 s[26:27], 0, v[14:15]
	v_lshlrev_b32_e32 v0, 3, v0
	v_and_b32_e32 v0, 0xf8, v0
	v_and_or_b32 v0, v14, 7, v0
	s_and_b64 s[26:27], vcc, s[26:27]
	v_cndmask_b32_e64 v0, v0, 0, s[26:27]
	v_or_b32_e32 v46, v0, v12
.LBB4_1349:                             ;   in Loop: Header=BB4_137 Depth=3
	s_or_b64 exec, exec, s[34:35]
                                        ; implicit-def: $vgpr12
.LBB4_1350:                             ;   in Loop: Header=BB4_137 Depth=3
	s_andn2_saveexec_b64 s[26:27], s[30:31]
; %bb.1351:                             ;   in Loop: Header=BB4_137 Depth=3
	v_or_b32_e32 v46, 0x7e, v12
; %bb.1352:                             ;   in Loop: Header=BB4_137 Depth=3
	s_or_b64 exec, exec, s[26:27]
                                        ; implicit-def: $vgpr0
.LBB4_1353:                             ;   in Loop: Header=BB4_137 Depth=3
	s_andn2_saveexec_b64 s[26:27], s[94:95]
; %bb.1354:                             ;   in Loop: Header=BB4_137 Depth=3
	v_or_b32_sdwa v46, v0, s68 dst_sel:DWORD dst_unused:UNUSED_PAD src0_sel:BYTE_3 src1_sel:DWORD
; %bb.1355:                             ;   in Loop: Header=BB4_137 Depth=3
	s_or_b64 exec, exec, s[26:27]
	v_cmp_lt_u64_e32 vcc, s[56:57], v[8:9]
	v_mov_b32_e32 v0, 0
	s_and_saveexec_b64 s[26:27], vcc
	s_cbranch_execz .LBB4_1361
; %bb.1356:                             ;   in Loop: Header=BB4_137 Depth=3
	v_lshrrev_b32_e32 v2, 24, v9
	v_cmp_ne_u32_e32 vcc, s70, v2
	v_bfrev_b32_e32 v0, 1
	s_and_saveexec_b64 s[94:95], vcc
	s_cbranch_execz .LBB4_1360
; %bb.1357:                             ;   in Loop: Header=BB4_137 Depth=3
	v_bfe_u32 v8, v9, 24, 7
	v_cmp_ne_u32_e32 vcc, s68, v8
	v_mov_b32_e32 v0, 0x7f800001
	s_and_saveexec_b64 s[30:31], vcc
	s_cbranch_execz .LBB4_1359
; %bb.1358:                             ;   in Loop: Header=BB4_137 Depth=3
	v_and_b32_e32 v0, 7, v2
	v_lshrrev_b32_e32 v12, 3, v8
	v_cmp_gt_u32_e32 vcc, 8, v8
	v_ffbh_u32_e32 v8, v0
	v_min_u32_e32 v14, 32, v8
	v_subrev_u32_e32 v8, 28, v14
	v_lshlrev_b64 v[8:9], v8, v[2:3]
	v_sub_u32_e32 v9, 29, v14
	v_and_b32_e32 v8, 7, v8
	v_cndmask_b32_e32 v9, v12, v9, vcc
	v_cndmask_b32_e32 v0, v0, v8, vcc
	v_lshlrev_b32_e32 v2, 24, v2
	v_lshlrev_b32_e32 v0, 20, v0
	v_and_b32_e32 v2, 0x80000000, v2
	v_lshl_add_u32 v8, v9, 23, v5
	v_or3_b32 v0, v2, v8, v0
.LBB4_1359:                             ;   in Loop: Header=BB4_137 Depth=3
	s_or_b64 exec, exec, s[30:31]
.LBB4_1360:                             ;   in Loop: Header=BB4_137 Depth=3
	s_or_b64 exec, exec, s[94:95]
.LBB4_1361:                             ;   in Loop: Header=BB4_137 Depth=3
	s_or_b64 exec, exec, s[26:27]
	v_mul_f32_e32 v0, v60, v0
	v_and_b32_e32 v2, 0x7f800000, v0
	v_cmp_ne_u64_e32 vcc, s[62:63], v[2:3]
                                        ; implicit-def: $vgpr12
	s_and_saveexec_b64 s[26:27], vcc
	s_xor_b64 s[94:95], exec, s[26:27]
	s_cbranch_execz .LBB4_1375
; %bb.1362:                             ;   in Loop: Header=BB4_137 Depth=3
	v_and_b32_e32 v2, 0x7fffffff, v0
	v_cmp_gt_u64_e32 vcc, s[72:73], v[2:3]
	v_and_b32_sdwa v14, v0, s70 dst_sel:DWORD dst_unused:UNUSED_PAD src0_sel:BYTE_3 src1_sel:DWORD
                                        ; implicit-def: $vgpr12
	s_and_saveexec_b64 s[26:27], vcc
	s_xor_b64 s[30:31], exec, s[26:27]
	s_cbranch_execz .LBB4_1372
; %bb.1363:                             ;   in Loop: Header=BB4_137 Depth=3
	v_mov_b32_e32 v12, 0
	v_cmp_ne_u32_e32 vcc, 0, v0
	s_and_saveexec_b64 s[34:35], vcc
	s_cbranch_execz .LBB4_1371
; %bb.1364:                             ;   in Loop: Header=BB4_137 Depth=3
	v_bfe_u32 v12, v0, 23, 8
	v_and_b32_e32 v2, 0x7fffff, v0
	v_cmp_gt_u32_e64 s[26:27], s71, v12
	v_sub_u32_e32 v0, 0x79, v12
	v_cmp_eq_u32_e32 vcc, 0, v12
	v_cndmask_b32_e64 v0, 0, v0, s[26:27]
	v_mov_b32_e32 v9, 0x78
	v_or_b32_e32 v8, 0x800000, v2
	v_cndmask_b32_e32 v0, v0, v9, vcc
	v_cndmask_b32_e32 v2, v8, v2, vcc
	v_add_u32_e32 v8, 20, v0
	v_lshlrev_b64 v[8:9], v8, -1
	v_add_u32_e32 v15, 19, v0
	v_lshlrev_b64 v[44:45], v15, 1
	v_bfi_b32 v9, v9, 0, 0
	v_bfi_b32 v8, v8, 0, v2
	v_cmp_eq_u64_e64 s[26:27], v[8:9], v[44:45]
	v_lshrrev_b64 v[8:9], v0, v[2:3]
	v_mov_b32_e32 v45, v9
	v_mov_b32_e32 v44, v8
	s_and_saveexec_b64 s[36:37], s[26:27]
; %bb.1365:                             ;   in Loop: Header=BB4_137 Depth=3
	v_bfe_u32 v2, v8, 20, 1
	v_add_co_u32_e64 v2, s[26:27], v8, v2
	v_add_co_u32_e64 v44, s[26:27], -1, v2
; %bb.1366:                             ;   in Loop: Header=BB4_137 Depth=3
	s_or_b64 exec, exec, s[36:37]
	v_add_u32_e32 v2, 0xffffff81, v12
	v_mov_b32_e32 v9, 0xffffff82
	v_cndmask_b32_e32 v2, v2, v9, vcc
	v_lshrrev_b32_e32 v9, 23, v8
	v_add3_u32 v15, v0, v2, v9
	v_add_u32_e32 v12, 6, v15
	v_and_b32_e32 v0, 0xfffff, v44
	v_add_u32_e32 v2, v0, v8
	v_cmp_ne_u32_e32 vcc, 0, v12
                                        ; implicit-def: $vgpr8_vgpr9
                                        ; implicit-def: $vgpr0
	s_and_saveexec_b64 s[26:27], vcc
	s_xor_b64 s[26:27], exec, s[26:27]
; %bb.1367:                             ;   in Loop: Header=BB4_137 Depth=3
	v_cmp_lt_u64_e32 vcc, s[74:75], v[2:3]
	v_add_u32_e32 v0, 7, v15
	v_cndmask_b32_e64 v8, 0, 1, vcc
	v_lshrrev_b64 v[8:9], v8, v[2:3]
	v_cndmask_b32_e32 v0, v12, v0, vcc
; %bb.1368:                             ;   in Loop: Header=BB4_137 Depth=3
	s_andn2_saveexec_b64 s[26:27], s[26:27]
; %bb.1369:                             ;   in Loop: Header=BB4_137 Depth=3
	v_mov_b32_e32 v9, v3
	v_bfe_u32 v0, v2, 23, 1
	v_mov_b32_e32 v8, v2
; %bb.1370:                             ;   in Loop: Header=BB4_137 Depth=3
	s_or_b64 exec, exec, s[26:27]
	v_lshrrev_b64 v[8:9], 20, v[8:9]
	v_cmp_gt_i32_e32 vcc, 16, v0
	v_cndmask_b32_e32 v9, 0, v9, vcc
	v_cndmask_b32_e32 v8, 7, v8, vcc
	v_cmp_eq_u32_e32 vcc, 0, v0
	v_min_i32_e32 v0, 15, v0
	v_cmp_eq_u64_e64 s[26:27], 0, v[8:9]
	v_lshlrev_b32_e32 v0, 3, v0
	v_and_b32_e32 v0, 0xf8, v0
	v_and_or_b32 v0, v8, 7, v0
	s_and_b64 s[26:27], vcc, s[26:27]
	v_cndmask_b32_e64 v0, v0, 0, s[26:27]
	v_or_b32_e32 v12, v0, v14
.LBB4_1371:                             ;   in Loop: Header=BB4_137 Depth=3
	s_or_b64 exec, exec, s[34:35]
                                        ; implicit-def: $vgpr14
.LBB4_1372:                             ;   in Loop: Header=BB4_137 Depth=3
	s_andn2_saveexec_b64 s[26:27], s[30:31]
; %bb.1373:                             ;   in Loop: Header=BB4_137 Depth=3
	v_or_b32_e32 v12, 0x7e, v14
; %bb.1374:                             ;   in Loop: Header=BB4_137 Depth=3
	s_or_b64 exec, exec, s[26:27]
                                        ; implicit-def: $vgpr0
.LBB4_1375:                             ;   in Loop: Header=BB4_137 Depth=3
	s_andn2_saveexec_b64 s[26:27], s[94:95]
; %bb.1376:                             ;   in Loop: Header=BB4_137 Depth=3
	v_or_b32_sdwa v12, v0, s68 dst_sel:DWORD dst_unused:UNUSED_PAD src0_sel:BYTE_3 src1_sel:DWORD
; %bb.1377:                             ;   in Loop: Header=BB4_137 Depth=3
	s_or_b64 exec, exec, s[26:27]
	v_cmp_ne_u16_sdwa s[94:95], v10, v3 src0_sel:BYTE_0 src1_sel:DWORD
	v_mov_b32_e32 v0, 0
	s_and_saveexec_b64 s[26:27], s[94:95]
	s_cbranch_execz .LBB4_1383
; %bb.1378:                             ;   in Loop: Header=BB4_137 Depth=3
	v_cmp_ne_u16_sdwa vcc, v10, s70 src0_sel:BYTE_0 src1_sel:DWORD
	v_bfrev_b32_e32 v0, 1
	s_and_saveexec_b64 s[94:95], vcc
	s_cbranch_execz .LBB4_1382
; %bb.1379:                             ;   in Loop: Header=BB4_137 Depth=3
	v_and_b32_e32 v2, 0x7f, v10
	v_cmp_ne_u32_e32 vcc, s68, v2
	v_mov_b32_e32 v0, 0x7f800001
	s_and_saveexec_b64 s[30:31], vcc
	s_cbranch_execz .LBB4_1381
; %bb.1380:                             ;   in Loop: Header=BB4_137 Depth=3
	v_and_b32_e32 v0, 7, v10
	v_ffbh_u32_e32 v0, v0
	v_min_u32_e32 v0, 32, v0
	v_lshrrev_b32_e32 v8, 3, v2
	v_cmp_gt_u32_e32 vcc, 8, v2
	v_subrev_u32_e32 v2, 28, v0
	v_sub_u32_e32 v0, 29, v0
	v_cndmask_b32_e32 v2, 0, v2, vcc
	v_cndmask_b32_e32 v0, v8, v0, vcc
	v_lshlrev_b64 v[8:9], v2, v[10:11]
	v_lshl_add_u32 v0, v0, 23, v5
	v_lshlrev_b32_e32 v2, 20, v8
	v_lshlrev_b32_e32 v8, 24, v10
	v_and_b32_e32 v2, 0x700000, v2
	v_and_b32_e32 v8, 0x80000000, v8
	v_or3_b32 v0, v8, v0, v2
.LBB4_1381:                             ;   in Loop: Header=BB4_137 Depth=3
	s_or_b64 exec, exec, s[30:31]
.LBB4_1382:                             ;   in Loop: Header=BB4_137 Depth=3
	s_or_b64 exec, exec, s[94:95]
.LBB4_1383:                             ;   in Loop: Header=BB4_137 Depth=3
	s_or_b64 exec, exec, s[26:27]
	v_mul_f32_e32 v0, v60, v0
	v_and_b32_e32 v2, 0x7f800000, v0
	v_cmp_ne_u64_e32 vcc, s[62:63], v[2:3]
                                        ; implicit-def: $vgpr59
	s_and_saveexec_b64 s[26:27], vcc
	s_xor_b64 s[94:95], exec, s[26:27]
	s_cbranch_execz .LBB4_1397
; %bb.1384:                             ;   in Loop: Header=BB4_137 Depth=3
	v_and_b32_e32 v2, 0x7fffffff, v0
	v_cmp_gt_u64_e32 vcc, s[72:73], v[2:3]
	v_and_b32_sdwa v14, v0, s70 dst_sel:DWORD dst_unused:UNUSED_PAD src0_sel:BYTE_3 src1_sel:DWORD
                                        ; implicit-def: $vgpr59
	s_and_saveexec_b64 s[26:27], vcc
	s_xor_b64 s[30:31], exec, s[26:27]
	s_cbranch_execz .LBB4_1394
; %bb.1385:                             ;   in Loop: Header=BB4_137 Depth=3
	v_mov_b32_e32 v59, 0
	v_cmp_ne_u32_e32 vcc, 0, v0
	s_and_saveexec_b64 s[34:35], vcc
	s_cbranch_execz .LBB4_1393
; %bb.1386:                             ;   in Loop: Header=BB4_137 Depth=3
	v_bfe_u32 v15, v0, 23, 8
	v_and_b32_e32 v2, 0x7fffff, v0
	v_cmp_gt_u32_e64 s[26:27], s71, v15
	v_sub_u32_e32 v0, 0x79, v15
	v_cmp_eq_u32_e32 vcc, 0, v15
	v_cndmask_b32_e64 v0, 0, v0, s[26:27]
	v_mov_b32_e32 v9, 0x78
	v_or_b32_e32 v8, 0x800000, v2
	v_cndmask_b32_e32 v0, v0, v9, vcc
	v_cndmask_b32_e32 v2, v8, v2, vcc
	v_add_u32_e32 v8, 20, v0
	v_lshlrev_b64 v[8:9], v8, -1
	v_add_u32_e32 v22, 19, v0
	v_lshlrev_b64 v[44:45], v22, 1
	v_bfi_b32 v9, v9, 0, 0
	v_bfi_b32 v8, v8, 0, v2
	v_cmp_eq_u64_e64 s[26:27], v[8:9], v[44:45]
	v_lshrrev_b64 v[8:9], v0, v[2:3]
	v_mov_b32_e32 v45, v9
	v_mov_b32_e32 v44, v8
	s_and_saveexec_b64 s[36:37], s[26:27]
; %bb.1387:                             ;   in Loop: Header=BB4_137 Depth=3
	v_bfe_u32 v2, v8, 20, 1
	v_add_co_u32_e64 v2, s[26:27], v8, v2
	v_add_co_u32_e64 v44, s[26:27], -1, v2
; %bb.1388:                             ;   in Loop: Header=BB4_137 Depth=3
	s_or_b64 exec, exec, s[36:37]
	v_add_u32_e32 v2, 0xffffff81, v15
	v_mov_b32_e32 v9, 0xffffff82
	v_cndmask_b32_e32 v2, v2, v9, vcc
	v_lshrrev_b32_e32 v9, 23, v8
	v_add3_u32 v35, v0, v2, v9
	v_add_u32_e32 v15, 6, v35
	v_and_b32_e32 v0, 0xfffff, v44
	v_add_u32_e32 v2, v0, v8
	v_cmp_ne_u32_e32 vcc, 0, v15
                                        ; implicit-def: $vgpr8_vgpr9
                                        ; implicit-def: $vgpr0
	s_and_saveexec_b64 s[26:27], vcc
	s_xor_b64 s[26:27], exec, s[26:27]
; %bb.1389:                             ;   in Loop: Header=BB4_137 Depth=3
	v_cmp_lt_u64_e32 vcc, s[74:75], v[2:3]
	v_add_u32_e32 v0, 7, v35
	v_cndmask_b32_e64 v8, 0, 1, vcc
	v_lshrrev_b64 v[8:9], v8, v[2:3]
	v_cndmask_b32_e32 v0, v15, v0, vcc
; %bb.1390:                             ;   in Loop: Header=BB4_137 Depth=3
	s_andn2_saveexec_b64 s[26:27], s[26:27]
; %bb.1391:                             ;   in Loop: Header=BB4_137 Depth=3
	v_mov_b32_e32 v9, v3
	v_bfe_u32 v0, v2, 23, 1
	v_mov_b32_e32 v8, v2
; %bb.1392:                             ;   in Loop: Header=BB4_137 Depth=3
	s_or_b64 exec, exec, s[26:27]
	v_lshrrev_b64 v[8:9], 20, v[8:9]
	v_cmp_gt_i32_e32 vcc, 16, v0
	v_cndmask_b32_e32 v9, 0, v9, vcc
	v_cndmask_b32_e32 v8, 7, v8, vcc
	v_cmp_eq_u32_e32 vcc, 0, v0
	v_min_i32_e32 v0, 15, v0
	v_cmp_eq_u64_e64 s[26:27], 0, v[8:9]
	v_lshlrev_b32_e32 v0, 3, v0
	v_and_b32_e32 v0, 0xf8, v0
	v_and_or_b32 v0, v8, 7, v0
	s_and_b64 s[26:27], vcc, s[26:27]
	v_cndmask_b32_e64 v0, v0, 0, s[26:27]
	v_or_b32_e32 v59, v0, v14
.LBB4_1393:                             ;   in Loop: Header=BB4_137 Depth=3
	s_or_b64 exec, exec, s[34:35]
                                        ; implicit-def: $vgpr14
.LBB4_1394:                             ;   in Loop: Header=BB4_137 Depth=3
	s_andn2_saveexec_b64 s[26:27], s[30:31]
; %bb.1395:                             ;   in Loop: Header=BB4_137 Depth=3
	v_or_b32_e32 v59, 0x7e, v14
; %bb.1396:                             ;   in Loop: Header=BB4_137 Depth=3
	s_or_b64 exec, exec, s[26:27]
                                        ; implicit-def: $vgpr0
.LBB4_1397:                             ;   in Loop: Header=BB4_137 Depth=3
	s_andn2_saveexec_b64 s[26:27], s[94:95]
; %bb.1398:                             ;   in Loop: Header=BB4_137 Depth=3
	v_or_b32_sdwa v59, v0, s68 dst_sel:DWORD dst_unused:UNUSED_PAD src0_sel:BYTE_3 src1_sel:DWORD
; %bb.1399:                             ;   in Loop: Header=BB4_137 Depth=3
	s_or_b64 exec, exec, s[26:27]
	v_lshrrev_b16_e32 v2, 8, v10
	v_cmp_ne_u16_e32 vcc, 0, v2
	v_mov_b32_e32 v0, 0
	s_and_saveexec_b64 s[26:27], vcc
	s_cbranch_execz .LBB4_1405
; %bb.1400:                             ;   in Loop: Header=BB4_137 Depth=3
	v_cmp_ne_u16_e32 vcc, s70, v2
	v_bfrev_b32_e32 v0, 1
	s_and_saveexec_b64 s[94:95], vcc
	s_cbranch_execz .LBB4_1404
; %bb.1401:                             ;   in Loop: Header=BB4_137 Depth=3
	v_and_b32_e32 v8, 0x7f, v2
	v_cmp_ne_u32_e32 vcc, s68, v8
	v_mov_b32_e32 v0, 0x7f800001
	s_and_saveexec_b64 s[30:31], vcc
	s_cbranch_execz .LBB4_1403
; %bb.1402:                             ;   in Loop: Header=BB4_137 Depth=3
	v_and_b32_e32 v0, 7, v2
	v_lshrrev_b32_e32 v14, 3, v8
	v_cmp_gt_u32_e32 vcc, 8, v8
	v_ffbh_u32_e32 v8, v0
	v_min_u32_e32 v15, 32, v8
	v_subrev_u32_e32 v8, 28, v15
	v_lshlrev_b64 v[8:9], v8, v[2:3]
	v_sub_u32_e32 v2, 29, v15
	v_and_b32_e32 v8, 7, v8
	v_cndmask_b32_e32 v2, v14, v2, vcc
	v_cndmask_b32_e32 v0, v0, v8, vcc
	v_lshlrev_b32_e32 v8, 16, v10
	v_lshlrev_b32_e32 v0, 20, v0
	v_and_b32_e32 v8, 0x80000000, v8
	v_lshl_add_u32 v2, v2, 23, v5
	v_or3_b32 v0, v8, v2, v0
.LBB4_1403:                             ;   in Loop: Header=BB4_137 Depth=3
	s_or_b64 exec, exec, s[30:31]
.LBB4_1404:                             ;   in Loop: Header=BB4_137 Depth=3
	s_or_b64 exec, exec, s[94:95]
.LBB4_1405:                             ;   in Loop: Header=BB4_137 Depth=3
	s_or_b64 exec, exec, s[26:27]
	v_mul_f32_e32 v0, v60, v0
	v_and_b32_e32 v2, 0x7f800000, v0
	v_cmp_ne_u64_e32 vcc, s[62:63], v[2:3]
                                        ; implicit-def: $vgpr61
	s_and_saveexec_b64 s[26:27], vcc
	s_xor_b64 s[94:95], exec, s[26:27]
	s_cbranch_execz .LBB4_1419
; %bb.1406:                             ;   in Loop: Header=BB4_137 Depth=3
	v_and_b32_e32 v2, 0x7fffffff, v0
	v_cmp_gt_u64_e32 vcc, s[72:73], v[2:3]
	v_and_b32_sdwa v14, v0, s70 dst_sel:DWORD dst_unused:UNUSED_PAD src0_sel:BYTE_3 src1_sel:DWORD
                                        ; implicit-def: $vgpr61
	s_and_saveexec_b64 s[26:27], vcc
	s_xor_b64 s[30:31], exec, s[26:27]
	s_cbranch_execz .LBB4_1416
; %bb.1407:                             ;   in Loop: Header=BB4_137 Depth=3
	v_mov_b32_e32 v61, 0
	v_cmp_ne_u32_e32 vcc, 0, v0
	s_and_saveexec_b64 s[34:35], vcc
	s_cbranch_execz .LBB4_1415
; %bb.1408:                             ;   in Loop: Header=BB4_137 Depth=3
	v_bfe_u32 v15, v0, 23, 8
	v_and_b32_e32 v2, 0x7fffff, v0
	v_cmp_gt_u32_e64 s[26:27], s71, v15
	v_sub_u32_e32 v0, 0x79, v15
	v_cmp_eq_u32_e32 vcc, 0, v15
	v_cndmask_b32_e64 v0, 0, v0, s[26:27]
	v_mov_b32_e32 v9, 0x78
	v_or_b32_e32 v8, 0x800000, v2
	v_cndmask_b32_e32 v0, v0, v9, vcc
	v_cndmask_b32_e32 v2, v8, v2, vcc
	v_add_u32_e32 v8, 20, v0
	v_lshlrev_b64 v[8:9], v8, -1
	v_add_u32_e32 v22, 19, v0
	v_lshlrev_b64 v[44:45], v22, 1
	v_bfi_b32 v9, v9, 0, 0
	v_bfi_b32 v8, v8, 0, v2
	v_cmp_eq_u64_e64 s[26:27], v[8:9], v[44:45]
	v_lshrrev_b64 v[8:9], v0, v[2:3]
	v_mov_b32_e32 v45, v9
	v_mov_b32_e32 v44, v8
	s_and_saveexec_b64 s[36:37], s[26:27]
; %bb.1409:                             ;   in Loop: Header=BB4_137 Depth=3
	v_bfe_u32 v2, v8, 20, 1
	v_add_co_u32_e64 v2, s[26:27], v8, v2
	v_add_co_u32_e64 v44, s[26:27], -1, v2
; %bb.1410:                             ;   in Loop: Header=BB4_137 Depth=3
	s_or_b64 exec, exec, s[36:37]
	v_add_u32_e32 v2, 0xffffff81, v15
	v_mov_b32_e32 v9, 0xffffff82
	v_cndmask_b32_e32 v2, v2, v9, vcc
	v_lshrrev_b32_e32 v9, 23, v8
	v_add3_u32 v35, v0, v2, v9
	v_add_u32_e32 v15, 6, v35
	v_and_b32_e32 v0, 0xfffff, v44
	v_add_u32_e32 v2, v0, v8
	v_cmp_ne_u32_e32 vcc, 0, v15
                                        ; implicit-def: $vgpr8_vgpr9
                                        ; implicit-def: $vgpr0
	s_and_saveexec_b64 s[26:27], vcc
	s_xor_b64 s[26:27], exec, s[26:27]
; %bb.1411:                             ;   in Loop: Header=BB4_137 Depth=3
	v_cmp_lt_u64_e32 vcc, s[74:75], v[2:3]
	v_add_u32_e32 v0, 7, v35
	v_cndmask_b32_e64 v8, 0, 1, vcc
	v_lshrrev_b64 v[8:9], v8, v[2:3]
	v_cndmask_b32_e32 v0, v15, v0, vcc
; %bb.1412:                             ;   in Loop: Header=BB4_137 Depth=3
	s_andn2_saveexec_b64 s[26:27], s[26:27]
; %bb.1413:                             ;   in Loop: Header=BB4_137 Depth=3
	v_mov_b32_e32 v9, v3
	v_bfe_u32 v0, v2, 23, 1
	v_mov_b32_e32 v8, v2
; %bb.1414:                             ;   in Loop: Header=BB4_137 Depth=3
	s_or_b64 exec, exec, s[26:27]
	v_lshrrev_b64 v[8:9], 20, v[8:9]
	v_cmp_gt_i32_e32 vcc, 16, v0
	v_cndmask_b32_e32 v9, 0, v9, vcc
	v_cndmask_b32_e32 v8, 7, v8, vcc
	v_cmp_eq_u32_e32 vcc, 0, v0
	v_min_i32_e32 v0, 15, v0
	v_cmp_eq_u64_e64 s[26:27], 0, v[8:9]
	v_lshlrev_b32_e32 v0, 3, v0
	v_and_b32_e32 v0, 0xf8, v0
	v_and_or_b32 v0, v8, 7, v0
	s_and_b64 s[26:27], vcc, s[26:27]
	v_cndmask_b32_e64 v0, v0, 0, s[26:27]
	v_or_b32_e32 v61, v0, v14
.LBB4_1415:                             ;   in Loop: Header=BB4_137 Depth=3
	s_or_b64 exec, exec, s[34:35]
                                        ; implicit-def: $vgpr14
.LBB4_1416:                             ;   in Loop: Header=BB4_137 Depth=3
	s_andn2_saveexec_b64 s[26:27], s[30:31]
; %bb.1417:                             ;   in Loop: Header=BB4_137 Depth=3
	v_or_b32_e32 v61, 0x7e, v14
; %bb.1418:                             ;   in Loop: Header=BB4_137 Depth=3
	s_or_b64 exec, exec, s[26:27]
                                        ; implicit-def: $vgpr0
.LBB4_1419:                             ;   in Loop: Header=BB4_137 Depth=3
	s_andn2_saveexec_b64 s[26:27], s[94:95]
; %bb.1420:                             ;   in Loop: Header=BB4_137 Depth=3
	v_or_b32_sdwa v61, v0, s68 dst_sel:DWORD dst_unused:UNUSED_PAD src0_sel:BYTE_3 src1_sel:DWORD
; %bb.1421:                             ;   in Loop: Header=BB4_137 Depth=3
	s_or_b64 exec, exec, s[26:27]
	v_lshrrev_b32_e32 v2, 16, v10
	v_cmp_ne_u16_sdwa s[94:95], v2, v3 src0_sel:BYTE_0 src1_sel:DWORD
	v_mov_b32_e32 v0, 0
	s_and_saveexec_b64 s[26:27], s[94:95]
	s_cbranch_execz .LBB4_1427
; %bb.1422:                             ;   in Loop: Header=BB4_137 Depth=3
	v_cmp_ne_u16_sdwa vcc, v2, s70 src0_sel:BYTE_0 src1_sel:DWORD
	v_bfrev_b32_e32 v0, 1
	s_and_saveexec_b64 s[94:95], vcc
	s_cbranch_execz .LBB4_1426
; %bb.1423:                             ;   in Loop: Header=BB4_137 Depth=3
	v_bfe_u32 v8, v10, 16, 7
	v_cmp_ne_u32_e32 vcc, s68, v8
	v_mov_b32_e32 v0, 0x7f800001
	s_and_saveexec_b64 s[30:31], vcc
	s_cbranch_execz .LBB4_1425
; %bb.1424:                             ;   in Loop: Header=BB4_137 Depth=3
	v_and_b32_e32 v0, 7, v2
	v_lshrrev_b32_e32 v14, 3, v8
	v_cmp_gt_u32_e32 vcc, 8, v8
	v_ffbh_u32_e32 v8, v0
	v_min_u32_e32 v15, 32, v8
	v_subrev_u32_e32 v8, 28, v15
	v_lshlrev_b64 v[8:9], v8, v[2:3]
	v_sub_u32_e32 v9, 29, v15
	v_and_b32_e32 v8, 7, v8
	v_cndmask_b32_e32 v9, v14, v9, vcc
	v_cndmask_b32_e32 v0, v0, v8, vcc
	v_lshlrev_b32_e32 v2, 24, v2
	v_lshlrev_b32_e32 v0, 20, v0
	v_and_b32_e32 v2, 0x80000000, v2
	v_lshl_add_u32 v8, v9, 23, v5
	v_or3_b32 v0, v2, v8, v0
.LBB4_1425:                             ;   in Loop: Header=BB4_137 Depth=3
	s_or_b64 exec, exec, s[30:31]
.LBB4_1426:                             ;   in Loop: Header=BB4_137 Depth=3
	s_or_b64 exec, exec, s[94:95]
.LBB4_1427:                             ;   in Loop: Header=BB4_137 Depth=3
	s_or_b64 exec, exec, s[26:27]
	v_mul_f32_e32 v0, v60, v0
	v_and_b32_e32 v2, 0x7f800000, v0
	v_cmp_ne_u64_e32 vcc, s[62:63], v[2:3]
                                        ; implicit-def: $vgpr39
	s_and_saveexec_b64 s[26:27], vcc
	s_xor_b64 s[94:95], exec, s[26:27]
	s_cbranch_execz .LBB4_1441
; %bb.1428:                             ;   in Loop: Header=BB4_137 Depth=3
	v_and_b32_e32 v2, 0x7fffffff, v0
	v_cmp_gt_u64_e32 vcc, s[72:73], v[2:3]
	v_and_b32_sdwa v14, v0, s70 dst_sel:DWORD dst_unused:UNUSED_PAD src0_sel:BYTE_3 src1_sel:DWORD
                                        ; implicit-def: $vgpr39
	s_and_saveexec_b64 s[26:27], vcc
	s_xor_b64 s[30:31], exec, s[26:27]
	s_cbranch_execz .LBB4_1438
; %bb.1429:                             ;   in Loop: Header=BB4_137 Depth=3
	v_mov_b32_e32 v39, 0
	v_cmp_ne_u32_e32 vcc, 0, v0
	s_and_saveexec_b64 s[34:35], vcc
	s_cbranch_execz .LBB4_1437
; %bb.1430:                             ;   in Loop: Header=BB4_137 Depth=3
	v_bfe_u32 v15, v0, 23, 8
	v_and_b32_e32 v2, 0x7fffff, v0
	v_cmp_gt_u32_e64 s[26:27], s71, v15
	v_sub_u32_e32 v0, 0x79, v15
	v_cmp_eq_u32_e32 vcc, 0, v15
	v_cndmask_b32_e64 v0, 0, v0, s[26:27]
	v_mov_b32_e32 v9, 0x78
	v_or_b32_e32 v8, 0x800000, v2
	v_cndmask_b32_e32 v0, v0, v9, vcc
	v_cndmask_b32_e32 v2, v8, v2, vcc
	v_add_u32_e32 v8, 20, v0
	v_lshlrev_b64 v[8:9], v8, -1
	v_add_u32_e32 v22, 19, v0
	v_lshlrev_b64 v[44:45], v22, 1
	v_bfi_b32 v9, v9, 0, 0
	v_bfi_b32 v8, v8, 0, v2
	v_cmp_eq_u64_e64 s[26:27], v[8:9], v[44:45]
	v_lshrrev_b64 v[8:9], v0, v[2:3]
	v_mov_b32_e32 v45, v9
	v_mov_b32_e32 v44, v8
	s_and_saveexec_b64 s[36:37], s[26:27]
; %bb.1431:                             ;   in Loop: Header=BB4_137 Depth=3
	v_bfe_u32 v2, v8, 20, 1
	v_add_co_u32_e64 v2, s[26:27], v8, v2
	v_add_co_u32_e64 v44, s[26:27], -1, v2
; %bb.1432:                             ;   in Loop: Header=BB4_137 Depth=3
	s_or_b64 exec, exec, s[36:37]
	v_add_u32_e32 v2, 0xffffff81, v15
	v_mov_b32_e32 v9, 0xffffff82
	v_cndmask_b32_e32 v2, v2, v9, vcc
	v_lshrrev_b32_e32 v9, 23, v8
	v_add3_u32 v35, v0, v2, v9
	v_add_u32_e32 v15, 6, v35
	v_and_b32_e32 v0, 0xfffff, v44
	v_add_u32_e32 v2, v0, v8
	v_cmp_ne_u32_e32 vcc, 0, v15
                                        ; implicit-def: $vgpr8_vgpr9
                                        ; implicit-def: $vgpr0
	s_and_saveexec_b64 s[26:27], vcc
	s_xor_b64 s[26:27], exec, s[26:27]
; %bb.1433:                             ;   in Loop: Header=BB4_137 Depth=3
	v_cmp_lt_u64_e32 vcc, s[74:75], v[2:3]
	v_add_u32_e32 v0, 7, v35
	v_cndmask_b32_e64 v8, 0, 1, vcc
	v_lshrrev_b64 v[8:9], v8, v[2:3]
	v_cndmask_b32_e32 v0, v15, v0, vcc
; %bb.1434:                             ;   in Loop: Header=BB4_137 Depth=3
	s_andn2_saveexec_b64 s[26:27], s[26:27]
; %bb.1435:                             ;   in Loop: Header=BB4_137 Depth=3
	v_mov_b32_e32 v9, v3
	v_bfe_u32 v0, v2, 23, 1
	v_mov_b32_e32 v8, v2
; %bb.1436:                             ;   in Loop: Header=BB4_137 Depth=3
	s_or_b64 exec, exec, s[26:27]
	v_lshrrev_b64 v[8:9], 20, v[8:9]
	v_cmp_gt_i32_e32 vcc, 16, v0
	v_cndmask_b32_e32 v9, 0, v9, vcc
	v_cndmask_b32_e32 v8, 7, v8, vcc
	v_cmp_eq_u32_e32 vcc, 0, v0
	v_min_i32_e32 v0, 15, v0
	v_cmp_eq_u64_e64 s[26:27], 0, v[8:9]
	v_lshlrev_b32_e32 v0, 3, v0
	v_and_b32_e32 v0, 0xf8, v0
	v_and_or_b32 v0, v8, 7, v0
	s_and_b64 s[26:27], vcc, s[26:27]
	v_cndmask_b32_e64 v0, v0, 0, s[26:27]
	v_or_b32_e32 v39, v0, v14
.LBB4_1437:                             ;   in Loop: Header=BB4_137 Depth=3
	s_or_b64 exec, exec, s[34:35]
                                        ; implicit-def: $vgpr14
.LBB4_1438:                             ;   in Loop: Header=BB4_137 Depth=3
	s_andn2_saveexec_b64 s[26:27], s[30:31]
; %bb.1439:                             ;   in Loop: Header=BB4_137 Depth=3
	v_or_b32_e32 v39, 0x7e, v14
; %bb.1440:                             ;   in Loop: Header=BB4_137 Depth=3
	s_or_b64 exec, exec, s[26:27]
                                        ; implicit-def: $vgpr0
.LBB4_1441:                             ;   in Loop: Header=BB4_137 Depth=3
	s_andn2_saveexec_b64 s[26:27], s[94:95]
; %bb.1442:                             ;   in Loop: Header=BB4_137 Depth=3
	v_or_b32_sdwa v39, v0, s68 dst_sel:DWORD dst_unused:UNUSED_PAD src0_sel:BYTE_3 src1_sel:DWORD
; %bb.1443:                             ;   in Loop: Header=BB4_137 Depth=3
	s_or_b64 exec, exec, s[26:27]
	v_cmp_lt_u32_e32 vcc, s57, v10
	v_mov_b32_e32 v0, 0
	s_and_saveexec_b64 s[26:27], vcc
	s_cbranch_execz .LBB4_1449
; %bb.1444:                             ;   in Loop: Header=BB4_137 Depth=3
	v_lshrrev_b32_e32 v2, 24, v10
	v_cmp_ne_u32_e32 vcc, s70, v2
	v_bfrev_b32_e32 v0, 1
	s_and_saveexec_b64 s[94:95], vcc
	s_cbranch_execz .LBB4_1448
; %bb.1445:                             ;   in Loop: Header=BB4_137 Depth=3
	v_bfe_u32 v8, v10, 24, 7
	v_cmp_ne_u32_e32 vcc, s68, v8
	v_mov_b32_e32 v0, 0x7f800001
	s_and_saveexec_b64 s[30:31], vcc
	s_cbranch_execz .LBB4_1447
; %bb.1446:                             ;   in Loop: Header=BB4_137 Depth=3
	v_and_b32_e32 v0, 7, v2
	v_lshrrev_b32_e32 v14, 3, v8
	v_cmp_gt_u32_e32 vcc, 8, v8
	v_ffbh_u32_e32 v8, v0
	v_min_u32_e32 v15, 32, v8
	v_subrev_u32_e32 v8, 28, v15
	v_lshlrev_b64 v[8:9], v8, v[2:3]
	v_sub_u32_e32 v9, 29, v15
	v_and_b32_e32 v8, 7, v8
	v_cndmask_b32_e32 v9, v14, v9, vcc
	v_cndmask_b32_e32 v0, v0, v8, vcc
	v_lshlrev_b32_e32 v2, 24, v2
	v_lshlrev_b32_e32 v0, 20, v0
	v_and_b32_e32 v2, 0x80000000, v2
	v_lshl_add_u32 v8, v9, 23, v5
	v_or3_b32 v0, v2, v8, v0
.LBB4_1447:                             ;   in Loop: Header=BB4_137 Depth=3
	s_or_b64 exec, exec, s[30:31]
.LBB4_1448:                             ;   in Loop: Header=BB4_137 Depth=3
	s_or_b64 exec, exec, s[94:95]
.LBB4_1449:                             ;   in Loop: Header=BB4_137 Depth=3
	s_or_b64 exec, exec, s[26:27]
	v_mul_f32_e32 v0, v60, v0
	v_and_b32_e32 v2, 0x7f800000, v0
	v_cmp_ne_u64_e32 vcc, s[62:63], v[2:3]
                                        ; implicit-def: $vgpr14
	s_and_saveexec_b64 s[26:27], vcc
	s_xor_b64 s[94:95], exec, s[26:27]
	s_cbranch_execz .LBB4_1463
; %bb.1450:                             ;   in Loop: Header=BB4_137 Depth=3
	v_and_b32_e32 v2, 0x7fffffff, v0
	v_cmp_gt_u64_e32 vcc, s[72:73], v[2:3]
	v_and_b32_sdwa v15, v0, s70 dst_sel:DWORD dst_unused:UNUSED_PAD src0_sel:BYTE_3 src1_sel:DWORD
                                        ; implicit-def: $vgpr14
	s_and_saveexec_b64 s[26:27], vcc
	s_xor_b64 s[30:31], exec, s[26:27]
	s_cbranch_execz .LBB4_1460
; %bb.1451:                             ;   in Loop: Header=BB4_137 Depth=3
	v_mov_b32_e32 v14, 0
	v_cmp_ne_u32_e32 vcc, 0, v0
	s_and_saveexec_b64 s[34:35], vcc
	s_cbranch_execz .LBB4_1459
; %bb.1452:                             ;   in Loop: Header=BB4_137 Depth=3
	v_bfe_u32 v14, v0, 23, 8
	v_and_b32_e32 v2, 0x7fffff, v0
	v_cmp_gt_u32_e64 s[26:27], s71, v14
	v_sub_u32_e32 v0, 0x79, v14
	v_cmp_eq_u32_e32 vcc, 0, v14
	v_cndmask_b32_e64 v0, 0, v0, s[26:27]
	v_mov_b32_e32 v9, 0x78
	v_or_b32_e32 v8, 0x800000, v2
	v_cndmask_b32_e32 v0, v0, v9, vcc
	v_cndmask_b32_e32 v2, v8, v2, vcc
	v_add_u32_e32 v8, 20, v0
	v_lshlrev_b64 v[8:9], v8, -1
	v_add_u32_e32 v22, 19, v0
	v_lshlrev_b64 v[44:45], v22, 1
	v_bfi_b32 v9, v9, 0, 0
	v_bfi_b32 v8, v8, 0, v2
	v_cmp_eq_u64_e64 s[26:27], v[8:9], v[44:45]
	v_lshrrev_b64 v[8:9], v0, v[2:3]
	v_mov_b32_e32 v45, v9
	v_mov_b32_e32 v44, v8
	s_and_saveexec_b64 s[36:37], s[26:27]
; %bb.1453:                             ;   in Loop: Header=BB4_137 Depth=3
	v_bfe_u32 v2, v8, 20, 1
	v_add_co_u32_e64 v2, s[26:27], v8, v2
	v_add_co_u32_e64 v44, s[26:27], -1, v2
; %bb.1454:                             ;   in Loop: Header=BB4_137 Depth=3
	s_or_b64 exec, exec, s[36:37]
	v_add_u32_e32 v2, 0xffffff81, v14
	v_mov_b32_e32 v9, 0xffffff82
	v_cndmask_b32_e32 v2, v2, v9, vcc
	v_lshrrev_b32_e32 v9, 23, v8
	v_add3_u32 v35, v0, v2, v9
	v_add_u32_e32 v14, 6, v35
	v_and_b32_e32 v0, 0xfffff, v44
	v_add_u32_e32 v2, v0, v8
	v_cmp_ne_u32_e32 vcc, 0, v14
                                        ; implicit-def: $vgpr8_vgpr9
                                        ; implicit-def: $vgpr0
	s_and_saveexec_b64 s[26:27], vcc
	s_xor_b64 s[26:27], exec, s[26:27]
; %bb.1455:                             ;   in Loop: Header=BB4_137 Depth=3
	v_cmp_lt_u64_e32 vcc, s[74:75], v[2:3]
	v_add_u32_e32 v0, 7, v35
	v_cndmask_b32_e64 v8, 0, 1, vcc
	v_lshrrev_b64 v[8:9], v8, v[2:3]
	v_cndmask_b32_e32 v0, v14, v0, vcc
; %bb.1456:                             ;   in Loop: Header=BB4_137 Depth=3
	s_andn2_saveexec_b64 s[26:27], s[26:27]
; %bb.1457:                             ;   in Loop: Header=BB4_137 Depth=3
	v_mov_b32_e32 v9, v3
	v_bfe_u32 v0, v2, 23, 1
	v_mov_b32_e32 v8, v2
; %bb.1458:                             ;   in Loop: Header=BB4_137 Depth=3
	s_or_b64 exec, exec, s[26:27]
	v_lshrrev_b64 v[8:9], 20, v[8:9]
	v_cmp_gt_i32_e32 vcc, 16, v0
	v_cndmask_b32_e32 v9, 0, v9, vcc
	v_cndmask_b32_e32 v8, 7, v8, vcc
	v_cmp_eq_u32_e32 vcc, 0, v0
	v_min_i32_e32 v0, 15, v0
	v_cmp_eq_u64_e64 s[26:27], 0, v[8:9]
	v_lshlrev_b32_e32 v0, 3, v0
	v_and_b32_e32 v0, 0xf8, v0
	v_and_or_b32 v0, v8, 7, v0
	s_and_b64 s[26:27], vcc, s[26:27]
	v_cndmask_b32_e64 v0, v0, 0, s[26:27]
	v_or_b32_e32 v14, v0, v15
.LBB4_1459:                             ;   in Loop: Header=BB4_137 Depth=3
	s_or_b64 exec, exec, s[34:35]
                                        ; implicit-def: $vgpr15
.LBB4_1460:                             ;   in Loop: Header=BB4_137 Depth=3
	s_andn2_saveexec_b64 s[26:27], s[30:31]
; %bb.1461:                             ;   in Loop: Header=BB4_137 Depth=3
	v_or_b32_e32 v14, 0x7e, v15
; %bb.1462:                             ;   in Loop: Header=BB4_137 Depth=3
	s_or_b64 exec, exec, s[26:27]
                                        ; implicit-def: $vgpr0
.LBB4_1463:                             ;   in Loop: Header=BB4_137 Depth=3
	s_andn2_saveexec_b64 s[26:27], s[94:95]
; %bb.1464:                             ;   in Loop: Header=BB4_137 Depth=3
	v_or_b32_sdwa v14, v0, s68 dst_sel:DWORD dst_unused:UNUSED_PAD src0_sel:BYTE_3 src1_sel:DWORD
; %bb.1465:                             ;   in Loop: Header=BB4_137 Depth=3
	s_or_b64 exec, exec, s[26:27]
	v_mov_b32_e32 v2, v11
	v_cmp_ne_u16_sdwa s[94:95], v11, v3 src0_sel:BYTE_0 src1_sel:DWORD
	v_mov_b32_e32 v0, 0
	s_and_saveexec_b64 s[26:27], s[94:95]
	s_cbranch_execz .LBB4_1471
; %bb.1466:                             ;   in Loop: Header=BB4_137 Depth=3
	v_cmp_ne_u16_sdwa vcc, v11, s70 src0_sel:BYTE_0 src1_sel:DWORD
	v_bfrev_b32_e32 v0, 1
	s_and_saveexec_b64 s[94:95], vcc
	s_cbranch_execz .LBB4_1470
; %bb.1467:                             ;   in Loop: Header=BB4_137 Depth=3
	v_and_b32_e32 v8, 0x7f, v11
	v_cmp_ne_u32_e32 vcc, s68, v8
	v_mov_b32_e32 v0, 0x7f800001
	s_and_saveexec_b64 s[30:31], vcc
	s_cbranch_execz .LBB4_1469
; %bb.1468:                             ;   in Loop: Header=BB4_137 Depth=3
	v_and_b32_e32 v0, 7, v11
	v_ffbh_u32_e32 v0, v0
	v_min_u32_e32 v0, 32, v0
	v_lshrrev_b32_e32 v9, 3, v8
	v_cmp_gt_u32_e32 vcc, 8, v8
	v_subrev_u32_e32 v8, 28, v0
	v_sub_u32_e32 v0, 29, v0
	v_cndmask_b32_e32 v8, 0, v8, vcc
	v_cndmask_b32_e32 v0, v9, v0, vcc
	v_lshlrev_b64 v[8:9], v8, v[2:3]
	v_lshlrev_b32_e32 v9, 24, v2
	v_lshlrev_b32_e32 v8, 20, v8
	v_and_b32_e32 v8, 0x700000, v8
	v_and_b32_e32 v9, 0x80000000, v9
	v_lshl_add_u32 v0, v0, 23, v5
	v_or3_b32 v0, v9, v0, v8
.LBB4_1469:                             ;   in Loop: Header=BB4_137 Depth=3
	s_or_b64 exec, exec, s[30:31]
.LBB4_1470:                             ;   in Loop: Header=BB4_137 Depth=3
	s_or_b64 exec, exec, s[94:95]
.LBB4_1471:                             ;   in Loop: Header=BB4_137 Depth=3
	s_or_b64 exec, exec, s[26:27]
	v_mul_f32_e32 v0, v60, v0
	v_and_b32_e32 v8, 0x7f800000, v0
	v_mov_b32_e32 v9, v3
	v_cmp_ne_u64_e32 vcc, s[62:63], v[8:9]
                                        ; implicit-def: $vgpr15
	s_and_saveexec_b64 s[26:27], vcc
	s_xor_b64 s[94:95], exec, s[26:27]
	s_cbranch_execz .LBB4_1485
; %bb.1472:                             ;   in Loop: Header=BB4_137 Depth=3
	v_and_b32_e32 v8, 0x7fffffff, v0
	v_mov_b32_e32 v9, v3
	v_cmp_gt_u64_e32 vcc, s[72:73], v[8:9]
	v_and_b32_sdwa v58, v0, s70 dst_sel:DWORD dst_unused:UNUSED_PAD src0_sel:BYTE_3 src1_sel:DWORD
                                        ; implicit-def: $vgpr15
	s_and_saveexec_b64 s[26:27], vcc
	s_xor_b64 s[30:31], exec, s[26:27]
	s_cbranch_execz .LBB4_1482
; %bb.1473:                             ;   in Loop: Header=BB4_137 Depth=3
	v_mov_b32_e32 v15, 0
	v_cmp_ne_u32_e32 vcc, 0, v0
	s_and_saveexec_b64 s[34:35], vcc
	s_cbranch_execz .LBB4_1481
; %bb.1474:                             ;   in Loop: Header=BB4_137 Depth=3
	v_bfe_u32 v15, v0, 23, 8
	v_and_b32_e32 v8, 0x7fffff, v0
	v_cmp_gt_u32_e64 s[26:27], s71, v15
	v_sub_u32_e32 v0, 0x79, v15
	v_cmp_eq_u32_e32 vcc, 0, v15
	v_cndmask_b32_e64 v0, 0, v0, s[26:27]
	v_mov_b32_e32 v22, 0x78
	v_cndmask_b32_e32 v0, v0, v22, vcc
	v_add_u32_e32 v22, 20, v0
	v_or_b32_e32 v9, 0x800000, v8
	v_lshlrev_b64 v[44:45], v22, -1
	v_cndmask_b32_e32 v8, v9, v8, vcc
	v_mov_b32_e32 v9, v3
	v_add_u32_e32 v22, 19, v0
	v_mov_b32_e32 v32, v25
	v_mov_b32_e32 v51, v24
	v_bfi_b32 v44, v44, 0, v8
	v_lshlrev_b64 v[24:25], v22, 1
	v_lshrrev_b64 v[8:9], v0, v[8:9]
	v_bfi_b32 v45, v45, 0, 0
	v_cmp_eq_u64_e64 s[26:27], v[44:45], v[24:25]
	v_mov_b32_e32 v45, v9
	v_mov_b32_e32 v44, v8
	s_and_saveexec_b64 s[36:37], s[26:27]
; %bb.1475:                             ;   in Loop: Header=BB4_137 Depth=3
	v_bfe_u32 v9, v8, 20, 1
	v_add_co_u32_e64 v9, s[26:27], v8, v9
	v_add_co_u32_e64 v44, s[26:27], -1, v9
; %bb.1476:                             ;   in Loop: Header=BB4_137 Depth=3
	s_or_b64 exec, exec, s[36:37]
	v_add_u32_e32 v9, 0xffffff81, v15
	v_mov_b32_e32 v15, 0xffffff82
	v_cndmask_b32_e32 v9, v9, v15, vcc
	v_lshrrev_b32_e32 v15, 23, v8
	v_add3_u32 v35, v0, v9, v15
	v_add_u32_e32 v15, 6, v35
	v_and_b32_e32 v0, 0xfffff, v44
	v_add_u32_e32 v8, v0, v8
	v_mov_b32_e32 v9, v3
	v_cmp_ne_u32_e32 vcc, 0, v15
                                        ; implicit-def: $vgpr0
	s_and_saveexec_b64 s[26:27], vcc
	s_xor_b64 s[26:27], exec, s[26:27]
; %bb.1477:                             ;   in Loop: Header=BB4_137 Depth=3
	v_cmp_lt_u64_e32 vcc, s[74:75], v[8:9]
	v_add_u32_e32 v0, 7, v35
	v_cndmask_b32_e32 v0, v15, v0, vcc
	v_cndmask_b32_e64 v15, 0, 1, vcc
	v_lshrrev_b64 v[8:9], v15, v[8:9]
; %bb.1478:                             ;   in Loop: Header=BB4_137 Depth=3
	s_or_saveexec_b64 s[26:27], s[26:27]
	v_mov_b32_e32 v24, v51
	v_mov_b32_e32 v25, v32
	s_xor_b64 exec, exec, s[26:27]
; %bb.1479:                             ;   in Loop: Header=BB4_137 Depth=3
	v_bfe_u32 v0, v8, 23, 1
; %bb.1480:                             ;   in Loop: Header=BB4_137 Depth=3
	s_or_b64 exec, exec, s[26:27]
	v_lshrrev_b64 v[8:9], 20, v[8:9]
	v_cmp_gt_i32_e32 vcc, 16, v0
	v_cndmask_b32_e32 v9, 0, v9, vcc
	v_cndmask_b32_e32 v8, 7, v8, vcc
	v_cmp_eq_u32_e32 vcc, 0, v0
	v_min_i32_e32 v0, 15, v0
	v_cmp_eq_u64_e64 s[26:27], 0, v[8:9]
	v_lshlrev_b32_e32 v0, 3, v0
	v_and_b32_e32 v0, 0xf8, v0
	v_and_or_b32 v0, v8, 7, v0
	s_and_b64 s[26:27], vcc, s[26:27]
	v_cndmask_b32_e64 v0, v0, 0, s[26:27]
	v_or_b32_e32 v15, v0, v58
.LBB4_1481:                             ;   in Loop: Header=BB4_137 Depth=3
	s_or_b64 exec, exec, s[34:35]
                                        ; implicit-def: $vgpr58
.LBB4_1482:                             ;   in Loop: Header=BB4_137 Depth=3
	s_andn2_saveexec_b64 s[26:27], s[30:31]
; %bb.1483:                             ;   in Loop: Header=BB4_137 Depth=3
	v_or_b32_e32 v15, 0x7e, v58
; %bb.1484:                             ;   in Loop: Header=BB4_137 Depth=3
	s_or_b64 exec, exec, s[26:27]
                                        ; implicit-def: $vgpr0
.LBB4_1485:                             ;   in Loop: Header=BB4_137 Depth=3
	s_andn2_saveexec_b64 s[26:27], s[94:95]
; %bb.1486:                             ;   in Loop: Header=BB4_137 Depth=3
	v_or_b32_sdwa v15, v0, s68 dst_sel:DWORD dst_unused:UNUSED_PAD src0_sel:BYTE_3 src1_sel:DWORD
; %bb.1487:                             ;   in Loop: Header=BB4_137 Depth=3
	s_or_b64 exec, exec, s[26:27]
	v_lshrrev_b16_e32 v8, 8, v2
	v_cmp_ne_u16_e32 vcc, 0, v8
	v_mov_b32_e32 v0, 0
	s_and_saveexec_b64 s[26:27], vcc
	s_cbranch_execz .LBB4_1493
; %bb.1488:                             ;   in Loop: Header=BB4_137 Depth=3
	v_cmp_ne_u16_e32 vcc, s70, v8
	v_bfrev_b32_e32 v0, 1
	s_and_saveexec_b64 s[94:95], vcc
	s_cbranch_execz .LBB4_1492
; %bb.1489:                             ;   in Loop: Header=BB4_137 Depth=3
	v_and_b32_e32 v9, 0x7f, v8
	v_cmp_ne_u32_e32 vcc, s68, v9
	v_mov_b32_e32 v0, 0x7f800001
	s_and_saveexec_b64 s[30:31], vcc
	s_cbranch_execz .LBB4_1491
; %bb.1490:                             ;   in Loop: Header=BB4_137 Depth=3
	v_and_b32_e32 v0, 7, v8
	v_lshrrev_b32_e32 v22, 3, v9
	v_cmp_gt_u32_e32 vcc, 8, v9
	v_ffbh_u32_e32 v9, v0
	v_min_u32_e32 v23, 32, v9
	v_subrev_u32_e32 v9, 28, v23
	v_lshlrev_b64 v[8:9], v9, v[8:9]
	v_sub_u32_e32 v9, 29, v23
	v_and_b32_e32 v8, 7, v8
	v_cndmask_b32_e32 v9, v22, v9, vcc
	v_cndmask_b32_e32 v0, v0, v8, vcc
	v_lshlrev_b32_e32 v2, 16, v2
	v_lshlrev_b32_e32 v0, 20, v0
	v_and_b32_e32 v2, 0x80000000, v2
	v_lshl_add_u32 v8, v9, 23, v5
	v_or3_b32 v0, v2, v8, v0
.LBB4_1491:                             ;   in Loop: Header=BB4_137 Depth=3
	s_or_b64 exec, exec, s[30:31]
.LBB4_1492:                             ;   in Loop: Header=BB4_137 Depth=3
	s_or_b64 exec, exec, s[94:95]
.LBB4_1493:                             ;   in Loop: Header=BB4_137 Depth=3
	s_or_b64 exec, exec, s[26:27]
	v_mul_f32_e32 v0, v60, v0
	v_and_b32_e32 v2, 0x7f800000, v0
	v_cmp_ne_u64_e32 vcc, s[62:63], v[2:3]
                                        ; implicit-def: $vgpr58
	s_and_saveexec_b64 s[26:27], vcc
	s_xor_b64 s[94:95], exec, s[26:27]
	s_cbranch_execz .LBB4_1507
; %bb.1494:                             ;   in Loop: Header=BB4_137 Depth=3
	v_and_b32_e32 v2, 0x7fffffff, v0
	v_cmp_gt_u64_e32 vcc, s[72:73], v[2:3]
	v_and_b32_sdwa v51, v0, s70 dst_sel:DWORD dst_unused:UNUSED_PAD src0_sel:BYTE_3 src1_sel:DWORD
                                        ; implicit-def: $vgpr58
	s_and_saveexec_b64 s[26:27], vcc
	s_xor_b64 s[30:31], exec, s[26:27]
	s_cbranch_execz .LBB4_1504
; %bb.1495:                             ;   in Loop: Header=BB4_137 Depth=3
	v_mov_b32_e32 v58, 0
	v_cmp_ne_u32_e32 vcc, 0, v0
	s_and_saveexec_b64 s[34:35], vcc
	s_cbranch_execz .LBB4_1503
; %bb.1496:                             ;   in Loop: Header=BB4_137 Depth=3
	v_bfe_u32 v58, v0, 23, 8
	v_and_b32_e32 v2, 0x7fffff, v0
	v_cmp_gt_u32_e64 s[26:27], s71, v58
	v_sub_u32_e32 v0, 0x79, v58
	v_cmp_eq_u32_e32 vcc, 0, v58
	v_cndmask_b32_e64 v0, 0, v0, s[26:27]
	v_mov_b32_e32 v9, 0x78
	v_or_b32_e32 v8, 0x800000, v2
	v_cndmask_b32_e32 v0, v0, v9, vcc
	v_cndmask_b32_e32 v2, v8, v2, vcc
	v_add_u32_e32 v8, 20, v0
	v_lshlrev_b64 v[8:9], v8, -1
	v_add_u32_e32 v22, 19, v0
	v_mov_b32_e32 v23, v25
	v_mov_b32_e32 v32, v24
	v_lshlrev_b64 v[24:25], v22, 1
	v_bfi_b32 v9, v9, 0, 0
	v_bfi_b32 v8, v8, 0, v2
	v_cmp_eq_u64_e64 s[26:27], v[8:9], v[24:25]
	v_lshrrev_b64 v[8:9], v0, v[2:3]
	v_mov_b32_e32 v45, v9
	v_mov_b32_e32 v44, v8
	s_and_saveexec_b64 s[36:37], s[26:27]
; %bb.1497:                             ;   in Loop: Header=BB4_137 Depth=3
	v_bfe_u32 v2, v8, 20, 1
	v_add_co_u32_e64 v2, s[26:27], v8, v2
	v_add_co_u32_e64 v44, s[26:27], -1, v2
; %bb.1498:                             ;   in Loop: Header=BB4_137 Depth=3
	s_or_b64 exec, exec, s[36:37]
	v_add_u32_e32 v2, 0xffffff81, v58
	v_mov_b32_e32 v9, 0xffffff82
	v_cndmask_b32_e32 v2, v2, v9, vcc
	v_lshrrev_b32_e32 v9, 23, v8
	v_add3_u32 v45, v0, v2, v9
	v_add_u32_e32 v35, 6, v45
	v_and_b32_e32 v0, 0xfffff, v44
	v_add_u32_e32 v2, v0, v8
	v_cmp_ne_u32_e32 vcc, 0, v35
                                        ; implicit-def: $vgpr8_vgpr9
                                        ; implicit-def: $vgpr0
	s_and_saveexec_b64 s[26:27], vcc
	s_xor_b64 s[26:27], exec, s[26:27]
; %bb.1499:                             ;   in Loop: Header=BB4_137 Depth=3
	v_cmp_lt_u64_e32 vcc, s[74:75], v[2:3]
	v_add_u32_e32 v0, 7, v45
	v_cndmask_b32_e64 v8, 0, 1, vcc
	v_lshrrev_b64 v[8:9], v8, v[2:3]
	v_cndmask_b32_e32 v0, v35, v0, vcc
; %bb.1500:                             ;   in Loop: Header=BB4_137 Depth=3
	s_or_saveexec_b64 s[26:27], s[26:27]
	v_mov_b32_e32 v24, v32
	v_mov_b32_e32 v25, v23
	s_xor_b64 exec, exec, s[26:27]
; %bb.1501:                             ;   in Loop: Header=BB4_137 Depth=3
	v_mov_b32_e32 v9, v3
	v_bfe_u32 v0, v2, 23, 1
	v_mov_b32_e32 v8, v2
; %bb.1502:                             ;   in Loop: Header=BB4_137 Depth=3
	s_or_b64 exec, exec, s[26:27]
	v_lshrrev_b64 v[8:9], 20, v[8:9]
	v_cmp_gt_i32_e32 vcc, 16, v0
	v_cndmask_b32_e32 v9, 0, v9, vcc
	v_cndmask_b32_e32 v8, 7, v8, vcc
	v_cmp_eq_u32_e32 vcc, 0, v0
	v_min_i32_e32 v0, 15, v0
	v_cmp_eq_u64_e64 s[26:27], 0, v[8:9]
	v_lshlrev_b32_e32 v0, 3, v0
	v_and_b32_e32 v0, 0xf8, v0
	v_and_or_b32 v0, v8, 7, v0
	s_and_b64 s[26:27], vcc, s[26:27]
	v_cndmask_b32_e64 v0, v0, 0, s[26:27]
	v_or_b32_e32 v58, v0, v51
.LBB4_1503:                             ;   in Loop: Header=BB4_137 Depth=3
	s_or_b64 exec, exec, s[34:35]
                                        ; implicit-def: $vgpr51
.LBB4_1504:                             ;   in Loop: Header=BB4_137 Depth=3
	s_andn2_saveexec_b64 s[26:27], s[30:31]
; %bb.1505:                             ;   in Loop: Header=BB4_137 Depth=3
	v_or_b32_e32 v58, 0x7e, v51
; %bb.1506:                             ;   in Loop: Header=BB4_137 Depth=3
	s_or_b64 exec, exec, s[26:27]
                                        ; implicit-def: $vgpr0
.LBB4_1507:                             ;   in Loop: Header=BB4_137 Depth=3
	s_andn2_saveexec_b64 s[26:27], s[94:95]
; %bb.1508:                             ;   in Loop: Header=BB4_137 Depth=3
	v_or_b32_sdwa v58, v0, s68 dst_sel:DWORD dst_unused:UNUSED_PAD src0_sel:BYTE_3 src1_sel:DWORD
; %bb.1509:                             ;   in Loop: Header=BB4_137 Depth=3
	s_or_b64 exec, exec, s[26:27]
	v_lshrrev_b32_e32 v2, 16, v11
	v_cmp_ne_u16_sdwa s[94:95], v2, v3 src0_sel:BYTE_0 src1_sel:DWORD
	v_mov_b32_e32 v0, 0
	s_and_saveexec_b64 s[26:27], s[94:95]
	s_cbranch_execz .LBB4_1515
; %bb.1510:                             ;   in Loop: Header=BB4_137 Depth=3
	v_cmp_ne_u16_sdwa vcc, v2, s70 src0_sel:BYTE_0 src1_sel:DWORD
	v_bfrev_b32_e32 v0, 1
	s_and_saveexec_b64 s[94:95], vcc
	s_cbranch_execz .LBB4_1514
; %bb.1511:                             ;   in Loop: Header=BB4_137 Depth=3
	v_bfe_u32 v8, v11, 16, 7
	v_cmp_ne_u32_e32 vcc, s68, v8
	v_mov_b32_e32 v0, 0x7f800001
	s_and_saveexec_b64 s[30:31], vcc
	s_cbranch_execz .LBB4_1513
; %bb.1512:                             ;   in Loop: Header=BB4_137 Depth=3
	v_and_b32_e32 v0, 7, v2
	v_lshrrev_b32_e32 v22, 3, v8
	v_cmp_gt_u32_e32 vcc, 8, v8
	v_ffbh_u32_e32 v8, v0
	v_min_u32_e32 v23, 32, v8
	v_subrev_u32_e32 v8, 28, v23
	v_lshlrev_b64 v[8:9], v8, v[2:3]
	v_sub_u32_e32 v9, 29, v23
	v_and_b32_e32 v8, 7, v8
	v_cndmask_b32_e32 v9, v22, v9, vcc
	v_cndmask_b32_e32 v0, v0, v8, vcc
	v_lshlrev_b32_e32 v2, 24, v2
	v_lshlrev_b32_e32 v0, 20, v0
	v_and_b32_e32 v2, 0x80000000, v2
	v_lshl_add_u32 v8, v9, 23, v5
	v_or3_b32 v0, v2, v8, v0
.LBB4_1513:                             ;   in Loop: Header=BB4_137 Depth=3
	s_or_b64 exec, exec, s[30:31]
.LBB4_1514:                             ;   in Loop: Header=BB4_137 Depth=3
	s_or_b64 exec, exec, s[94:95]
.LBB4_1515:                             ;   in Loop: Header=BB4_137 Depth=3
	s_or_b64 exec, exec, s[26:27]
	v_mul_f32_e32 v0, v60, v0
	v_and_b32_e32 v2, 0x7f800000, v0
	v_cmp_ne_u64_e32 vcc, s[62:63], v[2:3]
                                        ; implicit-def: $vgpr44
	s_and_saveexec_b64 s[26:27], vcc
	s_xor_b64 s[94:95], exec, s[26:27]
	s_cbranch_execz .LBB4_1529
; %bb.1516:                             ;   in Loop: Header=BB4_137 Depth=3
	v_and_b32_e32 v2, 0x7fffffff, v0
	v_cmp_gt_u64_e32 vcc, s[72:73], v[2:3]
	v_and_b32_sdwa v51, v0, s70 dst_sel:DWORD dst_unused:UNUSED_PAD src0_sel:BYTE_3 src1_sel:DWORD
                                        ; implicit-def: $vgpr44
	s_and_saveexec_b64 s[26:27], vcc
	s_xor_b64 s[30:31], exec, s[26:27]
	s_cbranch_execz .LBB4_1526
; %bb.1517:                             ;   in Loop: Header=BB4_137 Depth=3
	v_mov_b32_e32 v44, 0
	v_cmp_ne_u32_e32 vcc, 0, v0
	s_and_saveexec_b64 s[34:35], vcc
	s_cbranch_execz .LBB4_1525
; %bb.1518:                             ;   in Loop: Header=BB4_137 Depth=3
	v_and_b32_e32 v2, 0x7fffff, v0
	v_bfe_u32 v0, v0, 23, 8
	v_cmp_gt_u32_e64 s[26:27], s71, v0
	v_sub_u32_e32 v8, 0x79, v0
	v_cmp_eq_u32_e32 vcc, 0, v0
	v_cndmask_b32_e64 v8, 0, v8, s[26:27]
	v_mov_b32_e32 v22, 0x78
	v_cndmask_b32_e32 v35, v8, v22, vcc
	v_or_b32_e32 v9, 0x800000, v2
	v_add_u32_e32 v8, 20, v35
	v_cndmask_b32_e32 v2, v9, v2, vcc
	v_lshlrev_b64 v[8:9], v8, -1
	v_add_u32_e32 v22, 19, v35
	v_mov_b32_e32 v23, v25
	v_mov_b32_e32 v32, v24
	v_lshlrev_b64 v[24:25], v22, 1
	v_bfi_b32 v9, v9, 0, 0
	v_bfi_b32 v8, v8, 0, v2
	v_cmp_eq_u64_e64 s[26:27], v[8:9], v[24:25]
	v_lshrrev_b64 v[8:9], v35, v[2:3]
	v_mov_b32_e32 v45, v9
	v_mov_b32_e32 v44, v8
	s_and_saveexec_b64 s[36:37], s[26:27]
; %bb.1519:                             ;   in Loop: Header=BB4_137 Depth=3
	v_bfe_u32 v2, v8, 20, 1
	v_add_co_u32_e64 v2, s[26:27], v8, v2
	v_add_co_u32_e64 v44, s[26:27], -1, v2
; %bb.1520:                             ;   in Loop: Header=BB4_137 Depth=3
	s_or_b64 exec, exec, s[36:37]
	v_add_u32_e32 v0, 0xffffff81, v0
	v_mov_b32_e32 v2, 0xffffff82
	v_cndmask_b32_e32 v0, v0, v2, vcc
	v_lshrrev_b32_e32 v2, 23, v8
	v_add3_u32 v45, v35, v0, v2
	v_add_u32_e32 v35, 6, v45
	v_and_b32_e32 v0, 0xfffff, v44
	v_add_u32_e32 v2, v0, v8
	v_cmp_ne_u32_e32 vcc, 0, v35
                                        ; implicit-def: $vgpr8_vgpr9
                                        ; implicit-def: $vgpr0
	s_and_saveexec_b64 s[26:27], vcc
	s_xor_b64 s[26:27], exec, s[26:27]
; %bb.1521:                             ;   in Loop: Header=BB4_137 Depth=3
	v_cmp_lt_u64_e32 vcc, s[74:75], v[2:3]
	v_add_u32_e32 v0, 7, v45
	v_cndmask_b32_e64 v8, 0, 1, vcc
	v_lshrrev_b64 v[8:9], v8, v[2:3]
	v_cndmask_b32_e32 v0, v35, v0, vcc
; %bb.1522:                             ;   in Loop: Header=BB4_137 Depth=3
	s_or_saveexec_b64 s[26:27], s[26:27]
	v_mov_b32_e32 v24, v32
	v_mov_b32_e32 v25, v23
	s_xor_b64 exec, exec, s[26:27]
; %bb.1523:                             ;   in Loop: Header=BB4_137 Depth=3
	v_mov_b32_e32 v9, v3
	v_bfe_u32 v0, v2, 23, 1
	v_mov_b32_e32 v8, v2
; %bb.1524:                             ;   in Loop: Header=BB4_137 Depth=3
	s_or_b64 exec, exec, s[26:27]
	v_lshrrev_b64 v[8:9], 20, v[8:9]
	v_cmp_gt_i32_e32 vcc, 16, v0
	v_cndmask_b32_e32 v9, 0, v9, vcc
	v_cndmask_b32_e32 v8, 7, v8, vcc
	v_cmp_eq_u32_e32 vcc, 0, v0
	v_min_i32_e32 v0, 15, v0
	v_cmp_eq_u64_e64 s[26:27], 0, v[8:9]
	v_lshlrev_b32_e32 v0, 3, v0
	v_and_b32_e32 v0, 0xf8, v0
	v_and_or_b32 v0, v8, 7, v0
	s_and_b64 s[26:27], vcc, s[26:27]
	v_cndmask_b32_e64 v0, v0, 0, s[26:27]
	v_or_b32_e32 v44, v0, v51
.LBB4_1525:                             ;   in Loop: Header=BB4_137 Depth=3
	s_or_b64 exec, exec, s[34:35]
                                        ; implicit-def: $vgpr51
.LBB4_1526:                             ;   in Loop: Header=BB4_137 Depth=3
	s_andn2_saveexec_b64 s[26:27], s[30:31]
; %bb.1527:                             ;   in Loop: Header=BB4_137 Depth=3
	v_or_b32_e32 v44, 0x7e, v51
; %bb.1528:                             ;   in Loop: Header=BB4_137 Depth=3
	s_or_b64 exec, exec, s[26:27]
                                        ; implicit-def: $vgpr0
.LBB4_1529:                             ;   in Loop: Header=BB4_137 Depth=3
	s_andn2_saveexec_b64 s[26:27], s[94:95]
; %bb.1530:                             ;   in Loop: Header=BB4_137 Depth=3
	v_or_b32_sdwa v44, v0, s68 dst_sel:DWORD dst_unused:UNUSED_PAD src0_sel:BYTE_3 src1_sel:DWORD
; %bb.1531:                             ;   in Loop: Header=BB4_137 Depth=3
	s_or_b64 exec, exec, s[26:27]
	v_cmp_lt_u64_e32 vcc, s[56:57], v[10:11]
	v_mov_b32_e32 v0, 0
	s_and_saveexec_b64 s[26:27], vcc
	s_cbranch_execz .LBB4_1537
; %bb.1532:                             ;   in Loop: Header=BB4_137 Depth=3
	v_lshrrev_b32_e32 v2, 24, v11
	v_cmp_ne_u32_e32 vcc, s70, v2
	v_bfrev_b32_e32 v0, 1
	s_and_saveexec_b64 s[94:95], vcc
	s_cbranch_execz .LBB4_1536
; %bb.1533:                             ;   in Loop: Header=BB4_137 Depth=3
	v_bfe_u32 v8, v11, 24, 7
	v_cmp_ne_u32_e32 vcc, s68, v8
	v_mov_b32_e32 v0, 0x7f800001
	s_and_saveexec_b64 s[30:31], vcc
	s_cbranch_execz .LBB4_1535
; %bb.1534:                             ;   in Loop: Header=BB4_137 Depth=3
	v_and_b32_e32 v0, 7, v2
	v_lshrrev_b32_e32 v10, 3, v8
	v_cmp_gt_u32_e32 vcc, 8, v8
	v_ffbh_u32_e32 v8, v0
	v_min_u32_e32 v11, 32, v8
	v_subrev_u32_e32 v8, 28, v11
	v_lshlrev_b64 v[8:9], v8, v[2:3]
	v_sub_u32_e32 v9, 29, v11
	v_and_b32_e32 v8, 7, v8
	v_cndmask_b32_e32 v9, v10, v9, vcc
	v_cndmask_b32_e32 v0, v0, v8, vcc
	v_lshlrev_b32_e32 v2, 24, v2
	v_lshlrev_b32_e32 v0, 20, v0
	v_and_b32_e32 v2, 0x80000000, v2
	v_lshl_add_u32 v8, v9, 23, v5
	v_or3_b32 v0, v2, v8, v0
.LBB4_1535:                             ;   in Loop: Header=BB4_137 Depth=3
	s_or_b64 exec, exec, s[30:31]
.LBB4_1536:                             ;   in Loop: Header=BB4_137 Depth=3
	s_or_b64 exec, exec, s[94:95]
.LBB4_1537:                             ;   in Loop: Header=BB4_137 Depth=3
	s_or_b64 exec, exec, s[26:27]
	v_mul_f32_e32 v0, v60, v0
	v_and_b32_e32 v2, 0x7f800000, v0
	v_cmp_ne_u64_e32 vcc, s[62:63], v[2:3]
                                        ; implicit-def: $vgpr2
	s_and_saveexec_b64 s[26:27], vcc
	s_xor_b64 s[94:95], exec, s[26:27]
	s_cbranch_execz .LBB4_1551
; %bb.1538:                             ;   in Loop: Header=BB4_137 Depth=3
	v_and_b32_e32 v2, 0x7fffffff, v0
	v_cmp_gt_u64_e32 vcc, s[72:73], v[2:3]
	v_and_b32_sdwa v11, v0, s70 dst_sel:DWORD dst_unused:UNUSED_PAD src0_sel:BYTE_3 src1_sel:DWORD
                                        ; implicit-def: $vgpr2
	s_and_saveexec_b64 s[26:27], vcc
	s_xor_b64 s[30:31], exec, s[26:27]
	s_cbranch_execz .LBB4_1548
; %bb.1539:                             ;   in Loop: Header=BB4_137 Depth=3
	v_mov_b32_e32 v2, 0
	v_cmp_ne_u32_e32 vcc, 0, v0
	s_and_saveexec_b64 s[34:35], vcc
	s_cbranch_execz .LBB4_1547
; %bb.1540:                             ;   in Loop: Header=BB4_137 Depth=3
	v_and_b32_e32 v2, 0x7fffff, v0
	v_bfe_u32 v0, v0, 23, 8
	v_cmp_gt_u32_e64 s[26:27], s71, v0
	v_sub_u32_e32 v8, 0x79, v0
	v_cmp_eq_u32_e32 vcc, 0, v0
	v_cndmask_b32_e64 v8, 0, v8, s[26:27]
	v_mov_b32_e32 v10, 0x78
	v_cndmask_b32_e32 v35, v8, v10, vcc
	v_or_b32_e32 v9, 0x800000, v2
	v_add_u32_e32 v8, 20, v35
	v_cndmask_b32_e32 v2, v9, v2, vcc
	v_lshlrev_b64 v[8:9], v8, -1
	v_add_u32_e32 v10, 19, v35
	v_mov_b32_e32 v23, v25
	v_mov_b32_e32 v22, v24
	v_lshlrev_b64 v[24:25], v10, 1
	v_bfi_b32 v9, v9, 0, 0
	v_bfi_b32 v8, v8, 0, v2
	v_cmp_eq_u64_e64 s[26:27], v[8:9], v[24:25]
	v_lshrrev_b64 v[8:9], v35, v[2:3]
	v_mov_b32_e32 v10, v9
	v_mov_b32_e32 v9, v8
	s_and_saveexec_b64 s[36:37], s[26:27]
; %bb.1541:                             ;   in Loop: Header=BB4_137 Depth=3
	v_bfe_u32 v2, v8, 20, 1
	v_add_co_u32_e64 v2, s[26:27], v8, v2
	v_add_co_u32_e64 v9, s[26:27], -1, v2
; %bb.1542:                             ;   in Loop: Header=BB4_137 Depth=3
	s_or_b64 exec, exec, s[36:37]
	v_add_u32_e32 v0, 0xffffff81, v0
	v_mov_b32_e32 v2, 0xffffff82
	v_cndmask_b32_e32 v0, v0, v2, vcc
	v_lshrrev_b32_e32 v2, 23, v8
	v_add3_u32 v35, v35, v0, v2
	v_add_u32_e32 v10, 6, v35
	v_and_b32_e32 v0, 0xfffff, v9
	v_add_u32_e32 v2, v0, v8
	v_cmp_ne_u32_e32 vcc, 0, v10
                                        ; implicit-def: $vgpr8_vgpr9
                                        ; implicit-def: $vgpr0
	s_and_saveexec_b64 s[26:27], vcc
	s_xor_b64 s[26:27], exec, s[26:27]
; %bb.1543:                             ;   in Loop: Header=BB4_137 Depth=3
	v_cmp_lt_u64_e32 vcc, s[74:75], v[2:3]
	v_add_u32_e32 v0, 7, v35
	v_cndmask_b32_e64 v8, 0, 1, vcc
	v_lshrrev_b64 v[8:9], v8, v[2:3]
	v_cndmask_b32_e32 v0, v10, v0, vcc
; %bb.1544:                             ;   in Loop: Header=BB4_137 Depth=3
	s_or_saveexec_b64 s[26:27], s[26:27]
	v_mov_b32_e32 v24, v22
	v_mov_b32_e32 v25, v23
	s_xor_b64 exec, exec, s[26:27]
; %bb.1545:                             ;   in Loop: Header=BB4_137 Depth=3
	v_mov_b32_e32 v9, v3
	v_bfe_u32 v0, v2, 23, 1
	v_mov_b32_e32 v8, v2
; %bb.1546:                             ;   in Loop: Header=BB4_137 Depth=3
	s_or_b64 exec, exec, s[26:27]
	v_lshrrev_b64 v[8:9], 20, v[8:9]
	v_cmp_gt_i32_e32 vcc, 16, v0
	v_cndmask_b32_e32 v9, 0, v9, vcc
	v_cndmask_b32_e32 v8, 7, v8, vcc
	v_cmp_eq_u32_e32 vcc, 0, v0
	v_min_i32_e32 v0, 15, v0
	v_cmp_eq_u64_e64 s[26:27], 0, v[8:9]
	v_lshlrev_b32_e32 v0, 3, v0
	v_and_b32_e32 v0, 0xf8, v0
	v_and_or_b32 v0, v8, 7, v0
	s_and_b64 s[26:27], vcc, s[26:27]
	v_cndmask_b32_e64 v0, v0, 0, s[26:27]
	v_or_b32_e32 v2, v0, v11
.LBB4_1547:                             ;   in Loop: Header=BB4_137 Depth=3
	s_or_b64 exec, exec, s[34:35]
                                        ; implicit-def: $vgpr11
.LBB4_1548:                             ;   in Loop: Header=BB4_137 Depth=3
	s_andn2_saveexec_b64 s[26:27], s[30:31]
; %bb.1549:                             ;   in Loop: Header=BB4_137 Depth=3
	v_or_b32_e32 v2, 0x7e, v11
; %bb.1550:                             ;   in Loop: Header=BB4_137 Depth=3
	s_or_b64 exec, exec, s[26:27]
                                        ; implicit-def: $vgpr0
.LBB4_1551:                             ;   in Loop: Header=BB4_137 Depth=3
	s_andn2_saveexec_b64 s[26:27], s[94:95]
	s_cbranch_execz .LBB4_136
; %bb.1552:                             ;   in Loop: Header=BB4_137 Depth=3
	v_or_b32_sdwa v2, v0, s68 dst_sel:DWORD dst_unused:UNUSED_PAD src0_sel:BYTE_3 src1_sel:DWORD
	s_branch .LBB4_136
.LBB4_1553:                             ;   in Loop: Header=BB4_57 Depth=2
	s_or_b64 exec, exec, s[92:93]
	buffer_load_dword v50, off, s[0:3], s33 offset:380 ; 4-byte Folded Reload
	buffer_load_dword v43, off, s[0:3], s33 offset:388 ; 4-byte Folded Reload
	;; [unrolled: 1-line block ×4, first 2 shown]
.LBB4_1554:                             ;   in Loop: Header=BB4_57 Depth=2
	s_or_b64 exec, exec, s[28:29]
	buffer_load_dword v0, off, s[0:3], s33 offset:364 ; 4-byte Folded Reload
	s_waitcnt vmcnt(1)
	v_lshlrev_b32_e32 v6, 12, v1
	s_mov_b64 s[26:27], 0
                                        ; implicit-def: $vgpr1
                                        ; implicit-def: $vgpr4
	s_waitcnt vmcnt(0)
	v_cmp_ne_u32_e32 vcc, v0, v6
	v_mov_b32_e32 v0, 0
	s_and_saveexec_b64 s[92:93], vcc
	s_cbranch_execz .LBB4_1920
; %bb.1555:                             ;   in Loop: Header=BB4_57 Depth=2
	buffer_load_dword v0, off, s[0:3], s33 offset:364 ; 4-byte Folded Reload
	buffer_load_dword v2, off, s[0:3], s33 offset:336 ; 4-byte Folded Reload
	s_waitcnt vmcnt(1)
	v_sub_u32_e32 v1, v0, v6
	v_lshlrev_b32_e32 v0, 6, v38
	s_waitcnt vmcnt(0)
	v_sub_u32_e32 v0, v2, v0
	v_ashrrev_i32_e32 v2, 31, v0
	v_lshrrev_b32_e32 v2, 26, v2
	v_add_u32_e32 v2, v0, v2
	v_ashrrev_i32_e32 v7, 6, v2
	v_and_b32_e32 v2, 0xffffffc0, v2
	v_sub_u32_e32 v4, v0, v2
	v_lshlrev_b32_e32 v0, 4, v4
	v_lshl_add_u32 v2, v7, 10, v0
	v_ashrrev_i32_e32 v0, 31, v1
	v_lshrrev_b32_e32 v0, 22, v0
	v_add_u32_e32 v0, v1, v0
	v_ashrrev_i32_e32 v8, 10, v0
	v_and_b32_e32 v0, 0xfffffc00, v0
	v_sub_u32_e32 v12, v1, v2
	v_sub_u32_e32 v1, v1, v0
	v_cmp_lt_i32_e64 s[26:27], 15, v1
	v_addc_co_u32_e64 v8, vcc, 0, v8, s[26:27]
	v_sub_u32_e32 v7, v8, v7
	v_cmp_lt_i32_e32 vcc, 15, v12
	s_and_saveexec_b64 s[94:95], vcc
	s_cbranch_execz .LBB4_1919
; %bb.1556:                             ;   in Loop: Header=BB4_57 Depth=2
	s_trap 2
	ds_read_b64 v[8:9], v0
	v_add_u32_e32 v14, v2, v6
	v_ashrrev_i32_e32 v15, 31, v14
	s_mov_b64 s[30:31], 0
	s_waitcnt lgkmcnt(0)
	v_readfirstlane_b32 s28, v8
	s_and_b32 s29, s28, 7
	s_flbit_i32_b32 s29, s29
	s_min_u32 s29, s29, 32
	s_and_b32 s45, s28, 0x7f
	s_bfe_u32 s47, s28, 0x40003
	s_sub_i32 vcc_lo, s29, 28
	s_sub_i32 s29, 29, s29
	s_cmp_lt_u32 s45, 8
	s_cselect_b32 vcc_lo, vcc_lo, 0
	s_cselect_b32 s29, s29, s47
	v_lshlrev_b64 v[8:9], vcc_lo, v[8:9]
	s_lshl_b32 s47, s28, 24
	s_lshl_b32 s29, s29, 23
	s_and_b32 s47, s47, 0x80000000
	s_add_i32 s29, s29, 0x3c000000
	v_lshlrev_b32_e32 v2, 20, v8
	s_or_b32 s29, s47, s29
	v_and_b32_e32 v2, 0x700000, v2
	s_cmpk_lg_i32 s45, 0x7f
	v_or_b32_e32 v2, s29, v2
	s_cselect_b64 vcc, -1, 0
	v_mov_b32_e32 v8, 0x7f800001
	v_cndmask_b32_e32 v16, v8, v2, vcc
	s_and_b32 s45, s28, 0xff
	s_branch .LBB4_1558
.LBB4_1557:                             ;   in Loop: Header=BB4_1558 Depth=3
	s_or_b64 exec, exec, s[28:29]
	v_lshl_or_b32 v8, v13, 8, v25
	v_lshlrev_b32_e32 v9, 16, v26
	v_lshlrev_b32_e32 v10, 24, v27
	v_or3_b32 v9, v8, v9, v10
	v_lshl_or_b32 v8, v20, 8, v18
	v_lshlrev_b32_e32 v10, 16, v21
	v_lshlrev_b32_e32 v11, 24, v24
	v_or3_b32 v8, v8, v10, v11
	v_lshl_or_b32 v10, v29, 8, v28
	v_lshlrev_b32_e32 v11, 16, v31
	v_lshlrev_b32_e32 v13, 24, v34
	v_add_co_u32_e32 v38, vcc, v54, v14
	v_or3_b32 v10, v10, v11, v13
	v_lshlrev_b32_e32 v2, 24, v2
	v_lshlrev_b32_e32 v11, 16, v37
	v_lshl_or_b32 v13, v36, 8, v35
	v_addc_co_u32_e32 v39, vcc, v55, v15, vcc
	v_or3_b32 v11, v13, v11, v2
	global_store_dwordx4 v[38:39], v[8:11], off glc slc
	buffer_load_dword v8, off, s[0:3], s33 offset:92 ; 4-byte Folded Reload
	s_nop 0
	buffer_load_dword v2, off, s[0:3], s33 offset:88 ; 4-byte Folded Reload
	s_waitcnt vmcnt(1)
	v_sub_u32_e32 v12, v12, v8
	v_cmp_gt_i32_e32 vcc, 16, v12
	s_or_b64 s[30:31], vcc, s[30:31]
	v_add_co_u32_e32 v14, vcc, v14, v8
	s_waitcnt vmcnt(0)
	v_sub_u32_e32 v7, v7, v2
	v_addc_co_u32_e32 v15, vcc, 0, v15, vcc
	s_andn2_b64 exec, exec, s[30:31]
	s_cbranch_execz .LBB4_1918
.LBB4_1558:                             ;   Parent Loop BB4_47 Depth=1
                                        ;     Parent Loop BB4_57 Depth=2
                                        ; =>    This Inner Loop Header: Depth=3
	s_cmpk_lt_i32 s45, 0x80
	s_cbranch_scc1 .LBB4_1562
; %bb.1559:                             ;   in Loop: Header=BB4_1558 Depth=3
	s_and_b32 s47, 0xffff, s45
	s_mov_b64 s[28:29], -1
	s_cmpk_eq_i32 s47, 0x80
	s_cbranch_scc0 .LBB4_1561
; %bb.1560:                             ;   in Loop: Header=BB4_1558 Depth=3
	s_mov_b64 s[28:29], 0
.LBB4_1561:                             ;   in Loop: Header=BB4_1558 Depth=3
	s_brev_b32 s47, 1
	s_branch .LBB4_1564
.LBB4_1562:                             ;   in Loop: Header=BB4_1558 Depth=3
	s_mov_b64 s[28:29], 0
	s_brev_b32 s47, 1
	s_cbranch_execz .LBB4_1564
; %bb.1563:                             ;   in Loop: Header=BB4_1558 Depth=3
	s_and_b32 s28, 0xffff, s45
	s_cmp_lg_u32 s28, 0
	s_mov_b32 s47, 0
	s_cselect_b64 s[28:29], -1, 0
.LBB4_1564:                             ;   in Loop: Header=BB4_1558 Depth=3
	s_andn2_b64 vcc, exec, s[28:29]
	v_mov_b32_e32 v17, s47
	s_cbranch_vccnz .LBB4_1566
; %bb.1565:                             ;   in Loop: Header=BB4_1558 Depth=3
	v_mov_b32_e32 v17, v16
.LBB4_1566:                             ;   in Loop: Header=BB4_1558 Depth=3
	v_add_co_u32_e32 v8, vcc, v52, v14
	v_addc_co_u32_e32 v9, vcc, v53, v15, vcc
	global_load_dwordx4 v[8:11], v[8:9], off glc slc
	v_mov_b32_e32 v2, 0
	s_waitcnt vmcnt(0)
	v_cmp_ne_u16_sdwa vcc, v8, v3 src0_sel:BYTE_0 src1_sel:DWORD
	s_and_saveexec_b64 s[28:29], vcc
	s_cbranch_execz .LBB4_1572
; %bb.1567:                             ;   in Loop: Header=BB4_1558 Depth=3
	v_cmp_ne_u16_sdwa vcc, v8, s70 src0_sel:BYTE_0 src1_sel:DWORD
	v_bfrev_b32_e32 v2, 1
	s_and_saveexec_b64 s[34:35], vcc
	s_cbranch_execz .LBB4_1571
; %bb.1568:                             ;   in Loop: Header=BB4_1558 Depth=3
	v_and_b32_e32 v13, 0x7f, v8
	v_cmp_ne_u32_e32 vcc, s68, v13
	v_mov_b32_e32 v2, 0x7f800001
	s_and_saveexec_b64 s[36:37], vcc
	s_cbranch_execz .LBB4_1570
; %bb.1569:                             ;   in Loop: Header=BB4_1558 Depth=3
	v_and_b32_e32 v2, 7, v8
	v_ffbh_u32_e32 v2, v2
	v_min_u32_e32 v2, 32, v2
	v_lshrrev_b32_e32 v18, 3, v13
	v_cmp_gt_u32_e32 vcc, 8, v13
	v_subrev_u32_e32 v13, 28, v2
	v_cndmask_b32_e32 v13, 0, v13, vcc
	v_lshlrev_b64 v[20:21], v13, v[8:9]
	v_sub_u32_e32 v2, 29, v2
	v_cndmask_b32_e32 v2, v18, v2, vcc
	v_lshlrev_b32_e32 v13, 20, v20
	v_lshlrev_b32_e32 v18, 24, v8
	v_and_b32_e32 v13, 0x700000, v13
	v_and_b32_e32 v18, 0x80000000, v18
	v_lshl_add_u32 v2, v2, 23, v5
	v_or3_b32 v2, v18, v2, v13
.LBB4_1570:                             ;   in Loop: Header=BB4_1558 Depth=3
	s_or_b64 exec, exec, s[36:37]
.LBB4_1571:                             ;   in Loop: Header=BB4_1558 Depth=3
	s_or_b64 exec, exec, s[34:35]
.LBB4_1572:                             ;   in Loop: Header=BB4_1558 Depth=3
	s_or_b64 exec, exec, s[28:29]
	v_mul_f32_e32 v20, v17, v2
	v_and_b32_e32 v2, 0x7f800000, v20
	v_cmp_ne_u64_e32 vcc, s[62:63], v[2:3]
                                        ; implicit-def: $vgpr18
	s_and_saveexec_b64 s[28:29], vcc
	s_xor_b64 s[34:35], exec, s[28:29]
	s_cbranch_execz .LBB4_1586
; %bb.1573:                             ;   in Loop: Header=BB4_1558 Depth=3
	v_and_b32_e32 v2, 0x7fffffff, v20
	v_cmp_gt_u64_e32 vcc, s[72:73], v[2:3]
	v_and_b32_sdwa v13, v20, s70 dst_sel:DWORD dst_unused:UNUSED_PAD src0_sel:BYTE_3 src1_sel:DWORD
                                        ; implicit-def: $vgpr18
	s_and_saveexec_b64 s[28:29], vcc
	s_xor_b64 s[36:37], exec, s[28:29]
	s_cbranch_execz .LBB4_1583
; %bb.1574:                             ;   in Loop: Header=BB4_1558 Depth=3
	v_mov_b32_e32 v18, 0
	v_cmp_ne_u32_e32 vcc, 0, v20
	s_and_saveexec_b64 s[38:39], vcc
	s_cbranch_execz .LBB4_1582
; %bb.1575:                             ;   in Loop: Header=BB4_1558 Depth=3
	v_bfe_u32 v18, v20, 23, 8
	v_and_b32_e32 v2, 0x7fffff, v20
	v_cmp_gt_u32_e64 s[28:29], s71, v18
	v_sub_u32_e32 v20, 0x79, v18
	v_cmp_eq_u32_e32 vcc, 0, v18
	v_cndmask_b32_e64 v20, 0, v20, s[28:29]
	v_mov_b32_e32 v22, 0x78
	v_or_b32_e32 v21, 0x800000, v2
	v_cndmask_b32_e32 v20, v20, v22, vcc
	v_cndmask_b32_e32 v2, v21, v2, vcc
	v_add_u32_e32 v21, 20, v20
	v_lshlrev_b64 v[24:25], v21, -1
	v_add_u32_e32 v21, 19, v20
	v_lshlrev_b64 v[26:27], v21, 1
	v_lshrrev_b64 v[40:41], v20, v[2:3]
	v_bfi_b32 v25, v25, 0, 0
	v_bfi_b32 v24, v24, 0, v2
	v_cmp_eq_u64_e64 s[28:29], v[24:25], v[26:27]
	v_mov_b32_e32 v42, v41
	v_mov_b32_e32 v41, v40
	s_and_saveexec_b64 s[48:49], s[28:29]
; %bb.1576:                             ;   in Loop: Header=BB4_1558 Depth=3
	v_bfe_u32 v2, v40, 20, 1
	v_add_co_u32_e64 v2, s[28:29], v40, v2
	v_add_co_u32_e64 v41, s[28:29], -1, v2
; %bb.1577:                             ;   in Loop: Header=BB4_1558 Depth=3
	s_or_b64 exec, exec, s[48:49]
	v_add_u32_e32 v2, 0xffffff81, v18
	v_mov_b32_e32 v18, 0xffffff82
	v_cndmask_b32_e32 v2, v2, v18, vcc
	v_lshrrev_b32_e32 v18, 23, v40
	v_add3_u32 v21, v20, v2, v18
	v_add_u32_e32 v20, 6, v21
	v_and_b32_e32 v2, 0xfffff, v41
	v_add_u32_e32 v2, v2, v40
	v_cmp_ne_u32_e32 vcc, 0, v20
                                        ; implicit-def: $vgpr40_vgpr41
                                        ; implicit-def: $vgpr18
	s_and_saveexec_b64 s[28:29], vcc
	s_xor_b64 s[28:29], exec, s[28:29]
; %bb.1578:                             ;   in Loop: Header=BB4_1558 Depth=3
	v_cmp_lt_u64_e32 vcc, s[74:75], v[2:3]
	v_add_u32_e32 v18, 7, v21
	v_cndmask_b32_e32 v18, v20, v18, vcc
	v_cndmask_b32_e64 v20, 0, 1, vcc
	v_lshrrev_b64 v[40:41], v20, v[2:3]
; %bb.1579:                             ;   in Loop: Header=BB4_1558 Depth=3
	s_andn2_saveexec_b64 s[28:29], s[28:29]
; %bb.1580:                             ;   in Loop: Header=BB4_1558 Depth=3
	v_mov_b32_e32 v41, v3
	v_bfe_u32 v18, v2, 23, 1
	v_mov_b32_e32 v40, v2
; %bb.1581:                             ;   in Loop: Header=BB4_1558 Depth=3
	s_or_b64 exec, exec, s[28:29]
	v_lshrrev_b64 v[20:21], 20, v[40:41]
	v_cmp_gt_i32_e32 vcc, 16, v18
	v_cndmask_b32_e32 v21, 0, v21, vcc
	v_cndmask_b32_e32 v20, 7, v20, vcc
	v_min_i32_e32 v2, 15, v18
	v_cmp_eq_u64_e64 s[28:29], 0, v[20:21]
	v_lshlrev_b32_e32 v2, 3, v2
	v_cmp_eq_u32_e32 vcc, 0, v18
	v_and_b32_e32 v2, 0xf8, v2
	v_and_or_b32 v2, v20, 7, v2
	s_and_b64 s[28:29], vcc, s[28:29]
	v_cndmask_b32_e64 v2, v2, 0, s[28:29]
	v_or_b32_e32 v18, v2, v13
.LBB4_1582:                             ;   in Loop: Header=BB4_1558 Depth=3
	s_or_b64 exec, exec, s[38:39]
                                        ; implicit-def: $vgpr13
.LBB4_1583:                             ;   in Loop: Header=BB4_1558 Depth=3
	s_andn2_saveexec_b64 s[28:29], s[36:37]
; %bb.1584:                             ;   in Loop: Header=BB4_1558 Depth=3
	v_or_b32_e32 v18, 0x7e, v13
; %bb.1585:                             ;   in Loop: Header=BB4_1558 Depth=3
	s_or_b64 exec, exec, s[28:29]
                                        ; implicit-def: $vgpr20
.LBB4_1586:                             ;   in Loop: Header=BB4_1558 Depth=3
	s_andn2_saveexec_b64 s[28:29], s[34:35]
; %bb.1587:                             ;   in Loop: Header=BB4_1558 Depth=3
	v_or_b32_sdwa v18, v20, s68 dst_sel:DWORD dst_unused:UNUSED_PAD src0_sel:BYTE_3 src1_sel:DWORD
; %bb.1588:                             ;   in Loop: Header=BB4_1558 Depth=3
	s_or_b64 exec, exec, s[28:29]
	v_lshrrev_b16_e32 v2, 8, v8
	v_cmp_ne_u16_e32 vcc, 0, v2
	v_mov_b32_e32 v13, 0
	s_and_saveexec_b64 s[28:29], vcc
	s_cbranch_execz .LBB4_1594
; %bb.1589:                             ;   in Loop: Header=BB4_1558 Depth=3
	v_cmp_ne_u16_e32 vcc, s70, v2
	v_bfrev_b32_e32 v13, 1
	s_and_saveexec_b64 s[34:35], vcc
	s_cbranch_execz .LBB4_1593
; %bb.1590:                             ;   in Loop: Header=BB4_1558 Depth=3
	v_and_b32_e32 v20, 0x7f, v2
	v_cmp_ne_u32_e32 vcc, s68, v20
	v_mov_b32_e32 v13, 0x7f800001
	s_and_saveexec_b64 s[36:37], vcc
	s_cbranch_execz .LBB4_1592
; %bb.1591:                             ;   in Loop: Header=BB4_1558 Depth=3
	v_and_b32_e32 v13, 7, v2
	v_lshrrev_b32_e32 v22, 3, v20
	v_cmp_gt_u32_e32 vcc, 8, v20
	v_ffbh_u32_e32 v20, v13
	v_min_u32_e32 v23, 32, v20
	v_subrev_u32_e32 v20, 28, v23
	v_lshlrev_b64 v[20:21], v20, v[2:3]
	v_sub_u32_e32 v2, 29, v23
	v_and_b32_e32 v20, 7, v20
	v_cndmask_b32_e32 v2, v22, v2, vcc
	v_cndmask_b32_e32 v13, v13, v20, vcc
	v_lshlrev_b32_e32 v20, 16, v8
	v_lshlrev_b32_e32 v13, 20, v13
	v_and_b32_e32 v20, 0x80000000, v20
	v_lshl_add_u32 v2, v2, 23, v5
	v_or3_b32 v13, v20, v2, v13
.LBB4_1592:                             ;   in Loop: Header=BB4_1558 Depth=3
	s_or_b64 exec, exec, s[36:37]
.LBB4_1593:                             ;   in Loop: Header=BB4_1558 Depth=3
	s_or_b64 exec, exec, s[34:35]
.LBB4_1594:                             ;   in Loop: Header=BB4_1558 Depth=3
	s_or_b64 exec, exec, s[28:29]
	v_mul_f32_e32 v21, v17, v13
	v_and_b32_e32 v2, 0x7f800000, v21
	v_cmp_ne_u64_e32 vcc, s[62:63], v[2:3]
                                        ; implicit-def: $vgpr20
	s_and_saveexec_b64 s[28:29], vcc
	s_xor_b64 s[34:35], exec, s[28:29]
	s_cbranch_execz .LBB4_1608
; %bb.1595:                             ;   in Loop: Header=BB4_1558 Depth=3
	v_and_b32_e32 v2, 0x7fffffff, v21
	v_cmp_gt_u64_e32 vcc, s[72:73], v[2:3]
	v_and_b32_sdwa v13, v21, s70 dst_sel:DWORD dst_unused:UNUSED_PAD src0_sel:BYTE_3 src1_sel:DWORD
                                        ; implicit-def: $vgpr20
	s_and_saveexec_b64 s[28:29], vcc
	s_xor_b64 s[36:37], exec, s[28:29]
	s_cbranch_execz .LBB4_1605
; %bb.1596:                             ;   in Loop: Header=BB4_1558 Depth=3
	v_mov_b32_e32 v20, 0
	v_cmp_ne_u32_e32 vcc, 0, v21
	s_and_saveexec_b64 s[38:39], vcc
	s_cbranch_execz .LBB4_1604
; %bb.1597:                             ;   in Loop: Header=BB4_1558 Depth=3
	v_bfe_u32 v20, v21, 23, 8
	v_and_b32_e32 v2, 0x7fffff, v21
	v_cmp_gt_u32_e64 s[28:29], s71, v20
	v_sub_u32_e32 v21, 0x79, v20
	v_cmp_eq_u32_e32 vcc, 0, v20
	v_cndmask_b32_e64 v21, 0, v21, s[28:29]
	v_mov_b32_e32 v23, 0x78
	v_or_b32_e32 v22, 0x800000, v2
	v_cndmask_b32_e32 v21, v21, v23, vcc
	v_cndmask_b32_e32 v2, v22, v2, vcc
	v_add_u32_e32 v22, 20, v21
	v_lshlrev_b64 v[24:25], v22, -1
	v_add_u32_e32 v22, 19, v21
	v_lshlrev_b64 v[26:27], v22, 1
	v_lshrrev_b64 v[40:41], v21, v[2:3]
	v_bfi_b32 v25, v25, 0, 0
	v_bfi_b32 v24, v24, 0, v2
	v_cmp_eq_u64_e64 s[28:29], v[24:25], v[26:27]
	v_mov_b32_e32 v42, v41
	v_mov_b32_e32 v41, v40
	s_and_saveexec_b64 s[48:49], s[28:29]
; %bb.1598:                             ;   in Loop: Header=BB4_1558 Depth=3
	v_bfe_u32 v2, v40, 20, 1
	v_add_co_u32_e64 v2, s[28:29], v40, v2
	v_add_co_u32_e64 v41, s[28:29], -1, v2
; %bb.1599:                             ;   in Loop: Header=BB4_1558 Depth=3
	s_or_b64 exec, exec, s[48:49]
	v_add_u32_e32 v2, 0xffffff81, v20
	v_mov_b32_e32 v20, 0xffffff82
	v_cndmask_b32_e32 v2, v2, v20, vcc
	v_lshrrev_b32_e32 v20, 23, v40
	v_add3_u32 v24, v21, v2, v20
	v_add_u32_e32 v21, 6, v24
	v_and_b32_e32 v2, 0xfffff, v41
	v_add_u32_e32 v2, v2, v40
	v_cmp_ne_u32_e32 vcc, 0, v21
                                        ; implicit-def: $vgpr40_vgpr41
                                        ; implicit-def: $vgpr20
	s_and_saveexec_b64 s[28:29], vcc
	s_xor_b64 s[28:29], exec, s[28:29]
; %bb.1600:                             ;   in Loop: Header=BB4_1558 Depth=3
	v_cmp_lt_u64_e32 vcc, s[74:75], v[2:3]
	v_add_u32_e32 v20, 7, v24
	v_cndmask_b32_e32 v20, v21, v20, vcc
	v_cndmask_b32_e64 v21, 0, 1, vcc
	v_lshrrev_b64 v[40:41], v21, v[2:3]
; %bb.1601:                             ;   in Loop: Header=BB4_1558 Depth=3
	s_andn2_saveexec_b64 s[28:29], s[28:29]
; %bb.1602:                             ;   in Loop: Header=BB4_1558 Depth=3
	v_mov_b32_e32 v41, v3
	v_bfe_u32 v20, v2, 23, 1
	v_mov_b32_e32 v40, v2
; %bb.1603:                             ;   in Loop: Header=BB4_1558 Depth=3
	s_or_b64 exec, exec, s[28:29]
	v_lshrrev_b64 v[24:25], 20, v[40:41]
	v_cmp_gt_i32_e32 vcc, 16, v20
	v_cndmask_b32_e32 v25, 0, v25, vcc
	v_cndmask_b32_e32 v24, 7, v24, vcc
	v_min_i32_e32 v2, 15, v20
	v_cmp_eq_u64_e64 s[28:29], 0, v[24:25]
	v_lshlrev_b32_e32 v2, 3, v2
	v_cmp_eq_u32_e32 vcc, 0, v20
	v_and_b32_e32 v2, 0xf8, v2
	v_and_or_b32 v2, v24, 7, v2
	s_and_b64 s[28:29], vcc, s[28:29]
	v_cndmask_b32_e64 v2, v2, 0, s[28:29]
	v_or_b32_e32 v20, v2, v13
.LBB4_1604:                             ;   in Loop: Header=BB4_1558 Depth=3
	s_or_b64 exec, exec, s[38:39]
                                        ; implicit-def: $vgpr13
.LBB4_1605:                             ;   in Loop: Header=BB4_1558 Depth=3
	s_andn2_saveexec_b64 s[28:29], s[36:37]
; %bb.1606:                             ;   in Loop: Header=BB4_1558 Depth=3
	v_or_b32_e32 v20, 0x7e, v13
; %bb.1607:                             ;   in Loop: Header=BB4_1558 Depth=3
	s_or_b64 exec, exec, s[28:29]
                                        ; implicit-def: $vgpr21
.LBB4_1608:                             ;   in Loop: Header=BB4_1558 Depth=3
	s_andn2_saveexec_b64 s[28:29], s[34:35]
; %bb.1609:                             ;   in Loop: Header=BB4_1558 Depth=3
	v_or_b32_sdwa v20, v21, s68 dst_sel:DWORD dst_unused:UNUSED_PAD src0_sel:BYTE_3 src1_sel:DWORD
; %bb.1610:                             ;   in Loop: Header=BB4_1558 Depth=3
	s_or_b64 exec, exec, s[28:29]
	v_lshrrev_b32_e32 v2, 16, v8
	v_cmp_ne_u16_sdwa vcc, v2, v3 src0_sel:BYTE_0 src1_sel:DWORD
	v_mov_b32_e32 v13, 0
	s_and_saveexec_b64 s[28:29], vcc
	s_cbranch_execz .LBB4_1616
; %bb.1611:                             ;   in Loop: Header=BB4_1558 Depth=3
	v_cmp_ne_u16_sdwa vcc, v2, s70 src0_sel:BYTE_0 src1_sel:DWORD
	v_bfrev_b32_e32 v13, 1
	s_and_saveexec_b64 s[34:35], vcc
	s_cbranch_execz .LBB4_1615
; %bb.1612:                             ;   in Loop: Header=BB4_1558 Depth=3
	v_bfe_u32 v21, v8, 16, 7
	v_cmp_ne_u32_e32 vcc, s68, v21
	v_mov_b32_e32 v13, 0x7f800001
	s_and_saveexec_b64 s[36:37], vcc
	s_cbranch_execz .LBB4_1614
; %bb.1613:                             ;   in Loop: Header=BB4_1558 Depth=3
	v_and_b32_e32 v13, 7, v2
	v_lshrrev_b32_e32 v22, 3, v21
	v_cmp_gt_u32_e32 vcc, 8, v21
	v_ffbh_u32_e32 v21, v13
	v_min_u32_e32 v21, 32, v21
	v_subrev_u32_e32 v23, 28, v21
	v_lshlrev_b64 v[24:25], v23, v[2:3]
	v_sub_u32_e32 v21, 29, v21
	v_and_b32_e32 v23, 7, v24
	v_cndmask_b32_e32 v21, v22, v21, vcc
	v_cndmask_b32_e32 v13, v13, v23, vcc
	v_lshlrev_b32_e32 v2, 24, v2
	v_lshlrev_b32_e32 v13, 20, v13
	v_and_b32_e32 v2, 0x80000000, v2
	v_lshl_add_u32 v21, v21, 23, v5
	v_or3_b32 v13, v2, v21, v13
.LBB4_1614:                             ;   in Loop: Header=BB4_1558 Depth=3
	s_or_b64 exec, exec, s[36:37]
.LBB4_1615:                             ;   in Loop: Header=BB4_1558 Depth=3
	s_or_b64 exec, exec, s[34:35]
.LBB4_1616:                             ;   in Loop: Header=BB4_1558 Depth=3
	s_or_b64 exec, exec, s[28:29]
	v_mul_f32_e32 v24, v17, v13
	v_and_b32_e32 v2, 0x7f800000, v24
	v_cmp_ne_u64_e32 vcc, s[62:63], v[2:3]
                                        ; implicit-def: $vgpr21
	s_and_saveexec_b64 s[28:29], vcc
	s_xor_b64 s[34:35], exec, s[28:29]
	s_cbranch_execz .LBB4_1630
; %bb.1617:                             ;   in Loop: Header=BB4_1558 Depth=3
	v_and_b32_e32 v2, 0x7fffffff, v24
	v_cmp_gt_u64_e32 vcc, s[72:73], v[2:3]
	v_and_b32_sdwa v13, v24, s70 dst_sel:DWORD dst_unused:UNUSED_PAD src0_sel:BYTE_3 src1_sel:DWORD
                                        ; implicit-def: $vgpr21
	s_and_saveexec_b64 s[28:29], vcc
	s_xor_b64 s[36:37], exec, s[28:29]
	s_cbranch_execz .LBB4_1627
; %bb.1618:                             ;   in Loop: Header=BB4_1558 Depth=3
	v_mov_b32_e32 v21, 0
	v_cmp_ne_u32_e32 vcc, 0, v24
	s_and_saveexec_b64 s[38:39], vcc
	s_cbranch_execz .LBB4_1626
; %bb.1619:                             ;   in Loop: Header=BB4_1558 Depth=3
	v_bfe_u32 v21, v24, 23, 8
	v_cmp_gt_u32_e64 s[28:29], s71, v21
	v_sub_u32_e32 v22, 0x79, v21
	v_and_b32_e32 v2, 0x7fffff, v24
	v_cmp_eq_u32_e32 vcc, 0, v21
	v_cndmask_b32_e64 v22, 0, v22, s[28:29]
	v_mov_b32_e32 v24, 0x78
	v_cndmask_b32_e32 v24, v22, v24, vcc
	v_or_b32_e32 v23, 0x800000, v2
	v_add_u32_e32 v22, 20, v24
	v_cndmask_b32_e32 v2, v23, v2, vcc
	v_lshlrev_b64 v[25:26], v22, -1
	v_add_u32_e32 v22, 19, v24
	v_lshlrev_b64 v[27:28], v22, 1
	v_lshrrev_b64 v[40:41], v24, v[2:3]
	v_bfi_b32 v26, v26, 0, 0
	v_bfi_b32 v25, v25, 0, v2
	v_cmp_eq_u64_e64 s[28:29], v[25:26], v[27:28]
	v_mov_b32_e32 v42, v41
	v_mov_b32_e32 v41, v40
	s_and_saveexec_b64 s[48:49], s[28:29]
; %bb.1620:                             ;   in Loop: Header=BB4_1558 Depth=3
	v_bfe_u32 v2, v40, 20, 1
	v_add_co_u32_e64 v2, s[28:29], v40, v2
	v_add_co_u32_e64 v41, s[28:29], -1, v2
; %bb.1621:                             ;   in Loop: Header=BB4_1558 Depth=3
	s_or_b64 exec, exec, s[48:49]
	v_add_u32_e32 v2, 0xffffff81, v21
	v_mov_b32_e32 v21, 0xffffff82
	v_cndmask_b32_e32 v2, v2, v21, vcc
	v_lshrrev_b32_e32 v21, 23, v40
	v_add3_u32 v25, v24, v2, v21
	v_add_u32_e32 v24, 6, v25
	v_and_b32_e32 v2, 0xfffff, v41
	v_add_u32_e32 v2, v2, v40
	v_cmp_ne_u32_e32 vcc, 0, v24
                                        ; implicit-def: $vgpr40_vgpr41
                                        ; implicit-def: $vgpr21
	s_and_saveexec_b64 s[28:29], vcc
	s_xor_b64 s[28:29], exec, s[28:29]
; %bb.1622:                             ;   in Loop: Header=BB4_1558 Depth=3
	v_cmp_lt_u64_e32 vcc, s[74:75], v[2:3]
	v_add_u32_e32 v21, 7, v25
	v_cndmask_b32_e64 v22, 0, 1, vcc
	v_cndmask_b32_e32 v21, v24, v21, vcc
	v_lshrrev_b64 v[40:41], v22, v[2:3]
; %bb.1623:                             ;   in Loop: Header=BB4_1558 Depth=3
	s_andn2_saveexec_b64 s[28:29], s[28:29]
; %bb.1624:                             ;   in Loop: Header=BB4_1558 Depth=3
	v_mov_b32_e32 v41, v3
	v_bfe_u32 v21, v2, 23, 1
	v_mov_b32_e32 v40, v2
; %bb.1625:                             ;   in Loop: Header=BB4_1558 Depth=3
	s_or_b64 exec, exec, s[28:29]
	v_lshrrev_b64 v[24:25], 20, v[40:41]
	v_cmp_gt_i32_e32 vcc, 16, v21
	v_cndmask_b32_e32 v25, 0, v25, vcc
	v_cndmask_b32_e32 v24, 7, v24, vcc
	v_min_i32_e32 v2, 15, v21
	v_cmp_eq_u64_e64 s[28:29], 0, v[24:25]
	v_lshlrev_b32_e32 v2, 3, v2
	v_cmp_eq_u32_e32 vcc, 0, v21
	v_and_b32_e32 v2, 0xf8, v2
	v_and_or_b32 v2, v24, 7, v2
	s_and_b64 s[28:29], vcc, s[28:29]
	v_cndmask_b32_e64 v2, v2, 0, s[28:29]
	v_or_b32_e32 v21, v2, v13
.LBB4_1626:                             ;   in Loop: Header=BB4_1558 Depth=3
	s_or_b64 exec, exec, s[38:39]
                                        ; implicit-def: $vgpr13
.LBB4_1627:                             ;   in Loop: Header=BB4_1558 Depth=3
	s_andn2_saveexec_b64 s[28:29], s[36:37]
; %bb.1628:                             ;   in Loop: Header=BB4_1558 Depth=3
	v_or_b32_e32 v21, 0x7e, v13
; %bb.1629:                             ;   in Loop: Header=BB4_1558 Depth=3
	s_or_b64 exec, exec, s[28:29]
                                        ; implicit-def: $vgpr24
.LBB4_1630:                             ;   in Loop: Header=BB4_1558 Depth=3
	s_andn2_saveexec_b64 s[28:29], s[34:35]
; %bb.1631:                             ;   in Loop: Header=BB4_1558 Depth=3
	v_or_b32_sdwa v21, v24, s68 dst_sel:DWORD dst_unused:UNUSED_PAD src0_sel:BYTE_3 src1_sel:DWORD
; %bb.1632:                             ;   in Loop: Header=BB4_1558 Depth=3
	s_or_b64 exec, exec, s[28:29]
	v_cmp_lt_u32_e32 vcc, s57, v8
	v_mov_b32_e32 v13, 0
	s_and_saveexec_b64 s[28:29], vcc
	s_cbranch_execz .LBB4_1638
; %bb.1633:                             ;   in Loop: Header=BB4_1558 Depth=3
	v_lshrrev_b32_e32 v2, 24, v8
	v_cmp_ne_u32_e32 vcc, s70, v2
	v_bfrev_b32_e32 v13, 1
	s_and_saveexec_b64 s[34:35], vcc
	s_cbranch_execz .LBB4_1637
; %bb.1634:                             ;   in Loop: Header=BB4_1558 Depth=3
	v_bfe_u32 v24, v8, 24, 7
	v_cmp_ne_u32_e32 vcc, s68, v24
	v_mov_b32_e32 v13, 0x7f800001
	s_and_saveexec_b64 s[36:37], vcc
	s_cbranch_execz .LBB4_1636
; %bb.1635:                             ;   in Loop: Header=BB4_1558 Depth=3
	v_and_b32_e32 v13, 7, v2
	v_ffbh_u32_e32 v23, v13
	v_min_u32_e32 v23, 32, v23
	v_lshrrev_b32_e32 v22, 3, v24
	v_cmp_gt_u32_e32 vcc, 8, v24
	v_subrev_u32_e32 v24, 28, v23
	v_lshlrev_b64 v[24:25], v24, v[2:3]
	v_sub_u32_e32 v23, 29, v23
	v_and_b32_e32 v24, 7, v24
	v_cndmask_b32_e32 v22, v22, v23, vcc
	v_cndmask_b32_e32 v13, v13, v24, vcc
	v_lshlrev_b32_e32 v2, 24, v2
	v_lshlrev_b32_e32 v13, 20, v13
	v_and_b32_e32 v2, 0x80000000, v2
	v_lshl_add_u32 v22, v22, 23, v5
	v_or3_b32 v13, v2, v22, v13
.LBB4_1636:                             ;   in Loop: Header=BB4_1558 Depth=3
	s_or_b64 exec, exec, s[36:37]
.LBB4_1637:                             ;   in Loop: Header=BB4_1558 Depth=3
	s_or_b64 exec, exec, s[34:35]
.LBB4_1638:                             ;   in Loop: Header=BB4_1558 Depth=3
	s_or_b64 exec, exec, s[28:29]
	v_mul_f32_e32 v25, v17, v13
	v_and_b32_e32 v2, 0x7f800000, v25
	v_cmp_ne_u64_e32 vcc, s[62:63], v[2:3]
                                        ; implicit-def: $vgpr24
	s_and_saveexec_b64 s[28:29], vcc
	s_xor_b64 s[34:35], exec, s[28:29]
	s_cbranch_execz .LBB4_1652
; %bb.1639:                             ;   in Loop: Header=BB4_1558 Depth=3
	v_and_b32_e32 v2, 0x7fffffff, v25
	v_cmp_gt_u64_e32 vcc, s[72:73], v[2:3]
	v_and_b32_sdwa v13, v25, s70 dst_sel:DWORD dst_unused:UNUSED_PAD src0_sel:BYTE_3 src1_sel:DWORD
                                        ; implicit-def: $vgpr24
	s_and_saveexec_b64 s[28:29], vcc
	s_xor_b64 s[36:37], exec, s[28:29]
	s_cbranch_execz .LBB4_1649
; %bb.1640:                             ;   in Loop: Header=BB4_1558 Depth=3
	v_mov_b32_e32 v24, 0
	v_cmp_ne_u32_e32 vcc, 0, v25
	s_and_saveexec_b64 s[38:39], vcc
	s_cbranch_execz .LBB4_1648
; %bb.1641:                             ;   in Loop: Header=BB4_1558 Depth=3
	v_bfe_u32 v24, v25, 23, 8
	v_cmp_gt_u32_e64 s[28:29], s71, v24
	v_sub_u32_e32 v22, 0x79, v24
	v_and_b32_e32 v2, 0x7fffff, v25
	v_cmp_eq_u32_e32 vcc, 0, v24
	v_cndmask_b32_e64 v22, 0, v22, s[28:29]
	v_mov_b32_e32 v25, 0x78
	v_cndmask_b32_e32 v25, v22, v25, vcc
	v_or_b32_e32 v23, 0x800000, v2
	v_add_u32_e32 v22, 20, v25
	v_cndmask_b32_e32 v2, v23, v2, vcc
	v_lshlrev_b64 v[26:27], v22, -1
	v_add_u32_e32 v22, 19, v25
	v_lshlrev_b64 v[28:29], v22, 1
	v_lshrrev_b64 v[40:41], v25, v[2:3]
	v_bfi_b32 v27, v27, 0, 0
	v_bfi_b32 v26, v26, 0, v2
	v_cmp_eq_u64_e64 s[28:29], v[26:27], v[28:29]
	v_mov_b32_e32 v42, v41
	v_mov_b32_e32 v41, v40
	s_and_saveexec_b64 s[48:49], s[28:29]
; %bb.1642:                             ;   in Loop: Header=BB4_1558 Depth=3
	v_bfe_u32 v2, v40, 20, 1
	v_add_co_u32_e64 v2, s[28:29], v40, v2
	v_add_co_u32_e64 v41, s[28:29], -1, v2
; %bb.1643:                             ;   in Loop: Header=BB4_1558 Depth=3
	s_or_b64 exec, exec, s[48:49]
	v_add_u32_e32 v2, 0xffffff81, v24
	v_mov_b32_e32 v22, 0xffffff82
	v_cndmask_b32_e32 v2, v2, v22, vcc
	v_lshrrev_b32_e32 v22, 23, v40
	v_add3_u32 v26, v25, v2, v22
	v_add_u32_e32 v25, 6, v26
	v_and_b32_e32 v2, 0xfffff, v41
	v_add_u32_e32 v2, v2, v40
	v_cmp_ne_u32_e32 vcc, 0, v25
                                        ; implicit-def: $vgpr40_vgpr41
                                        ; implicit-def: $vgpr24
	s_and_saveexec_b64 s[28:29], vcc
	s_xor_b64 s[28:29], exec, s[28:29]
; %bb.1644:                             ;   in Loop: Header=BB4_1558 Depth=3
	v_cmp_lt_u64_e32 vcc, s[74:75], v[2:3]
	v_add_u32_e32 v22, 7, v26
	v_cndmask_b32_e32 v24, v25, v22, vcc
	v_cndmask_b32_e64 v22, 0, 1, vcc
	v_lshrrev_b64 v[40:41], v22, v[2:3]
; %bb.1645:                             ;   in Loop: Header=BB4_1558 Depth=3
	s_andn2_saveexec_b64 s[28:29], s[28:29]
; %bb.1646:                             ;   in Loop: Header=BB4_1558 Depth=3
	v_mov_b32_e32 v41, v3
	v_bfe_u32 v24, v2, 23, 1
	v_mov_b32_e32 v40, v2
; %bb.1647:                             ;   in Loop: Header=BB4_1558 Depth=3
	s_or_b64 exec, exec, s[28:29]
	v_lshrrev_b64 v[25:26], 20, v[40:41]
	v_cmp_gt_i32_e32 vcc, 16, v24
	v_cndmask_b32_e32 v26, 0, v26, vcc
	v_cndmask_b32_e32 v25, 7, v25, vcc
	v_min_i32_e32 v2, 15, v24
	v_cmp_eq_u64_e64 s[28:29], 0, v[25:26]
	v_lshlrev_b32_e32 v2, 3, v2
	v_cmp_eq_u32_e32 vcc, 0, v24
	v_and_b32_e32 v2, 0xf8, v2
	v_and_or_b32 v2, v25, 7, v2
	s_and_b64 s[28:29], vcc, s[28:29]
	v_cndmask_b32_e64 v2, v2, 0, s[28:29]
	v_or_b32_e32 v24, v2, v13
.LBB4_1648:                             ;   in Loop: Header=BB4_1558 Depth=3
	s_or_b64 exec, exec, s[38:39]
                                        ; implicit-def: $vgpr13
.LBB4_1649:                             ;   in Loop: Header=BB4_1558 Depth=3
	s_andn2_saveexec_b64 s[28:29], s[36:37]
; %bb.1650:                             ;   in Loop: Header=BB4_1558 Depth=3
	v_or_b32_e32 v24, 0x7e, v13
; %bb.1651:                             ;   in Loop: Header=BB4_1558 Depth=3
	s_or_b64 exec, exec, s[28:29]
                                        ; implicit-def: $vgpr25
.LBB4_1652:                             ;   in Loop: Header=BB4_1558 Depth=3
	s_andn2_saveexec_b64 s[28:29], s[34:35]
; %bb.1653:                             ;   in Loop: Header=BB4_1558 Depth=3
	v_or_b32_sdwa v24, v25, s68 dst_sel:DWORD dst_unused:UNUSED_PAD src0_sel:BYTE_3 src1_sel:DWORD
; %bb.1654:                             ;   in Loop: Header=BB4_1558 Depth=3
	s_or_b64 exec, exec, s[28:29]
	v_mov_b32_e32 v2, v9
	v_cmp_ne_u16_sdwa vcc, v9, v3 src0_sel:BYTE_0 src1_sel:DWORD
	v_mov_b32_e32 v13, 0
	s_and_saveexec_b64 s[28:29], vcc
	s_cbranch_execz .LBB4_1660
; %bb.1655:                             ;   in Loop: Header=BB4_1558 Depth=3
	v_cmp_ne_u16_sdwa vcc, v9, s70 src0_sel:BYTE_0 src1_sel:DWORD
	v_bfrev_b32_e32 v13, 1
	s_and_saveexec_b64 s[34:35], vcc
	s_cbranch_execz .LBB4_1659
; %bb.1656:                             ;   in Loop: Header=BB4_1558 Depth=3
	v_and_b32_e32 v25, 0x7f, v9
	v_cmp_ne_u32_e32 vcc, s68, v25
	v_mov_b32_e32 v13, 0x7f800001
	s_and_saveexec_b64 s[36:37], vcc
	s_cbranch_execz .LBB4_1658
; %bb.1657:                             ;   in Loop: Header=BB4_1558 Depth=3
	v_and_b32_e32 v13, 7, v9
	v_ffbh_u32_e32 v13, v13
	v_min_u32_e32 v13, 32, v13
	v_lshrrev_b32_e32 v22, 3, v25
	v_cmp_gt_u32_e32 vcc, 8, v25
	v_subrev_u32_e32 v23, 28, v13
	v_sub_u32_e32 v13, 29, v13
	v_cndmask_b32_e32 v13, v22, v13, vcc
	v_cndmask_b32_e32 v22, 0, v23, vcc
	v_lshlrev_b64 v[25:26], v22, v[2:3]
	v_lshlrev_b32_e32 v23, 24, v2
	v_lshlrev_b32_e32 v22, 20, v25
	v_and_b32_e32 v22, 0x700000, v22
	v_and_b32_e32 v23, 0x80000000, v23
	v_lshl_add_u32 v13, v13, 23, v5
	v_or3_b32 v13, v23, v13, v22
.LBB4_1658:                             ;   in Loop: Header=BB4_1558 Depth=3
	s_or_b64 exec, exec, s[36:37]
.LBB4_1659:                             ;   in Loop: Header=BB4_1558 Depth=3
	s_or_b64 exec, exec, s[34:35]
.LBB4_1660:                             ;   in Loop: Header=BB4_1558 Depth=3
	s_or_b64 exec, exec, s[28:29]
	v_mul_f32_e32 v26, v17, v13
	v_and_b32_e32 v27, 0x7f800000, v26
	v_mov_b32_e32 v28, v3
	v_cmp_ne_u64_e32 vcc, s[62:63], v[27:28]
                                        ; implicit-def: $vgpr25
	s_and_saveexec_b64 s[28:29], vcc
	s_xor_b64 s[34:35], exec, s[28:29]
	s_cbranch_execz .LBB4_1674
; %bb.1661:                             ;   in Loop: Header=BB4_1558 Depth=3
	v_and_b32_e32 v27, 0x7fffffff, v26
	v_mov_b32_e32 v28, v3
	v_cmp_gt_u64_e32 vcc, s[72:73], v[27:28]
	v_and_b32_sdwa v13, v26, s70 dst_sel:DWORD dst_unused:UNUSED_PAD src0_sel:BYTE_3 src1_sel:DWORD
                                        ; implicit-def: $vgpr25
	s_and_saveexec_b64 s[28:29], vcc
	s_xor_b64 s[36:37], exec, s[28:29]
	s_cbranch_execz .LBB4_1671
; %bb.1662:                             ;   in Loop: Header=BB4_1558 Depth=3
	v_mov_b32_e32 v25, 0
	v_cmp_ne_u32_e32 vcc, 0, v26
	s_and_saveexec_b64 s[38:39], vcc
	s_cbranch_execz .LBB4_1670
; %bb.1663:                             ;   in Loop: Header=BB4_1558 Depth=3
	v_bfe_u32 v25, v26, 23, 8
	v_cmp_gt_u32_e64 s[28:29], s71, v25
	v_sub_u32_e32 v23, 0x79, v25
	v_and_b32_e32 v22, 0x7fffff, v26
	v_cmp_eq_u32_e32 vcc, 0, v25
	v_cndmask_b32_e64 v23, 0, v23, s[28:29]
	v_mov_b32_e32 v26, 0x78
	v_or_b32_e32 v27, 0x800000, v22
	v_cndmask_b32_e32 v26, v23, v26, vcc
	v_cndmask_b32_e32 v27, v27, v22, vcc
	v_add_u32_e32 v22, 20, v26
	v_mov_b32_e32 v28, v3
	v_lshlrev_b64 v[29:30], v22, -1
	v_add_u32_e32 v22, 19, v26
	v_lshlrev_b64 v[34:35], v22, 1
	v_lshrrev_b64 v[40:41], v26, v[27:28]
	v_bfi_b32 v30, v30, 0, 0
	v_bfi_b32 v29, v29, 0, v27
	v_cmp_eq_u64_e64 s[28:29], v[29:30], v[34:35]
	v_mov_b32_e32 v42, v41
	v_mov_b32_e32 v41, v40
	s_and_saveexec_b64 s[48:49], s[28:29]
; %bb.1664:                             ;   in Loop: Header=BB4_1558 Depth=3
	v_bfe_u32 v22, v40, 20, 1
	v_add_co_u32_e64 v22, s[28:29], v40, v22
	v_add_co_u32_e64 v41, s[28:29], -1, v22
; %bb.1665:                             ;   in Loop: Header=BB4_1558 Depth=3
	s_or_b64 exec, exec, s[48:49]
	v_add_u32_e32 v22, 0xffffff81, v25
	v_mov_b32_e32 v23, 0xffffff82
	v_cndmask_b32_e32 v22, v22, v23, vcc
	v_lshrrev_b32_e32 v23, 23, v40
	v_add3_u32 v27, v26, v22, v23
	v_add_u32_e32 v26, 6, v27
	v_and_b32_e32 v22, 0xfffff, v41
	v_add_u32_e32 v40, v22, v40
	v_mov_b32_e32 v41, v3
	v_cmp_ne_u32_e32 vcc, 0, v26
                                        ; implicit-def: $vgpr25
	s_and_saveexec_b64 s[28:29], vcc
	s_xor_b64 s[28:29], exec, s[28:29]
; %bb.1666:                             ;   in Loop: Header=BB4_1558 Depth=3
	v_cmp_lt_u64_e32 vcc, s[74:75], v[40:41]
	v_add_u32_e32 v22, 7, v27
	v_cndmask_b32_e32 v25, v26, v22, vcc
	v_cndmask_b32_e64 v22, 0, 1, vcc
	v_lshrrev_b64 v[40:41], v22, v[40:41]
; %bb.1667:                             ;   in Loop: Header=BB4_1558 Depth=3
	s_andn2_saveexec_b64 s[28:29], s[28:29]
; %bb.1668:                             ;   in Loop: Header=BB4_1558 Depth=3
	v_bfe_u32 v25, v40, 23, 1
; %bb.1669:                             ;   in Loop: Header=BB4_1558 Depth=3
	s_or_b64 exec, exec, s[28:29]
	v_lshrrev_b64 v[26:27], 20, v[40:41]
	v_cmp_gt_i32_e32 vcc, 16, v25
	v_cndmask_b32_e32 v27, 0, v27, vcc
	v_cndmask_b32_e32 v26, 7, v26, vcc
	v_min_i32_e32 v22, 15, v25
	v_cmp_eq_u64_e64 s[28:29], 0, v[26:27]
	v_lshlrev_b32_e32 v22, 3, v22
	v_cmp_eq_u32_e32 vcc, 0, v25
	v_and_b32_e32 v22, 0xf8, v22
	v_and_or_b32 v22, v26, 7, v22
	s_and_b64 s[28:29], vcc, s[28:29]
	v_cndmask_b32_e64 v22, v22, 0, s[28:29]
	v_or_b32_e32 v25, v22, v13
.LBB4_1670:                             ;   in Loop: Header=BB4_1558 Depth=3
	s_or_b64 exec, exec, s[38:39]
                                        ; implicit-def: $vgpr13
.LBB4_1671:                             ;   in Loop: Header=BB4_1558 Depth=3
	s_andn2_saveexec_b64 s[28:29], s[36:37]
; %bb.1672:                             ;   in Loop: Header=BB4_1558 Depth=3
	v_or_b32_e32 v25, 0x7e, v13
; %bb.1673:                             ;   in Loop: Header=BB4_1558 Depth=3
	s_or_b64 exec, exec, s[28:29]
                                        ; implicit-def: $vgpr26
.LBB4_1674:                             ;   in Loop: Header=BB4_1558 Depth=3
	s_andn2_saveexec_b64 s[28:29], s[34:35]
; %bb.1675:                             ;   in Loop: Header=BB4_1558 Depth=3
	v_or_b32_sdwa v25, v26, s68 dst_sel:DWORD dst_unused:UNUSED_PAD src0_sel:BYTE_3 src1_sel:DWORD
; %bb.1676:                             ;   in Loop: Header=BB4_1558 Depth=3
	s_or_b64 exec, exec, s[28:29]
	v_lshrrev_b16_e32 v13, 8, v2
	v_cmp_ne_u16_e32 vcc, 0, v13
	v_mov_b32_e32 v26, 0
	s_and_saveexec_b64 s[28:29], vcc
	s_cbranch_execz .LBB4_1682
; %bb.1677:                             ;   in Loop: Header=BB4_1558 Depth=3
	v_cmp_ne_u16_e32 vcc, s70, v13
	v_bfrev_b32_e32 v26, 1
	s_and_saveexec_b64 s[34:35], vcc
	s_cbranch_execz .LBB4_1681
; %bb.1678:                             ;   in Loop: Header=BB4_1558 Depth=3
	v_and_b32_e32 v27, 0x7f, v13
	v_cmp_ne_u32_e32 vcc, s68, v27
	v_mov_b32_e32 v26, 0x7f800001
	s_and_saveexec_b64 s[36:37], vcc
	s_cbranch_execz .LBB4_1680
; %bb.1679:                             ;   in Loop: Header=BB4_1558 Depth=3
	v_and_b32_e32 v22, 7, v13
	v_ffbh_u32_e32 v26, v22
	v_min_u32_e32 v28, 32, v26
	v_subrev_u32_e32 v26, 28, v28
	v_lshrrev_b32_e32 v23, 3, v27
	v_cmp_gt_u32_e32 vcc, 8, v27
	v_lshlrev_b64 v[26:27], v26, v[13:14]
	v_sub_u32_e32 v13, 29, v28
	v_and_b32_e32 v26, 7, v26
	v_cndmask_b32_e32 v13, v23, v13, vcc
	v_cndmask_b32_e32 v22, v22, v26, vcc
	v_lshlrev_b32_e32 v2, 16, v2
	v_lshlrev_b32_e32 v22, 20, v22
	v_and_b32_e32 v2, 0x80000000, v2
	v_lshl_add_u32 v13, v13, 23, v5
	v_or3_b32 v26, v2, v13, v22
.LBB4_1680:                             ;   in Loop: Header=BB4_1558 Depth=3
	s_or_b64 exec, exec, s[36:37]
.LBB4_1681:                             ;   in Loop: Header=BB4_1558 Depth=3
	s_or_b64 exec, exec, s[34:35]
.LBB4_1682:                             ;   in Loop: Header=BB4_1558 Depth=3
	s_or_b64 exec, exec, s[28:29]
	v_mul_f32_e32 v27, v17, v26
	v_and_b32_e32 v2, 0x7f800000, v27
	v_cmp_ne_u64_e32 vcc, s[62:63], v[2:3]
                                        ; implicit-def: $vgpr13
	s_and_saveexec_b64 s[28:29], vcc
	s_xor_b64 s[34:35], exec, s[28:29]
	s_cbranch_execz .LBB4_1696
; %bb.1683:                             ;   in Loop: Header=BB4_1558 Depth=3
	v_and_b32_e32 v2, 0x7fffffff, v27
	v_cmp_gt_u64_e32 vcc, s[72:73], v[2:3]
	v_and_b32_sdwa v26, v27, s70 dst_sel:DWORD dst_unused:UNUSED_PAD src0_sel:BYTE_3 src1_sel:DWORD
                                        ; implicit-def: $vgpr13
	s_and_saveexec_b64 s[28:29], vcc
	s_xor_b64 s[36:37], exec, s[28:29]
	s_cbranch_execz .LBB4_1693
; %bb.1684:                             ;   in Loop: Header=BB4_1558 Depth=3
	v_mov_b32_e32 v13, 0
	v_cmp_ne_u32_e32 vcc, 0, v27
	s_and_saveexec_b64 s[38:39], vcc
	s_cbranch_execz .LBB4_1692
; %bb.1685:                             ;   in Loop: Header=BB4_1558 Depth=3
	v_bfe_u32 v13, v27, 23, 8
	v_cmp_gt_u32_e64 s[28:29], s71, v13
	v_sub_u32_e32 v22, 0x79, v13
	v_and_b32_e32 v2, 0x7fffff, v27
	v_cmp_eq_u32_e32 vcc, 0, v13
	v_cndmask_b32_e64 v22, 0, v22, s[28:29]
	v_mov_b32_e32 v27, 0x78
	v_cndmask_b32_e32 v27, v22, v27, vcc
	v_or_b32_e32 v23, 0x800000, v2
	v_add_u32_e32 v22, 20, v27
	v_cndmask_b32_e32 v2, v23, v2, vcc
	v_lshlrev_b64 v[28:29], v22, -1
	v_add_u32_e32 v22, 19, v27
	v_lshlrev_b64 v[30:31], v22, 1
	v_lshrrev_b64 v[40:41], v27, v[2:3]
	v_bfi_b32 v29, v29, 0, 0
	v_bfi_b32 v28, v28, 0, v2
	v_cmp_eq_u64_e64 s[28:29], v[28:29], v[30:31]
	v_mov_b32_e32 v42, v41
	v_mov_b32_e32 v41, v40
	s_and_saveexec_b64 s[48:49], s[28:29]
; %bb.1686:                             ;   in Loop: Header=BB4_1558 Depth=3
	v_bfe_u32 v2, v40, 20, 1
	v_add_co_u32_e64 v2, s[28:29], v40, v2
	v_add_co_u32_e64 v41, s[28:29], -1, v2
; %bb.1687:                             ;   in Loop: Header=BB4_1558 Depth=3
	s_or_b64 exec, exec, s[48:49]
	v_add_u32_e32 v2, 0xffffff81, v13
	v_mov_b32_e32 v13, 0xffffff82
	v_cndmask_b32_e32 v2, v2, v13, vcc
	v_lshrrev_b32_e32 v13, 23, v40
	v_add3_u32 v28, v27, v2, v13
	v_add_u32_e32 v27, 6, v28
	v_and_b32_e32 v2, 0xfffff, v41
	v_add_u32_e32 v2, v2, v40
	v_cmp_ne_u32_e32 vcc, 0, v27
                                        ; implicit-def: $vgpr40_vgpr41
                                        ; implicit-def: $vgpr13
	s_and_saveexec_b64 s[28:29], vcc
	s_xor_b64 s[28:29], exec, s[28:29]
; %bb.1688:                             ;   in Loop: Header=BB4_1558 Depth=3
	v_cmp_lt_u64_e32 vcc, s[74:75], v[2:3]
	v_add_u32_e32 v13, 7, v28
	v_cndmask_b32_e64 v22, 0, 1, vcc
	v_cndmask_b32_e32 v13, v27, v13, vcc
	v_lshrrev_b64 v[40:41], v22, v[2:3]
; %bb.1689:                             ;   in Loop: Header=BB4_1558 Depth=3
	s_andn2_saveexec_b64 s[28:29], s[28:29]
; %bb.1690:                             ;   in Loop: Header=BB4_1558 Depth=3
	v_mov_b32_e32 v41, v3
	v_bfe_u32 v13, v2, 23, 1
	v_mov_b32_e32 v40, v2
; %bb.1691:                             ;   in Loop: Header=BB4_1558 Depth=3
	s_or_b64 exec, exec, s[28:29]
	v_lshrrev_b64 v[27:28], 20, v[40:41]
	v_cmp_gt_i32_e32 vcc, 16, v13
	v_cndmask_b32_e32 v28, 0, v28, vcc
	v_cndmask_b32_e32 v27, 7, v27, vcc
	v_min_i32_e32 v2, 15, v13
	v_cmp_eq_u64_e64 s[28:29], 0, v[27:28]
	v_lshlrev_b32_e32 v2, 3, v2
	v_cmp_eq_u32_e32 vcc, 0, v13
	v_and_b32_e32 v2, 0xf8, v2
	v_and_or_b32 v2, v27, 7, v2
	s_and_b64 s[28:29], vcc, s[28:29]
	v_cndmask_b32_e64 v2, v2, 0, s[28:29]
	v_or_b32_e32 v13, v2, v26
.LBB4_1692:                             ;   in Loop: Header=BB4_1558 Depth=3
	s_or_b64 exec, exec, s[38:39]
                                        ; implicit-def: $vgpr26
.LBB4_1693:                             ;   in Loop: Header=BB4_1558 Depth=3
	s_andn2_saveexec_b64 s[28:29], s[36:37]
; %bb.1694:                             ;   in Loop: Header=BB4_1558 Depth=3
	v_or_b32_e32 v13, 0x7e, v26
; %bb.1695:                             ;   in Loop: Header=BB4_1558 Depth=3
	s_or_b64 exec, exec, s[28:29]
                                        ; implicit-def: $vgpr27
.LBB4_1696:                             ;   in Loop: Header=BB4_1558 Depth=3
	s_andn2_saveexec_b64 s[28:29], s[34:35]
; %bb.1697:                             ;   in Loop: Header=BB4_1558 Depth=3
	v_or_b32_sdwa v13, v27, s68 dst_sel:DWORD dst_unused:UNUSED_PAD src0_sel:BYTE_3 src1_sel:DWORD
; %bb.1698:                             ;   in Loop: Header=BB4_1558 Depth=3
	s_or_b64 exec, exec, s[28:29]
	v_lshrrev_b32_e32 v2, 16, v9
	v_cmp_ne_u16_sdwa vcc, v2, v3 src0_sel:BYTE_0 src1_sel:DWORD
	v_mov_b32_e32 v26, 0
	s_and_saveexec_b64 s[28:29], vcc
	s_cbranch_execz .LBB4_1704
; %bb.1699:                             ;   in Loop: Header=BB4_1558 Depth=3
	v_cmp_ne_u16_sdwa vcc, v2, s70 src0_sel:BYTE_0 src1_sel:DWORD
	v_bfrev_b32_e32 v26, 1
	s_and_saveexec_b64 s[34:35], vcc
	s_cbranch_execz .LBB4_1703
; %bb.1700:                             ;   in Loop: Header=BB4_1558 Depth=3
	v_bfe_u32 v27, v9, 16, 7
	v_cmp_ne_u32_e32 vcc, s68, v27
	v_mov_b32_e32 v26, 0x7f800001
	s_and_saveexec_b64 s[36:37], vcc
	s_cbranch_execz .LBB4_1702
; %bb.1701:                             ;   in Loop: Header=BB4_1558 Depth=3
	v_and_b32_e32 v22, 7, v2
	v_ffbh_u32_e32 v26, v22
	v_min_u32_e32 v28, 32, v26
	v_subrev_u32_e32 v26, 28, v28
	v_lshrrev_b32_e32 v23, 3, v27
	v_cmp_gt_u32_e32 vcc, 8, v27
	v_lshlrev_b64 v[26:27], v26, v[2:3]
	v_sub_u32_e32 v27, 29, v28
	v_and_b32_e32 v26, 7, v26
	v_cndmask_b32_e32 v23, v23, v27, vcc
	v_cndmask_b32_e32 v22, v22, v26, vcc
	v_lshlrev_b32_e32 v2, 24, v2
	v_lshlrev_b32_e32 v22, 20, v22
	v_and_b32_e32 v2, 0x80000000, v2
	v_lshl_add_u32 v23, v23, 23, v5
	v_or3_b32 v26, v2, v23, v22
.LBB4_1702:                             ;   in Loop: Header=BB4_1558 Depth=3
	s_or_b64 exec, exec, s[36:37]
.LBB4_1703:                             ;   in Loop: Header=BB4_1558 Depth=3
	s_or_b64 exec, exec, s[34:35]
.LBB4_1704:                             ;   in Loop: Header=BB4_1558 Depth=3
	s_or_b64 exec, exec, s[28:29]
	v_mul_f32_e32 v28, v17, v26
	v_and_b32_e32 v2, 0x7f800000, v28
	v_cmp_ne_u64_e32 vcc, s[62:63], v[2:3]
                                        ; implicit-def: $vgpr26
	s_and_saveexec_b64 s[28:29], vcc
	s_xor_b64 s[34:35], exec, s[28:29]
	s_cbranch_execz .LBB4_1718
; %bb.1705:                             ;   in Loop: Header=BB4_1558 Depth=3
	v_and_b32_e32 v2, 0x7fffffff, v28
	v_cmp_gt_u64_e32 vcc, s[72:73], v[2:3]
	v_and_b32_sdwa v27, v28, s70 dst_sel:DWORD dst_unused:UNUSED_PAD src0_sel:BYTE_3 src1_sel:DWORD
                                        ; implicit-def: $vgpr26
	s_and_saveexec_b64 s[28:29], vcc
	s_xor_b64 s[36:37], exec, s[28:29]
	s_cbranch_execz .LBB4_1715
; %bb.1706:                             ;   in Loop: Header=BB4_1558 Depth=3
	v_mov_b32_e32 v26, 0
	v_cmp_ne_u32_e32 vcc, 0, v28
	s_and_saveexec_b64 s[38:39], vcc
	s_cbranch_execz .LBB4_1714
; %bb.1707:                             ;   in Loop: Header=BB4_1558 Depth=3
	v_bfe_u32 v26, v28, 23, 8
	v_cmp_gt_u32_e64 s[28:29], s71, v26
	v_sub_u32_e32 v22, 0x79, v26
	v_and_b32_e32 v2, 0x7fffff, v28
	v_cmp_eq_u32_e32 vcc, 0, v26
	v_cndmask_b32_e64 v22, 0, v22, s[28:29]
	v_mov_b32_e32 v28, 0x78
	v_cndmask_b32_e32 v28, v22, v28, vcc
	v_or_b32_e32 v23, 0x800000, v2
	v_add_u32_e32 v22, 20, v28
	v_cndmask_b32_e32 v2, v23, v2, vcc
	v_lshlrev_b64 v[29:30], v22, -1
	v_add_u32_e32 v22, 19, v28
	v_lshlrev_b64 v[34:35], v22, 1
	v_lshrrev_b64 v[40:41], v28, v[2:3]
	v_bfi_b32 v30, v30, 0, 0
	v_bfi_b32 v29, v29, 0, v2
	v_cmp_eq_u64_e64 s[28:29], v[29:30], v[34:35]
	v_mov_b32_e32 v42, v41
	v_mov_b32_e32 v41, v40
	s_and_saveexec_b64 s[48:49], s[28:29]
; %bb.1708:                             ;   in Loop: Header=BB4_1558 Depth=3
	v_bfe_u32 v2, v40, 20, 1
	v_add_co_u32_e64 v2, s[28:29], v40, v2
	v_add_co_u32_e64 v41, s[28:29], -1, v2
; %bb.1709:                             ;   in Loop: Header=BB4_1558 Depth=3
	s_or_b64 exec, exec, s[48:49]
	v_add_u32_e32 v2, 0xffffff81, v26
	v_mov_b32_e32 v22, 0xffffff82
	v_cndmask_b32_e32 v2, v2, v22, vcc
	v_lshrrev_b32_e32 v22, 23, v40
	v_add3_u32 v29, v28, v2, v22
	v_add_u32_e32 v28, 6, v29
	v_and_b32_e32 v2, 0xfffff, v41
	v_add_u32_e32 v2, v2, v40
	v_cmp_ne_u32_e32 vcc, 0, v28
                                        ; implicit-def: $vgpr40_vgpr41
                                        ; implicit-def: $vgpr26
	s_and_saveexec_b64 s[28:29], vcc
	s_xor_b64 s[28:29], exec, s[28:29]
; %bb.1710:                             ;   in Loop: Header=BB4_1558 Depth=3
	v_cmp_lt_u64_e32 vcc, s[74:75], v[2:3]
	v_add_u32_e32 v22, 7, v29
	v_cndmask_b32_e32 v26, v28, v22, vcc
	v_cndmask_b32_e64 v22, 0, 1, vcc
	v_lshrrev_b64 v[40:41], v22, v[2:3]
; %bb.1711:                             ;   in Loop: Header=BB4_1558 Depth=3
	s_andn2_saveexec_b64 s[28:29], s[28:29]
; %bb.1712:                             ;   in Loop: Header=BB4_1558 Depth=3
	v_mov_b32_e32 v41, v3
	v_bfe_u32 v26, v2, 23, 1
	v_mov_b32_e32 v40, v2
; %bb.1713:                             ;   in Loop: Header=BB4_1558 Depth=3
	s_or_b64 exec, exec, s[28:29]
	v_lshrrev_b64 v[28:29], 20, v[40:41]
	v_cmp_gt_i32_e32 vcc, 16, v26
	v_cndmask_b32_e32 v29, 0, v29, vcc
	v_cndmask_b32_e32 v28, 7, v28, vcc
	v_min_i32_e32 v2, 15, v26
	v_cmp_eq_u64_e64 s[28:29], 0, v[28:29]
	v_lshlrev_b32_e32 v2, 3, v2
	v_cmp_eq_u32_e32 vcc, 0, v26
	v_and_b32_e32 v2, 0xf8, v2
	v_and_or_b32 v2, v28, 7, v2
	s_and_b64 s[28:29], vcc, s[28:29]
	v_cndmask_b32_e64 v2, v2, 0, s[28:29]
	v_or_b32_e32 v26, v2, v27
.LBB4_1714:                             ;   in Loop: Header=BB4_1558 Depth=3
	s_or_b64 exec, exec, s[38:39]
                                        ; implicit-def: $vgpr27
.LBB4_1715:                             ;   in Loop: Header=BB4_1558 Depth=3
	s_andn2_saveexec_b64 s[28:29], s[36:37]
; %bb.1716:                             ;   in Loop: Header=BB4_1558 Depth=3
	v_or_b32_e32 v26, 0x7e, v27
; %bb.1717:                             ;   in Loop: Header=BB4_1558 Depth=3
	s_or_b64 exec, exec, s[28:29]
                                        ; implicit-def: $vgpr28
.LBB4_1718:                             ;   in Loop: Header=BB4_1558 Depth=3
	s_andn2_saveexec_b64 s[28:29], s[34:35]
; %bb.1719:                             ;   in Loop: Header=BB4_1558 Depth=3
	v_or_b32_sdwa v26, v28, s68 dst_sel:DWORD dst_unused:UNUSED_PAD src0_sel:BYTE_3 src1_sel:DWORD
; %bb.1720:                             ;   in Loop: Header=BB4_1558 Depth=3
	s_or_b64 exec, exec, s[28:29]
	v_cmp_lt_u64_e32 vcc, s[56:57], v[8:9]
	v_mov_b32_e32 v8, 0
	s_and_saveexec_b64 s[28:29], vcc
	s_cbranch_execz .LBB4_1726
; %bb.1721:                             ;   in Loop: Header=BB4_1558 Depth=3
	v_lshrrev_b32_e32 v2, 24, v9
	v_cmp_ne_u32_e32 vcc, s70, v2
	v_bfrev_b32_e32 v8, 1
	s_and_saveexec_b64 s[34:35], vcc
	s_cbranch_execz .LBB4_1725
; %bb.1722:                             ;   in Loop: Header=BB4_1558 Depth=3
	v_bfe_u32 v9, v9, 24, 7
	v_cmp_ne_u32_e32 vcc, s68, v9
	v_mov_b32_e32 v8, 0x7f800001
	s_and_saveexec_b64 s[36:37], vcc
	s_cbranch_execz .LBB4_1724
; %bb.1723:                             ;   in Loop: Header=BB4_1558 Depth=3
	v_and_b32_e32 v22, 7, v2
	v_ffbh_u32_e32 v8, v22
	v_min_u32_e32 v27, 32, v8
	v_subrev_u32_e32 v8, 28, v27
	v_lshrrev_b32_e32 v23, 3, v9
	v_cmp_gt_u32_e32 vcc, 8, v9
	v_lshlrev_b64 v[8:9], v8, v[2:3]
	v_sub_u32_e32 v9, 29, v27
	v_and_b32_e32 v8, 7, v8
	v_cndmask_b32_e32 v9, v23, v9, vcc
	v_cndmask_b32_e32 v8, v22, v8, vcc
	v_lshlrev_b32_e32 v2, 24, v2
	v_lshlrev_b32_e32 v8, 20, v8
	v_and_b32_e32 v2, 0x80000000, v2
	v_lshl_add_u32 v9, v9, 23, v5
	v_or3_b32 v8, v2, v9, v8
.LBB4_1724:                             ;   in Loop: Header=BB4_1558 Depth=3
	s_or_b64 exec, exec, s[36:37]
.LBB4_1725:                             ;   in Loop: Header=BB4_1558 Depth=3
	s_or_b64 exec, exec, s[34:35]
.LBB4_1726:                             ;   in Loop: Header=BB4_1558 Depth=3
	s_or_b64 exec, exec, s[28:29]
	v_mul_f32_e32 v8, v17, v8
	v_and_b32_e32 v2, 0x7f800000, v8
	v_cmp_ne_u64_e32 vcc, s[62:63], v[2:3]
                                        ; implicit-def: $vgpr27
	s_and_saveexec_b64 s[28:29], vcc
	s_xor_b64 s[34:35], exec, s[28:29]
	s_cbranch_execz .LBB4_1740
; %bb.1727:                             ;   in Loop: Header=BB4_1558 Depth=3
	v_and_b32_e32 v2, 0x7fffffff, v8
	v_cmp_gt_u64_e32 vcc, s[72:73], v[2:3]
	v_and_b32_sdwa v28, v8, s70 dst_sel:DWORD dst_unused:UNUSED_PAD src0_sel:BYTE_3 src1_sel:DWORD
                                        ; implicit-def: $vgpr27
	s_and_saveexec_b64 s[28:29], vcc
	s_xor_b64 s[36:37], exec, s[28:29]
	s_cbranch_execz .LBB4_1737
; %bb.1728:                             ;   in Loop: Header=BB4_1558 Depth=3
	v_mov_b32_e32 v27, 0
	v_cmp_ne_u32_e32 vcc, 0, v8
	s_and_saveexec_b64 s[38:39], vcc
	s_cbranch_execz .LBB4_1736
; %bb.1729:                             ;   in Loop: Header=BB4_1558 Depth=3
	v_bfe_u32 v27, v8, 23, 8
	v_and_b32_e32 v2, 0x7fffff, v8
	v_cmp_gt_u32_e64 s[28:29], s71, v27
	v_sub_u32_e32 v8, 0x79, v27
	v_cmp_eq_u32_e32 vcc, 0, v27
	v_cndmask_b32_e64 v8, 0, v8, s[28:29]
	v_mov_b32_e32 v22, 0x78
	v_cndmask_b32_e32 v29, v8, v22, vcc
	v_or_b32_e32 v9, 0x800000, v2
	v_add_u32_e32 v8, 20, v29
	v_cndmask_b32_e32 v2, v9, v2, vcc
	v_lshlrev_b64 v[8:9], v8, -1
	v_add_u32_e32 v22, 19, v29
	v_lshlrev_b64 v[30:31], v22, 1
	v_bfi_b32 v9, v9, 0, 0
	v_bfi_b32 v8, v8, 0, v2
	v_cmp_eq_u64_e64 s[28:29], v[8:9], v[30:31]
	v_lshrrev_b64 v[8:9], v29, v[2:3]
	v_mov_b32_e32 v41, v9
	v_mov_b32_e32 v40, v8
	s_and_saveexec_b64 s[48:49], s[28:29]
; %bb.1730:                             ;   in Loop: Header=BB4_1558 Depth=3
	v_bfe_u32 v2, v8, 20, 1
	v_add_co_u32_e64 v2, s[28:29], v8, v2
	v_add_co_u32_e64 v40, s[28:29], -1, v2
; %bb.1731:                             ;   in Loop: Header=BB4_1558 Depth=3
	s_or_b64 exec, exec, s[48:49]
	v_add_u32_e32 v2, 0xffffff81, v27
	v_mov_b32_e32 v9, 0xffffff82
	v_cndmask_b32_e32 v2, v2, v9, vcc
	v_lshrrev_b32_e32 v9, 23, v8
	v_add3_u32 v31, v29, v2, v9
	v_add_u32_e32 v29, 6, v31
	v_and_b32_e32 v2, 0xfffff, v40
	v_add_u32_e32 v2, v2, v8
	v_cmp_ne_u32_e32 vcc, 0, v29
                                        ; implicit-def: $vgpr8_vgpr9
                                        ; implicit-def: $vgpr27
	s_and_saveexec_b64 s[28:29], vcc
	s_xor_b64 s[28:29], exec, s[28:29]
; %bb.1732:                             ;   in Loop: Header=BB4_1558 Depth=3
	v_cmp_lt_u64_e32 vcc, s[74:75], v[2:3]
	v_add_u32_e32 v8, 7, v31
	v_cndmask_b32_e32 v27, v29, v8, vcc
	v_cndmask_b32_e64 v8, 0, 1, vcc
	v_lshrrev_b64 v[8:9], v8, v[2:3]
; %bb.1733:                             ;   in Loop: Header=BB4_1558 Depth=3
	s_andn2_saveexec_b64 s[28:29], s[28:29]
; %bb.1734:                             ;   in Loop: Header=BB4_1558 Depth=3
	v_mov_b32_e32 v9, v3
	v_bfe_u32 v27, v2, 23, 1
	v_mov_b32_e32 v8, v2
; %bb.1735:                             ;   in Loop: Header=BB4_1558 Depth=3
	s_or_b64 exec, exec, s[28:29]
	v_lshrrev_b64 v[8:9], 20, v[8:9]
	v_cmp_gt_i32_e32 vcc, 16, v27
	v_cndmask_b32_e32 v9, 0, v9, vcc
	v_cndmask_b32_e32 v8, 7, v8, vcc
	v_min_i32_e32 v2, 15, v27
	v_cmp_eq_u64_e64 s[28:29], 0, v[8:9]
	v_lshlrev_b32_e32 v2, 3, v2
	v_cmp_eq_u32_e32 vcc, 0, v27
	v_and_b32_e32 v2, 0xf8, v2
	v_and_or_b32 v2, v8, 7, v2
	s_and_b64 s[28:29], vcc, s[28:29]
	v_cndmask_b32_e64 v2, v2, 0, s[28:29]
	v_or_b32_e32 v27, v2, v28
.LBB4_1736:                             ;   in Loop: Header=BB4_1558 Depth=3
	s_or_b64 exec, exec, s[38:39]
                                        ; implicit-def: $vgpr28
.LBB4_1737:                             ;   in Loop: Header=BB4_1558 Depth=3
	s_andn2_saveexec_b64 s[28:29], s[36:37]
; %bb.1738:                             ;   in Loop: Header=BB4_1558 Depth=3
	v_or_b32_e32 v27, 0x7e, v28
; %bb.1739:                             ;   in Loop: Header=BB4_1558 Depth=3
	s_or_b64 exec, exec, s[28:29]
                                        ; implicit-def: $vgpr8
.LBB4_1740:                             ;   in Loop: Header=BB4_1558 Depth=3
	s_andn2_saveexec_b64 s[28:29], s[34:35]
; %bb.1741:                             ;   in Loop: Header=BB4_1558 Depth=3
	v_or_b32_sdwa v27, v8, s68 dst_sel:DWORD dst_unused:UNUSED_PAD src0_sel:BYTE_3 src1_sel:DWORD
; %bb.1742:                             ;   in Loop: Header=BB4_1558 Depth=3
	s_or_b64 exec, exec, s[28:29]
	v_cmp_ne_u16_sdwa vcc, v10, v3 src0_sel:BYTE_0 src1_sel:DWORD
	v_mov_b32_e32 v2, 0
	s_and_saveexec_b64 s[28:29], vcc
	s_cbranch_execz .LBB4_1748
; %bb.1743:                             ;   in Loop: Header=BB4_1558 Depth=3
	v_cmp_ne_u16_sdwa vcc, v10, s70 src0_sel:BYTE_0 src1_sel:DWORD
	v_bfrev_b32_e32 v2, 1
	s_and_saveexec_b64 s[34:35], vcc
	s_cbranch_execz .LBB4_1747
; %bb.1744:                             ;   in Loop: Header=BB4_1558 Depth=3
	v_and_b32_e32 v8, 0x7f, v10
	v_cmp_ne_u32_e32 vcc, s68, v8
	v_mov_b32_e32 v2, 0x7f800001
	s_and_saveexec_b64 s[36:37], vcc
	s_cbranch_execz .LBB4_1746
; %bb.1745:                             ;   in Loop: Header=BB4_1558 Depth=3
	v_and_b32_e32 v2, 7, v10
	v_ffbh_u32_e32 v2, v2
	v_min_u32_e32 v2, 32, v2
	v_lshrrev_b32_e32 v9, 3, v8
	v_cmp_gt_u32_e32 vcc, 8, v8
	v_subrev_u32_e32 v8, 28, v2
	v_sub_u32_e32 v2, 29, v2
	v_cndmask_b32_e32 v8, 0, v8, vcc
	v_cndmask_b32_e32 v2, v9, v2, vcc
	v_lshlrev_b64 v[8:9], v8, v[10:11]
	v_lshlrev_b32_e32 v9, 24, v10
	v_lshlrev_b32_e32 v8, 20, v8
	v_and_b32_e32 v8, 0x700000, v8
	v_and_b32_e32 v9, 0x80000000, v9
	v_lshl_add_u32 v2, v2, 23, v5
	v_or3_b32 v2, v9, v2, v8
.LBB4_1746:                             ;   in Loop: Header=BB4_1558 Depth=3
	s_or_b64 exec, exec, s[36:37]
.LBB4_1747:                             ;   in Loop: Header=BB4_1558 Depth=3
	s_or_b64 exec, exec, s[34:35]
.LBB4_1748:                             ;   in Loop: Header=BB4_1558 Depth=3
	s_or_b64 exec, exec, s[28:29]
	v_mul_f32_e32 v8, v17, v2
	v_and_b32_e32 v2, 0x7f800000, v8
	v_cmp_ne_u64_e32 vcc, s[62:63], v[2:3]
                                        ; implicit-def: $vgpr28
	s_and_saveexec_b64 s[28:29], vcc
	s_xor_b64 s[34:35], exec, s[28:29]
	s_cbranch_execz .LBB4_1762
; %bb.1749:                             ;   in Loop: Header=BB4_1558 Depth=3
	v_and_b32_e32 v2, 0x7fffffff, v8
	v_cmp_gt_u64_e32 vcc, s[72:73], v[2:3]
	v_and_b32_sdwa v29, v8, s70 dst_sel:DWORD dst_unused:UNUSED_PAD src0_sel:BYTE_3 src1_sel:DWORD
                                        ; implicit-def: $vgpr28
	s_and_saveexec_b64 s[28:29], vcc
	s_xor_b64 s[36:37], exec, s[28:29]
	s_cbranch_execz .LBB4_1759
; %bb.1750:                             ;   in Loop: Header=BB4_1558 Depth=3
	v_mov_b32_e32 v28, 0
	v_cmp_ne_u32_e32 vcc, 0, v8
	s_and_saveexec_b64 s[38:39], vcc
	s_cbranch_execz .LBB4_1758
; %bb.1751:                             ;   in Loop: Header=BB4_1558 Depth=3
	v_bfe_u32 v28, v8, 23, 8
	v_and_b32_e32 v2, 0x7fffff, v8
	v_cmp_gt_u32_e64 s[28:29], s71, v28
	v_sub_u32_e32 v8, 0x79, v28
	v_cmp_eq_u32_e32 vcc, 0, v28
	v_cndmask_b32_e64 v8, 0, v8, s[28:29]
	v_mov_b32_e32 v22, 0x78
	v_cndmask_b32_e32 v31, v8, v22, vcc
	v_or_b32_e32 v9, 0x800000, v2
	v_add_u32_e32 v8, 20, v31
	v_cndmask_b32_e32 v2, v9, v2, vcc
	v_lshlrev_b64 v[8:9], v8, -1
	v_add_u32_e32 v22, 19, v31
	v_lshlrev_b64 v[34:35], v22, 1
	v_bfi_b32 v9, v9, 0, 0
	v_bfi_b32 v8, v8, 0, v2
	v_cmp_eq_u64_e64 s[28:29], v[8:9], v[34:35]
	v_lshrrev_b64 v[8:9], v31, v[2:3]
	v_mov_b32_e32 v41, v9
	v_mov_b32_e32 v40, v8
	s_and_saveexec_b64 s[48:49], s[28:29]
; %bb.1752:                             ;   in Loop: Header=BB4_1558 Depth=3
	v_bfe_u32 v2, v8, 20, 1
	v_add_co_u32_e64 v2, s[28:29], v8, v2
	v_add_co_u32_e64 v40, s[28:29], -1, v2
; %bb.1753:                             ;   in Loop: Header=BB4_1558 Depth=3
	s_or_b64 exec, exec, s[48:49]
	v_add_u32_e32 v2, 0xffffff81, v28
	v_mov_b32_e32 v9, 0xffffff82
	v_cndmask_b32_e32 v2, v2, v9, vcc
	v_lshrrev_b32_e32 v9, 23, v8
	v_add3_u32 v34, v31, v2, v9
	v_add_u32_e32 v31, 6, v34
	v_and_b32_e32 v2, 0xfffff, v40
	v_add_u32_e32 v2, v2, v8
	v_cmp_ne_u32_e32 vcc, 0, v31
                                        ; implicit-def: $vgpr8_vgpr9
                                        ; implicit-def: $vgpr28
	s_and_saveexec_b64 s[28:29], vcc
	s_xor_b64 s[28:29], exec, s[28:29]
; %bb.1754:                             ;   in Loop: Header=BB4_1558 Depth=3
	v_cmp_lt_u64_e32 vcc, s[74:75], v[2:3]
	v_add_u32_e32 v8, 7, v34
	v_cndmask_b32_e32 v28, v31, v8, vcc
	v_cndmask_b32_e64 v8, 0, 1, vcc
	v_lshrrev_b64 v[8:9], v8, v[2:3]
; %bb.1755:                             ;   in Loop: Header=BB4_1558 Depth=3
	s_andn2_saveexec_b64 s[28:29], s[28:29]
; %bb.1756:                             ;   in Loop: Header=BB4_1558 Depth=3
	v_mov_b32_e32 v9, v3
	v_bfe_u32 v28, v2, 23, 1
	v_mov_b32_e32 v8, v2
; %bb.1757:                             ;   in Loop: Header=BB4_1558 Depth=3
	s_or_b64 exec, exec, s[28:29]
	v_lshrrev_b64 v[8:9], 20, v[8:9]
	v_cmp_gt_i32_e32 vcc, 16, v28
	v_cndmask_b32_e32 v9, 0, v9, vcc
	v_cndmask_b32_e32 v8, 7, v8, vcc
	v_min_i32_e32 v2, 15, v28
	v_cmp_eq_u64_e64 s[28:29], 0, v[8:9]
	v_lshlrev_b32_e32 v2, 3, v2
	v_cmp_eq_u32_e32 vcc, 0, v28
	v_and_b32_e32 v2, 0xf8, v2
	v_and_or_b32 v2, v8, 7, v2
	s_and_b64 s[28:29], vcc, s[28:29]
	v_cndmask_b32_e64 v2, v2, 0, s[28:29]
	v_or_b32_e32 v28, v2, v29
.LBB4_1758:                             ;   in Loop: Header=BB4_1558 Depth=3
	s_or_b64 exec, exec, s[38:39]
                                        ; implicit-def: $vgpr29
.LBB4_1759:                             ;   in Loop: Header=BB4_1558 Depth=3
	s_andn2_saveexec_b64 s[28:29], s[36:37]
; %bb.1760:                             ;   in Loop: Header=BB4_1558 Depth=3
	v_or_b32_e32 v28, 0x7e, v29
; %bb.1761:                             ;   in Loop: Header=BB4_1558 Depth=3
	s_or_b64 exec, exec, s[28:29]
                                        ; implicit-def: $vgpr8
.LBB4_1762:                             ;   in Loop: Header=BB4_1558 Depth=3
	s_andn2_saveexec_b64 s[28:29], s[34:35]
; %bb.1763:                             ;   in Loop: Header=BB4_1558 Depth=3
	v_or_b32_sdwa v28, v8, s68 dst_sel:DWORD dst_unused:UNUSED_PAD src0_sel:BYTE_3 src1_sel:DWORD
; %bb.1764:                             ;   in Loop: Header=BB4_1558 Depth=3
	s_or_b64 exec, exec, s[28:29]
	v_lshrrev_b16_e32 v2, 8, v10
	v_cmp_ne_u16_e32 vcc, 0, v2
	v_mov_b32_e32 v8, 0
	s_and_saveexec_b64 s[28:29], vcc
	s_cbranch_execz .LBB4_1770
; %bb.1765:                             ;   in Loop: Header=BB4_1558 Depth=3
	v_cmp_ne_u16_e32 vcc, s70, v2
	v_bfrev_b32_e32 v8, 1
	s_and_saveexec_b64 s[34:35], vcc
	s_cbranch_execz .LBB4_1769
; %bb.1766:                             ;   in Loop: Header=BB4_1558 Depth=3
	v_and_b32_e32 v9, 0x7f, v2
	v_cmp_ne_u32_e32 vcc, s68, v9
	v_mov_b32_e32 v8, 0x7f800001
	s_and_saveexec_b64 s[36:37], vcc
	s_cbranch_execz .LBB4_1768
; %bb.1767:                             ;   in Loop: Header=BB4_1558 Depth=3
	v_and_b32_e32 v22, 7, v2
	v_ffbh_u32_e32 v8, v22
	v_min_u32_e32 v29, 32, v8
	v_subrev_u32_e32 v8, 28, v29
	v_lshrrev_b32_e32 v23, 3, v9
	v_cmp_gt_u32_e32 vcc, 8, v9
	v_lshlrev_b64 v[8:9], v8, v[2:3]
	v_sub_u32_e32 v2, 29, v29
	v_and_b32_e32 v8, 7, v8
	v_cndmask_b32_e32 v2, v23, v2, vcc
	v_cndmask_b32_e32 v8, v22, v8, vcc
	v_lshlrev_b32_e32 v9, 16, v10
	v_lshlrev_b32_e32 v8, 20, v8
	v_and_b32_e32 v9, 0x80000000, v9
	v_lshl_add_u32 v2, v2, 23, v5
	v_or3_b32 v8, v9, v2, v8
.LBB4_1768:                             ;   in Loop: Header=BB4_1558 Depth=3
	s_or_b64 exec, exec, s[36:37]
.LBB4_1769:                             ;   in Loop: Header=BB4_1558 Depth=3
	s_or_b64 exec, exec, s[34:35]
.LBB4_1770:                             ;   in Loop: Header=BB4_1558 Depth=3
	s_or_b64 exec, exec, s[28:29]
	v_mul_f32_e32 v8, v17, v8
	v_and_b32_e32 v2, 0x7f800000, v8
	v_cmp_ne_u64_e32 vcc, s[62:63], v[2:3]
                                        ; implicit-def: $vgpr29
	s_and_saveexec_b64 s[28:29], vcc
	s_xor_b64 s[34:35], exec, s[28:29]
	s_cbranch_execz .LBB4_1784
; %bb.1771:                             ;   in Loop: Header=BB4_1558 Depth=3
	v_and_b32_e32 v2, 0x7fffffff, v8
	v_cmp_gt_u64_e32 vcc, s[72:73], v[2:3]
	v_and_b32_sdwa v31, v8, s70 dst_sel:DWORD dst_unused:UNUSED_PAD src0_sel:BYTE_3 src1_sel:DWORD
                                        ; implicit-def: $vgpr29
	s_and_saveexec_b64 s[28:29], vcc
	s_xor_b64 s[36:37], exec, s[28:29]
	s_cbranch_execz .LBB4_1781
; %bb.1772:                             ;   in Loop: Header=BB4_1558 Depth=3
	v_mov_b32_e32 v29, 0
	v_cmp_ne_u32_e32 vcc, 0, v8
	s_and_saveexec_b64 s[38:39], vcc
	s_cbranch_execz .LBB4_1780
; %bb.1773:                             ;   in Loop: Header=BB4_1558 Depth=3
	v_bfe_u32 v29, v8, 23, 8
	v_and_b32_e32 v2, 0x7fffff, v8
	v_cmp_gt_u32_e64 s[28:29], s71, v29
	v_sub_u32_e32 v8, 0x79, v29
	v_cmp_eq_u32_e32 vcc, 0, v29
	v_cndmask_b32_e64 v8, 0, v8, s[28:29]
	v_mov_b32_e32 v22, 0x78
	v_cndmask_b32_e32 v34, v8, v22, vcc
	v_or_b32_e32 v9, 0x800000, v2
	v_add_u32_e32 v8, 20, v34
	v_cndmask_b32_e32 v2, v9, v2, vcc
	v_lshlrev_b64 v[8:9], v8, -1
	v_add_u32_e32 v22, 19, v34
	v_lshlrev_b64 v[35:36], v22, 1
	v_bfi_b32 v9, v9, 0, 0
	v_bfi_b32 v8, v8, 0, v2
	v_cmp_eq_u64_e64 s[28:29], v[8:9], v[35:36]
	v_lshrrev_b64 v[8:9], v34, v[2:3]
	v_mov_b32_e32 v41, v9
	v_mov_b32_e32 v40, v8
	s_and_saveexec_b64 s[48:49], s[28:29]
; %bb.1774:                             ;   in Loop: Header=BB4_1558 Depth=3
	v_bfe_u32 v2, v8, 20, 1
	v_add_co_u32_e64 v2, s[28:29], v8, v2
	v_add_co_u32_e64 v40, s[28:29], -1, v2
; %bb.1775:                             ;   in Loop: Header=BB4_1558 Depth=3
	s_or_b64 exec, exec, s[48:49]
	v_add_u32_e32 v2, 0xffffff81, v29
	v_mov_b32_e32 v9, 0xffffff82
	v_cndmask_b32_e32 v2, v2, v9, vcc
	v_lshrrev_b32_e32 v9, 23, v8
	v_add3_u32 v35, v34, v2, v9
	v_add_u32_e32 v34, 6, v35
	v_and_b32_e32 v2, 0xfffff, v40
	v_add_u32_e32 v2, v2, v8
	v_cmp_ne_u32_e32 vcc, 0, v34
                                        ; implicit-def: $vgpr8_vgpr9
                                        ; implicit-def: $vgpr29
	s_and_saveexec_b64 s[28:29], vcc
	s_xor_b64 s[28:29], exec, s[28:29]
; %bb.1776:                             ;   in Loop: Header=BB4_1558 Depth=3
	v_cmp_lt_u64_e32 vcc, s[74:75], v[2:3]
	v_add_u32_e32 v8, 7, v35
	v_cndmask_b32_e32 v29, v34, v8, vcc
	v_cndmask_b32_e64 v8, 0, 1, vcc
	v_lshrrev_b64 v[8:9], v8, v[2:3]
; %bb.1777:                             ;   in Loop: Header=BB4_1558 Depth=3
	s_andn2_saveexec_b64 s[28:29], s[28:29]
; %bb.1778:                             ;   in Loop: Header=BB4_1558 Depth=3
	v_mov_b32_e32 v9, v3
	v_bfe_u32 v29, v2, 23, 1
	v_mov_b32_e32 v8, v2
; %bb.1779:                             ;   in Loop: Header=BB4_1558 Depth=3
	s_or_b64 exec, exec, s[28:29]
	v_lshrrev_b64 v[8:9], 20, v[8:9]
	v_cmp_gt_i32_e32 vcc, 16, v29
	v_cndmask_b32_e32 v9, 0, v9, vcc
	v_cndmask_b32_e32 v8, 7, v8, vcc
	v_min_i32_e32 v2, 15, v29
	v_cmp_eq_u64_e64 s[28:29], 0, v[8:9]
	v_lshlrev_b32_e32 v2, 3, v2
	v_cmp_eq_u32_e32 vcc, 0, v29
	v_and_b32_e32 v2, 0xf8, v2
	v_and_or_b32 v2, v8, 7, v2
	s_and_b64 s[28:29], vcc, s[28:29]
	v_cndmask_b32_e64 v2, v2, 0, s[28:29]
	v_or_b32_e32 v29, v2, v31
.LBB4_1780:                             ;   in Loop: Header=BB4_1558 Depth=3
	s_or_b64 exec, exec, s[38:39]
                                        ; implicit-def: $vgpr31
.LBB4_1781:                             ;   in Loop: Header=BB4_1558 Depth=3
	s_andn2_saveexec_b64 s[28:29], s[36:37]
; %bb.1782:                             ;   in Loop: Header=BB4_1558 Depth=3
	v_or_b32_e32 v29, 0x7e, v31
; %bb.1783:                             ;   in Loop: Header=BB4_1558 Depth=3
	s_or_b64 exec, exec, s[28:29]
                                        ; implicit-def: $vgpr8
.LBB4_1784:                             ;   in Loop: Header=BB4_1558 Depth=3
	s_andn2_saveexec_b64 s[28:29], s[34:35]
; %bb.1785:                             ;   in Loop: Header=BB4_1558 Depth=3
	v_or_b32_sdwa v29, v8, s68 dst_sel:DWORD dst_unused:UNUSED_PAD src0_sel:BYTE_3 src1_sel:DWORD
; %bb.1786:                             ;   in Loop: Header=BB4_1558 Depth=3
	s_or_b64 exec, exec, s[28:29]
	v_lshrrev_b32_e32 v2, 16, v10
	v_cmp_ne_u16_sdwa vcc, v2, v3 src0_sel:BYTE_0 src1_sel:DWORD
	v_mov_b32_e32 v8, 0
	s_and_saveexec_b64 s[28:29], vcc
	s_cbranch_execz .LBB4_1792
; %bb.1787:                             ;   in Loop: Header=BB4_1558 Depth=3
	v_cmp_ne_u16_sdwa vcc, v2, s70 src0_sel:BYTE_0 src1_sel:DWORD
	v_bfrev_b32_e32 v8, 1
	s_and_saveexec_b64 s[34:35], vcc
	s_cbranch_execz .LBB4_1791
; %bb.1788:                             ;   in Loop: Header=BB4_1558 Depth=3
	v_bfe_u32 v9, v10, 16, 7
	v_cmp_ne_u32_e32 vcc, s68, v9
	v_mov_b32_e32 v8, 0x7f800001
	s_and_saveexec_b64 s[36:37], vcc
	s_cbranch_execz .LBB4_1790
; %bb.1789:                             ;   in Loop: Header=BB4_1558 Depth=3
	v_and_b32_e32 v22, 7, v2
	v_ffbh_u32_e32 v8, v22
	v_min_u32_e32 v30, 32, v8
	v_subrev_u32_e32 v8, 28, v30
	v_lshrrev_b32_e32 v23, 3, v9
	v_cmp_gt_u32_e32 vcc, 8, v9
	v_lshlrev_b64 v[8:9], v8, v[2:3]
	v_sub_u32_e32 v9, 29, v30
	v_and_b32_e32 v8, 7, v8
	v_cndmask_b32_e32 v9, v23, v9, vcc
	v_cndmask_b32_e32 v8, v22, v8, vcc
	v_lshlrev_b32_e32 v2, 24, v2
	v_lshlrev_b32_e32 v8, 20, v8
	v_and_b32_e32 v2, 0x80000000, v2
	v_lshl_add_u32 v9, v9, 23, v5
	v_or3_b32 v8, v2, v9, v8
.LBB4_1790:                             ;   in Loop: Header=BB4_1558 Depth=3
	s_or_b64 exec, exec, s[36:37]
.LBB4_1791:                             ;   in Loop: Header=BB4_1558 Depth=3
	s_or_b64 exec, exec, s[34:35]
.LBB4_1792:                             ;   in Loop: Header=BB4_1558 Depth=3
	s_or_b64 exec, exec, s[28:29]
	v_mul_f32_e32 v8, v17, v8
	v_and_b32_e32 v2, 0x7f800000, v8
	v_cmp_ne_u64_e32 vcc, s[62:63], v[2:3]
                                        ; implicit-def: $vgpr31
	s_and_saveexec_b64 s[28:29], vcc
	s_xor_b64 s[34:35], exec, s[28:29]
	s_cbranch_execz .LBB4_1806
; %bb.1793:                             ;   in Loop: Header=BB4_1558 Depth=3
	v_and_b32_e32 v2, 0x7fffffff, v8
	v_cmp_gt_u64_e32 vcc, s[72:73], v[2:3]
	v_and_b32_sdwa v34, v8, s70 dst_sel:DWORD dst_unused:UNUSED_PAD src0_sel:BYTE_3 src1_sel:DWORD
                                        ; implicit-def: $vgpr31
	s_and_saveexec_b64 s[28:29], vcc
	s_xor_b64 s[36:37], exec, s[28:29]
	s_cbranch_execz .LBB4_1803
; %bb.1794:                             ;   in Loop: Header=BB4_1558 Depth=3
	v_mov_b32_e32 v31, 0
	v_cmp_ne_u32_e32 vcc, 0, v8
	s_and_saveexec_b64 s[38:39], vcc
	s_cbranch_execz .LBB4_1802
; %bb.1795:                             ;   in Loop: Header=BB4_1558 Depth=3
	v_bfe_u32 v31, v8, 23, 8
	v_and_b32_e32 v2, 0x7fffff, v8
	v_cmp_gt_u32_e64 s[28:29], s71, v31
	v_sub_u32_e32 v8, 0x79, v31
	v_cmp_eq_u32_e32 vcc, 0, v31
	v_cndmask_b32_e64 v8, 0, v8, s[28:29]
	v_mov_b32_e32 v22, 0x78
	v_cndmask_b32_e32 v35, v8, v22, vcc
	v_or_b32_e32 v9, 0x800000, v2
	v_add_u32_e32 v8, 20, v35
	v_cndmask_b32_e32 v2, v9, v2, vcc
	v_lshlrev_b64 v[8:9], v8, -1
	v_add_u32_e32 v22, 19, v35
	v_lshlrev_b64 v[36:37], v22, 1
	v_bfi_b32 v9, v9, 0, 0
	v_bfi_b32 v8, v8, 0, v2
	v_cmp_eq_u64_e64 s[28:29], v[8:9], v[36:37]
	v_lshrrev_b64 v[8:9], v35, v[2:3]
	v_mov_b32_e32 v41, v9
	v_mov_b32_e32 v40, v8
	s_and_saveexec_b64 s[48:49], s[28:29]
; %bb.1796:                             ;   in Loop: Header=BB4_1558 Depth=3
	v_bfe_u32 v2, v8, 20, 1
	v_add_co_u32_e64 v2, s[28:29], v8, v2
	v_add_co_u32_e64 v40, s[28:29], -1, v2
; %bb.1797:                             ;   in Loop: Header=BB4_1558 Depth=3
	s_or_b64 exec, exec, s[48:49]
	v_add_u32_e32 v2, 0xffffff81, v31
	v_mov_b32_e32 v9, 0xffffff82
	v_cndmask_b32_e32 v2, v2, v9, vcc
	v_lshrrev_b32_e32 v9, 23, v8
	v_add3_u32 v36, v35, v2, v9
	v_add_u32_e32 v35, 6, v36
	v_and_b32_e32 v2, 0xfffff, v40
	v_add_u32_e32 v2, v2, v8
	v_cmp_ne_u32_e32 vcc, 0, v35
                                        ; implicit-def: $vgpr8_vgpr9
                                        ; implicit-def: $vgpr31
	s_and_saveexec_b64 s[28:29], vcc
	s_xor_b64 s[28:29], exec, s[28:29]
; %bb.1798:                             ;   in Loop: Header=BB4_1558 Depth=3
	v_cmp_lt_u64_e32 vcc, s[74:75], v[2:3]
	v_add_u32_e32 v8, 7, v36
	v_cndmask_b32_e32 v31, v35, v8, vcc
	v_cndmask_b32_e64 v8, 0, 1, vcc
	v_lshrrev_b64 v[8:9], v8, v[2:3]
; %bb.1799:                             ;   in Loop: Header=BB4_1558 Depth=3
	s_andn2_saveexec_b64 s[28:29], s[28:29]
; %bb.1800:                             ;   in Loop: Header=BB4_1558 Depth=3
	v_mov_b32_e32 v9, v3
	v_bfe_u32 v31, v2, 23, 1
	v_mov_b32_e32 v8, v2
; %bb.1801:                             ;   in Loop: Header=BB4_1558 Depth=3
	s_or_b64 exec, exec, s[28:29]
	v_lshrrev_b64 v[8:9], 20, v[8:9]
	v_cmp_gt_i32_e32 vcc, 16, v31
	v_cndmask_b32_e32 v9, 0, v9, vcc
	v_cndmask_b32_e32 v8, 7, v8, vcc
	v_min_i32_e32 v2, 15, v31
	v_cmp_eq_u64_e64 s[28:29], 0, v[8:9]
	v_lshlrev_b32_e32 v2, 3, v2
	v_cmp_eq_u32_e32 vcc, 0, v31
	v_and_b32_e32 v2, 0xf8, v2
	v_and_or_b32 v2, v8, 7, v2
	s_and_b64 s[28:29], vcc, s[28:29]
	v_cndmask_b32_e64 v2, v2, 0, s[28:29]
	v_or_b32_e32 v31, v2, v34
.LBB4_1802:                             ;   in Loop: Header=BB4_1558 Depth=3
	s_or_b64 exec, exec, s[38:39]
                                        ; implicit-def: $vgpr34
.LBB4_1803:                             ;   in Loop: Header=BB4_1558 Depth=3
	s_andn2_saveexec_b64 s[28:29], s[36:37]
; %bb.1804:                             ;   in Loop: Header=BB4_1558 Depth=3
	v_or_b32_e32 v31, 0x7e, v34
; %bb.1805:                             ;   in Loop: Header=BB4_1558 Depth=3
	s_or_b64 exec, exec, s[28:29]
                                        ; implicit-def: $vgpr8
.LBB4_1806:                             ;   in Loop: Header=BB4_1558 Depth=3
	s_andn2_saveexec_b64 s[28:29], s[34:35]
; %bb.1807:                             ;   in Loop: Header=BB4_1558 Depth=3
	v_or_b32_sdwa v31, v8, s68 dst_sel:DWORD dst_unused:UNUSED_PAD src0_sel:BYTE_3 src1_sel:DWORD
; %bb.1808:                             ;   in Loop: Header=BB4_1558 Depth=3
	s_or_b64 exec, exec, s[28:29]
	v_cmp_lt_u32_e32 vcc, s57, v10
	v_mov_b32_e32 v8, 0
	s_and_saveexec_b64 s[28:29], vcc
	s_cbranch_execz .LBB4_1814
; %bb.1809:                             ;   in Loop: Header=BB4_1558 Depth=3
	v_lshrrev_b32_e32 v2, 24, v10
	v_cmp_ne_u32_e32 vcc, s70, v2
	v_bfrev_b32_e32 v8, 1
	s_and_saveexec_b64 s[34:35], vcc
	s_cbranch_execz .LBB4_1813
; %bb.1810:                             ;   in Loop: Header=BB4_1558 Depth=3
	v_bfe_u32 v9, v10, 24, 7
	v_cmp_ne_u32_e32 vcc, s68, v9
	v_mov_b32_e32 v8, 0x7f800001
	s_and_saveexec_b64 s[36:37], vcc
	s_cbranch_execz .LBB4_1812
; %bb.1811:                             ;   in Loop: Header=BB4_1558 Depth=3
	v_and_b32_e32 v22, 7, v2
	v_ffbh_u32_e32 v8, v22
	v_min_u32_e32 v30, 32, v8
	v_subrev_u32_e32 v8, 28, v30
	v_lshrrev_b32_e32 v23, 3, v9
	v_cmp_gt_u32_e32 vcc, 8, v9
	v_lshlrev_b64 v[8:9], v8, v[2:3]
	v_sub_u32_e32 v9, 29, v30
	v_and_b32_e32 v8, 7, v8
	v_cndmask_b32_e32 v9, v23, v9, vcc
	v_cndmask_b32_e32 v8, v22, v8, vcc
	v_lshlrev_b32_e32 v2, 24, v2
	v_lshlrev_b32_e32 v8, 20, v8
	v_and_b32_e32 v2, 0x80000000, v2
	v_lshl_add_u32 v9, v9, 23, v5
	v_or3_b32 v8, v2, v9, v8
.LBB4_1812:                             ;   in Loop: Header=BB4_1558 Depth=3
	s_or_b64 exec, exec, s[36:37]
.LBB4_1813:                             ;   in Loop: Header=BB4_1558 Depth=3
	s_or_b64 exec, exec, s[34:35]
.LBB4_1814:                             ;   in Loop: Header=BB4_1558 Depth=3
	s_or_b64 exec, exec, s[28:29]
	v_mul_f32_e32 v8, v17, v8
	v_and_b32_e32 v2, 0x7f800000, v8
	v_cmp_ne_u64_e32 vcc, s[62:63], v[2:3]
                                        ; implicit-def: $vgpr34
	s_and_saveexec_b64 s[28:29], vcc
	s_xor_b64 s[34:35], exec, s[28:29]
	s_cbranch_execz .LBB4_1828
; %bb.1815:                             ;   in Loop: Header=BB4_1558 Depth=3
	v_and_b32_e32 v2, 0x7fffffff, v8
	v_cmp_gt_u64_e32 vcc, s[72:73], v[2:3]
	v_and_b32_sdwa v35, v8, s70 dst_sel:DWORD dst_unused:UNUSED_PAD src0_sel:BYTE_3 src1_sel:DWORD
                                        ; implicit-def: $vgpr34
	s_and_saveexec_b64 s[28:29], vcc
	s_xor_b64 s[36:37], exec, s[28:29]
	s_cbranch_execz .LBB4_1825
; %bb.1816:                             ;   in Loop: Header=BB4_1558 Depth=3
	v_mov_b32_e32 v34, 0
	v_cmp_ne_u32_e32 vcc, 0, v8
	s_and_saveexec_b64 s[38:39], vcc
	s_cbranch_execz .LBB4_1824
; %bb.1817:                             ;   in Loop: Header=BB4_1558 Depth=3
	v_bfe_u32 v34, v8, 23, 8
	v_and_b32_e32 v2, 0x7fffff, v8
	v_cmp_gt_u32_e64 s[28:29], s71, v34
	v_sub_u32_e32 v8, 0x79, v34
	v_cmp_eq_u32_e32 vcc, 0, v34
	v_cndmask_b32_e64 v8, 0, v8, s[28:29]
	v_mov_b32_e32 v22, 0x78
	v_cndmask_b32_e32 v36, v8, v22, vcc
	v_or_b32_e32 v9, 0x800000, v2
	v_add_u32_e32 v8, 20, v36
	v_cndmask_b32_e32 v2, v9, v2, vcc
	v_lshlrev_b64 v[8:9], v8, -1
	v_add_u32_e32 v22, 19, v36
	v_lshlrev_b64 v[37:38], v22, 1
	v_bfi_b32 v9, v9, 0, 0
	v_bfi_b32 v8, v8, 0, v2
	v_cmp_eq_u64_e64 s[28:29], v[8:9], v[37:38]
	v_lshrrev_b64 v[8:9], v36, v[2:3]
	v_mov_b32_e32 v41, v9
	v_mov_b32_e32 v40, v8
	s_and_saveexec_b64 s[48:49], s[28:29]
; %bb.1818:                             ;   in Loop: Header=BB4_1558 Depth=3
	v_bfe_u32 v2, v8, 20, 1
	v_add_co_u32_e64 v2, s[28:29], v8, v2
	v_add_co_u32_e64 v40, s[28:29], -1, v2
; %bb.1819:                             ;   in Loop: Header=BB4_1558 Depth=3
	s_or_b64 exec, exec, s[48:49]
	v_add_u32_e32 v2, 0xffffff81, v34
	v_mov_b32_e32 v9, 0xffffff82
	v_cndmask_b32_e32 v2, v2, v9, vcc
	v_lshrrev_b32_e32 v9, 23, v8
	v_add3_u32 v37, v36, v2, v9
	v_add_u32_e32 v36, 6, v37
	v_and_b32_e32 v2, 0xfffff, v40
	v_add_u32_e32 v2, v2, v8
	v_cmp_ne_u32_e32 vcc, 0, v36
                                        ; implicit-def: $vgpr8_vgpr9
                                        ; implicit-def: $vgpr34
	s_and_saveexec_b64 s[28:29], vcc
	s_xor_b64 s[28:29], exec, s[28:29]
; %bb.1820:                             ;   in Loop: Header=BB4_1558 Depth=3
	v_cmp_lt_u64_e32 vcc, s[74:75], v[2:3]
	v_add_u32_e32 v8, 7, v37
	v_cndmask_b32_e32 v34, v36, v8, vcc
	v_cndmask_b32_e64 v8, 0, 1, vcc
	v_lshrrev_b64 v[8:9], v8, v[2:3]
; %bb.1821:                             ;   in Loop: Header=BB4_1558 Depth=3
	s_andn2_saveexec_b64 s[28:29], s[28:29]
; %bb.1822:                             ;   in Loop: Header=BB4_1558 Depth=3
	v_mov_b32_e32 v9, v3
	v_bfe_u32 v34, v2, 23, 1
	v_mov_b32_e32 v8, v2
; %bb.1823:                             ;   in Loop: Header=BB4_1558 Depth=3
	s_or_b64 exec, exec, s[28:29]
	v_lshrrev_b64 v[8:9], 20, v[8:9]
	v_cmp_gt_i32_e32 vcc, 16, v34
	v_cndmask_b32_e32 v9, 0, v9, vcc
	v_cndmask_b32_e32 v8, 7, v8, vcc
	v_min_i32_e32 v2, 15, v34
	v_cmp_eq_u64_e64 s[28:29], 0, v[8:9]
	v_lshlrev_b32_e32 v2, 3, v2
	v_cmp_eq_u32_e32 vcc, 0, v34
	v_and_b32_e32 v2, 0xf8, v2
	v_and_or_b32 v2, v8, 7, v2
	s_and_b64 s[28:29], vcc, s[28:29]
	v_cndmask_b32_e64 v2, v2, 0, s[28:29]
	v_or_b32_e32 v34, v2, v35
.LBB4_1824:                             ;   in Loop: Header=BB4_1558 Depth=3
	s_or_b64 exec, exec, s[38:39]
                                        ; implicit-def: $vgpr35
.LBB4_1825:                             ;   in Loop: Header=BB4_1558 Depth=3
	s_andn2_saveexec_b64 s[28:29], s[36:37]
; %bb.1826:                             ;   in Loop: Header=BB4_1558 Depth=3
	v_or_b32_e32 v34, 0x7e, v35
; %bb.1827:                             ;   in Loop: Header=BB4_1558 Depth=3
	s_or_b64 exec, exec, s[28:29]
                                        ; implicit-def: $vgpr8
.LBB4_1828:                             ;   in Loop: Header=BB4_1558 Depth=3
	s_andn2_saveexec_b64 s[28:29], s[34:35]
; %bb.1829:                             ;   in Loop: Header=BB4_1558 Depth=3
	v_or_b32_sdwa v34, v8, s68 dst_sel:DWORD dst_unused:UNUSED_PAD src0_sel:BYTE_3 src1_sel:DWORD
; %bb.1830:                             ;   in Loop: Header=BB4_1558 Depth=3
	s_or_b64 exec, exec, s[28:29]
	v_mov_b32_e32 v2, v11
	v_cmp_ne_u16_sdwa vcc, v11, v3 src0_sel:BYTE_0 src1_sel:DWORD
	v_mov_b32_e32 v8, 0
	s_and_saveexec_b64 s[28:29], vcc
	s_cbranch_execz .LBB4_1836
; %bb.1831:                             ;   in Loop: Header=BB4_1558 Depth=3
	v_cmp_ne_u16_sdwa vcc, v11, s70 src0_sel:BYTE_0 src1_sel:DWORD
	v_bfrev_b32_e32 v8, 1
	s_and_saveexec_b64 s[34:35], vcc
	s_cbranch_execz .LBB4_1835
; %bb.1832:                             ;   in Loop: Header=BB4_1558 Depth=3
	v_and_b32_e32 v9, 0x7f, v11
	v_cmp_ne_u32_e32 vcc, s68, v9
	v_mov_b32_e32 v8, 0x7f800001
	s_and_saveexec_b64 s[36:37], vcc
	s_cbranch_execz .LBB4_1834
; %bb.1833:                             ;   in Loop: Header=BB4_1558 Depth=3
	v_and_b32_e32 v8, 7, v11
	v_ffbh_u32_e32 v8, v8
	v_min_u32_e32 v8, 32, v8
	v_lshrrev_b32_e32 v22, 3, v9
	v_cmp_gt_u32_e32 vcc, 8, v9
	v_subrev_u32_e32 v9, 28, v8
	v_sub_u32_e32 v8, 29, v8
	v_cndmask_b32_e32 v22, v22, v8, vcc
	v_cndmask_b32_e32 v8, 0, v9, vcc
	v_lshlrev_b64 v[8:9], v8, v[2:3]
	v_lshlrev_b32_e32 v9, 24, v2
	v_lshlrev_b32_e32 v8, 20, v8
	v_and_b32_e32 v8, 0x700000, v8
	v_and_b32_e32 v9, 0x80000000, v9
	v_lshl_add_u32 v22, v22, 23, v5
	v_or3_b32 v8, v9, v22, v8
.LBB4_1834:                             ;   in Loop: Header=BB4_1558 Depth=3
	s_or_b64 exec, exec, s[36:37]
.LBB4_1835:                             ;   in Loop: Header=BB4_1558 Depth=3
	s_or_b64 exec, exec, s[34:35]
.LBB4_1836:                             ;   in Loop: Header=BB4_1558 Depth=3
	s_or_b64 exec, exec, s[28:29]
	v_mul_f32_e32 v8, v17, v8
	v_and_b32_e32 v35, 0x7f800000, v8
	v_mov_b32_e32 v36, v3
	v_cmp_ne_u64_e32 vcc, s[62:63], v[35:36]
                                        ; implicit-def: $vgpr35
	s_and_saveexec_b64 s[28:29], vcc
	s_xor_b64 s[34:35], exec, s[28:29]
	s_cbranch_execz .LBB4_1850
; %bb.1837:                             ;   in Loop: Header=BB4_1558 Depth=3
	v_and_b32_e32 v35, 0x7fffffff, v8
	v_mov_b32_e32 v36, v3
	v_cmp_gt_u64_e32 vcc, s[72:73], v[35:36]
	v_and_b32_sdwa v36, v8, s70 dst_sel:DWORD dst_unused:UNUSED_PAD src0_sel:BYTE_3 src1_sel:DWORD
                                        ; implicit-def: $vgpr35
	s_and_saveexec_b64 s[28:29], vcc
	s_xor_b64 s[36:37], exec, s[28:29]
	s_cbranch_execz .LBB4_1847
; %bb.1838:                             ;   in Loop: Header=BB4_1558 Depth=3
	v_mov_b32_e32 v35, 0
	v_cmp_ne_u32_e32 vcc, 0, v8
	s_and_saveexec_b64 s[38:39], vcc
	s_cbranch_execz .LBB4_1846
; %bb.1839:                             ;   in Loop: Header=BB4_1558 Depth=3
	v_bfe_u32 v35, v8, 23, 8
	v_and_b32_e32 v9, 0x7fffff, v8
	v_cmp_gt_u32_e64 s[28:29], s71, v35
	v_sub_u32_e32 v8, 0x79, v35
	v_cmp_eq_u32_e32 vcc, 0, v35
	v_cndmask_b32_e64 v8, 0, v8, s[28:29]
	v_mov_b32_e32 v23, 0x78
	v_or_b32_e32 v22, 0x800000, v9
	v_cndmask_b32_e32 v37, v8, v23, vcc
	v_cndmask_b32_e32 v8, v22, v9, vcc
	v_add_u32_e32 v22, 20, v37
	v_lshlrev_b64 v[38:39], v22, -1
	v_mov_b32_e32 v9, v3
	v_add_u32_e32 v22, 19, v37
	v_bfi_b32 v38, v38, 0, v8
	v_lshlrev_b64 v[48:49], v22, 1
	v_lshrrev_b64 v[8:9], v37, v[8:9]
	v_bfi_b32 v39, v39, 0, 0
	v_cmp_eq_u64_e64 s[28:29], v[38:39], v[48:49]
	v_mov_b32_e32 v41, v9
	v_mov_b32_e32 v40, v8
	s_and_saveexec_b64 s[48:49], s[28:29]
; %bb.1840:                             ;   in Loop: Header=BB4_1558 Depth=3
	v_bfe_u32 v9, v8, 20, 1
	v_add_co_u32_e64 v9, s[28:29], v8, v9
	v_add_co_u32_e64 v40, s[28:29], -1, v9
; %bb.1841:                             ;   in Loop: Header=BB4_1558 Depth=3
	s_or_b64 exec, exec, s[48:49]
	v_add_u32_e32 v9, 0xffffff81, v35
	v_mov_b32_e32 v22, 0xffffff82
	v_cndmask_b32_e32 v9, v9, v22, vcc
	v_lshrrev_b32_e32 v22, 23, v8
	v_add3_u32 v38, v37, v9, v22
	v_add_u32_e32 v37, 6, v38
	v_and_b32_e32 v9, 0xfffff, v40
	v_add_u32_e32 v8, v9, v8
	v_mov_b32_e32 v9, v3
	v_cmp_ne_u32_e32 vcc, 0, v37
                                        ; implicit-def: $vgpr35
	s_and_saveexec_b64 s[28:29], vcc
	s_xor_b64 s[28:29], exec, s[28:29]
; %bb.1842:                             ;   in Loop: Header=BB4_1558 Depth=3
	v_cmp_lt_u64_e32 vcc, s[74:75], v[8:9]
	v_add_u32_e32 v22, 7, v38
	v_cndmask_b32_e32 v35, v37, v22, vcc
	v_cndmask_b32_e64 v22, 0, 1, vcc
	v_lshrrev_b64 v[8:9], v22, v[8:9]
; %bb.1843:                             ;   in Loop: Header=BB4_1558 Depth=3
	s_andn2_saveexec_b64 s[28:29], s[28:29]
; %bb.1844:                             ;   in Loop: Header=BB4_1558 Depth=3
	v_bfe_u32 v35, v8, 23, 1
; %bb.1845:                             ;   in Loop: Header=BB4_1558 Depth=3
	s_or_b64 exec, exec, s[28:29]
	v_lshrrev_b64 v[8:9], 20, v[8:9]
	v_cmp_gt_i32_e32 vcc, 16, v35
	v_cndmask_b32_e32 v9, 0, v9, vcc
	v_cndmask_b32_e32 v8, 7, v8, vcc
	v_cmp_eq_u64_e64 s[28:29], 0, v[8:9]
	v_min_i32_e32 v9, 15, v35
	v_lshlrev_b32_e32 v9, 3, v9
	v_cmp_eq_u32_e32 vcc, 0, v35
	v_and_b32_e32 v9, 0xf8, v9
	v_and_or_b32 v8, v8, 7, v9
	s_and_b64 s[28:29], vcc, s[28:29]
	v_cndmask_b32_e64 v8, v8, 0, s[28:29]
	v_or_b32_e32 v35, v8, v36
.LBB4_1846:                             ;   in Loop: Header=BB4_1558 Depth=3
	s_or_b64 exec, exec, s[38:39]
                                        ; implicit-def: $vgpr36
.LBB4_1847:                             ;   in Loop: Header=BB4_1558 Depth=3
	s_andn2_saveexec_b64 s[28:29], s[36:37]
; %bb.1848:                             ;   in Loop: Header=BB4_1558 Depth=3
	v_or_b32_e32 v35, 0x7e, v36
; %bb.1849:                             ;   in Loop: Header=BB4_1558 Depth=3
	s_or_b64 exec, exec, s[28:29]
                                        ; implicit-def: $vgpr8
.LBB4_1850:                             ;   in Loop: Header=BB4_1558 Depth=3
	s_andn2_saveexec_b64 s[28:29], s[34:35]
; %bb.1851:                             ;   in Loop: Header=BB4_1558 Depth=3
	v_or_b32_sdwa v35, v8, s68 dst_sel:DWORD dst_unused:UNUSED_PAD src0_sel:BYTE_3 src1_sel:DWORD
; %bb.1852:                             ;   in Loop: Header=BB4_1558 Depth=3
	s_or_b64 exec, exec, s[28:29]
	v_lshrrev_b16_e32 v8, 8, v2
	v_cmp_ne_u16_e32 vcc, 0, v8
	v_mov_b32_e32 v9, 0
	s_and_saveexec_b64 s[28:29], vcc
	s_cbranch_execz .LBB4_1858
; %bb.1853:                             ;   in Loop: Header=BB4_1558 Depth=3
	v_cmp_ne_u16_e32 vcc, s70, v8
	v_bfrev_b32_e32 v9, 1
	s_and_saveexec_b64 s[34:35], vcc
	s_cbranch_execz .LBB4_1857
; %bb.1854:                             ;   in Loop: Header=BB4_1558 Depth=3
	v_and_b32_e32 v36, 0x7f, v8
	v_cmp_ne_u32_e32 vcc, s68, v36
	v_mov_b32_e32 v9, 0x7f800001
	s_and_saveexec_b64 s[36:37], vcc
	s_cbranch_execz .LBB4_1856
; %bb.1855:                             ;   in Loop: Header=BB4_1558 Depth=3
	v_and_b32_e32 v22, 7, v8
	v_ffbh_u32_e32 v9, v22
	v_min_u32_e32 v30, 32, v9
	v_subrev_u32_e32 v9, 28, v30
	v_lshlrev_b64 v[8:9], v9, v[8:9]
	v_lshrrev_b32_e32 v23, 3, v36
	v_cmp_gt_u32_e32 vcc, 8, v36
	v_sub_u32_e32 v9, 29, v30
	v_and_b32_e32 v8, 7, v8
	v_cndmask_b32_e32 v9, v23, v9, vcc
	v_cndmask_b32_e32 v8, v22, v8, vcc
	v_lshlrev_b32_e32 v2, 16, v2
	v_lshlrev_b32_e32 v8, 20, v8
	v_and_b32_e32 v2, 0x80000000, v2
	v_lshl_add_u32 v9, v9, 23, v5
	v_or3_b32 v9, v2, v9, v8
.LBB4_1856:                             ;   in Loop: Header=BB4_1558 Depth=3
	s_or_b64 exec, exec, s[36:37]
.LBB4_1857:                             ;   in Loop: Header=BB4_1558 Depth=3
	s_or_b64 exec, exec, s[34:35]
.LBB4_1858:                             ;   in Loop: Header=BB4_1558 Depth=3
	s_or_b64 exec, exec, s[28:29]
	v_mul_f32_e32 v8, v17, v9
	v_and_b32_e32 v2, 0x7f800000, v8
	v_cmp_ne_u64_e32 vcc, s[62:63], v[2:3]
                                        ; implicit-def: $vgpr36
	s_and_saveexec_b64 s[28:29], vcc
	s_xor_b64 s[34:35], exec, s[28:29]
	s_cbranch_execz .LBB4_1872
; %bb.1859:                             ;   in Loop: Header=BB4_1558 Depth=3
	v_and_b32_e32 v2, 0x7fffffff, v8
	v_cmp_gt_u64_e32 vcc, s[72:73], v[2:3]
	v_and_b32_sdwa v37, v8, s70 dst_sel:DWORD dst_unused:UNUSED_PAD src0_sel:BYTE_3 src1_sel:DWORD
                                        ; implicit-def: $vgpr36
	s_and_saveexec_b64 s[28:29], vcc
	s_xor_b64 s[36:37], exec, s[28:29]
	s_cbranch_execz .LBB4_1869
; %bb.1860:                             ;   in Loop: Header=BB4_1558 Depth=3
	v_mov_b32_e32 v36, 0
	v_cmp_ne_u32_e32 vcc, 0, v8
	s_and_saveexec_b64 s[38:39], vcc
	s_cbranch_execz .LBB4_1868
; %bb.1861:                             ;   in Loop: Header=BB4_1558 Depth=3
	v_bfe_u32 v36, v8, 23, 8
	v_and_b32_e32 v2, 0x7fffff, v8
	v_cmp_gt_u32_e64 s[28:29], s71, v36
	v_sub_u32_e32 v8, 0x79, v36
	v_cmp_eq_u32_e32 vcc, 0, v36
	v_cndmask_b32_e64 v8, 0, v8, s[28:29]
	v_mov_b32_e32 v22, 0x78
	v_cndmask_b32_e32 v38, v8, v22, vcc
	v_or_b32_e32 v9, 0x800000, v2
	v_add_u32_e32 v8, 20, v38
	v_cndmask_b32_e32 v2, v9, v2, vcc
	v_lshlrev_b64 v[8:9], v8, -1
	v_add_u32_e32 v22, 19, v38
	v_lshlrev_b64 v[48:49], v22, 1
	v_bfi_b32 v9, v9, 0, 0
	v_bfi_b32 v8, v8, 0, v2
	v_cmp_eq_u64_e64 s[28:29], v[8:9], v[48:49]
	v_lshrrev_b64 v[8:9], v38, v[2:3]
	v_mov_b32_e32 v41, v9
	v_mov_b32_e32 v40, v8
	s_and_saveexec_b64 s[48:49], s[28:29]
; %bb.1862:                             ;   in Loop: Header=BB4_1558 Depth=3
	v_bfe_u32 v2, v8, 20, 1
	v_add_co_u32_e64 v2, s[28:29], v8, v2
	v_add_co_u32_e64 v40, s[28:29], -1, v2
; %bb.1863:                             ;   in Loop: Header=BB4_1558 Depth=3
	s_or_b64 exec, exec, s[48:49]
	v_add_u32_e32 v2, 0xffffff81, v36
	v_mov_b32_e32 v9, 0xffffff82
	v_cndmask_b32_e32 v2, v2, v9, vcc
	v_lshrrev_b32_e32 v9, 23, v8
	v_add3_u32 v39, v38, v2, v9
	v_add_u32_e32 v38, 6, v39
	v_and_b32_e32 v2, 0xfffff, v40
	v_add_u32_e32 v2, v2, v8
	v_cmp_ne_u32_e32 vcc, 0, v38
                                        ; implicit-def: $vgpr8_vgpr9
                                        ; implicit-def: $vgpr36
	s_and_saveexec_b64 s[28:29], vcc
	s_xor_b64 s[28:29], exec, s[28:29]
; %bb.1864:                             ;   in Loop: Header=BB4_1558 Depth=3
	v_cmp_lt_u64_e32 vcc, s[74:75], v[2:3]
	v_add_u32_e32 v8, 7, v39
	v_cndmask_b32_e32 v36, v38, v8, vcc
	v_cndmask_b32_e64 v8, 0, 1, vcc
	v_lshrrev_b64 v[8:9], v8, v[2:3]
; %bb.1865:                             ;   in Loop: Header=BB4_1558 Depth=3
	s_andn2_saveexec_b64 s[28:29], s[28:29]
; %bb.1866:                             ;   in Loop: Header=BB4_1558 Depth=3
	v_mov_b32_e32 v9, v3
	v_bfe_u32 v36, v2, 23, 1
	v_mov_b32_e32 v8, v2
; %bb.1867:                             ;   in Loop: Header=BB4_1558 Depth=3
	s_or_b64 exec, exec, s[28:29]
	v_lshrrev_b64 v[8:9], 20, v[8:9]
	v_cmp_gt_i32_e32 vcc, 16, v36
	v_cndmask_b32_e32 v9, 0, v9, vcc
	v_cndmask_b32_e32 v8, 7, v8, vcc
	v_min_i32_e32 v2, 15, v36
	v_cmp_eq_u64_e64 s[28:29], 0, v[8:9]
	v_lshlrev_b32_e32 v2, 3, v2
	v_cmp_eq_u32_e32 vcc, 0, v36
	v_and_b32_e32 v2, 0xf8, v2
	v_and_or_b32 v2, v8, 7, v2
	s_and_b64 s[28:29], vcc, s[28:29]
	v_cndmask_b32_e64 v2, v2, 0, s[28:29]
	v_or_b32_e32 v36, v2, v37
.LBB4_1868:                             ;   in Loop: Header=BB4_1558 Depth=3
	s_or_b64 exec, exec, s[38:39]
                                        ; implicit-def: $vgpr37
.LBB4_1869:                             ;   in Loop: Header=BB4_1558 Depth=3
	s_andn2_saveexec_b64 s[28:29], s[36:37]
; %bb.1870:                             ;   in Loop: Header=BB4_1558 Depth=3
	v_or_b32_e32 v36, 0x7e, v37
; %bb.1871:                             ;   in Loop: Header=BB4_1558 Depth=3
	s_or_b64 exec, exec, s[28:29]
                                        ; implicit-def: $vgpr8
.LBB4_1872:                             ;   in Loop: Header=BB4_1558 Depth=3
	s_andn2_saveexec_b64 s[28:29], s[34:35]
; %bb.1873:                             ;   in Loop: Header=BB4_1558 Depth=3
	v_or_b32_sdwa v36, v8, s68 dst_sel:DWORD dst_unused:UNUSED_PAD src0_sel:BYTE_3 src1_sel:DWORD
; %bb.1874:                             ;   in Loop: Header=BB4_1558 Depth=3
	s_or_b64 exec, exec, s[28:29]
	v_lshrrev_b32_e32 v2, 16, v11
	v_cmp_ne_u16_sdwa vcc, v2, v3 src0_sel:BYTE_0 src1_sel:DWORD
	v_mov_b32_e32 v8, 0
	s_and_saveexec_b64 s[28:29], vcc
	s_cbranch_execz .LBB4_1880
; %bb.1875:                             ;   in Loop: Header=BB4_1558 Depth=3
	v_cmp_ne_u16_sdwa vcc, v2, s70 src0_sel:BYTE_0 src1_sel:DWORD
	v_bfrev_b32_e32 v8, 1
	s_and_saveexec_b64 s[34:35], vcc
	s_cbranch_execz .LBB4_1879
; %bb.1876:                             ;   in Loop: Header=BB4_1558 Depth=3
	v_bfe_u32 v9, v11, 16, 7
	v_cmp_ne_u32_e32 vcc, s68, v9
	v_mov_b32_e32 v8, 0x7f800001
	s_and_saveexec_b64 s[36:37], vcc
	s_cbranch_execz .LBB4_1878
; %bb.1877:                             ;   in Loop: Header=BB4_1558 Depth=3
	v_and_b32_e32 v22, 7, v2
	v_ffbh_u32_e32 v8, v22
	v_min_u32_e32 v30, 32, v8
	v_subrev_u32_e32 v8, 28, v30
	v_lshrrev_b32_e32 v23, 3, v9
	v_cmp_gt_u32_e32 vcc, 8, v9
	v_lshlrev_b64 v[8:9], v8, v[2:3]
	v_sub_u32_e32 v9, 29, v30
	v_and_b32_e32 v8, 7, v8
	v_cndmask_b32_e32 v9, v23, v9, vcc
	v_cndmask_b32_e32 v8, v22, v8, vcc
	v_lshlrev_b32_e32 v2, 24, v2
	v_lshlrev_b32_e32 v8, 20, v8
	v_and_b32_e32 v2, 0x80000000, v2
	v_lshl_add_u32 v9, v9, 23, v5
	v_or3_b32 v8, v2, v9, v8
.LBB4_1878:                             ;   in Loop: Header=BB4_1558 Depth=3
	s_or_b64 exec, exec, s[36:37]
.LBB4_1879:                             ;   in Loop: Header=BB4_1558 Depth=3
	s_or_b64 exec, exec, s[34:35]
.LBB4_1880:                             ;   in Loop: Header=BB4_1558 Depth=3
	s_or_b64 exec, exec, s[28:29]
	v_mul_f32_e32 v8, v17, v8
	v_and_b32_e32 v2, 0x7f800000, v8
	v_cmp_ne_u64_e32 vcc, s[62:63], v[2:3]
                                        ; implicit-def: $vgpr37
	s_and_saveexec_b64 s[28:29], vcc
	s_xor_b64 s[34:35], exec, s[28:29]
	s_cbranch_execz .LBB4_1894
; %bb.1881:                             ;   in Loop: Header=BB4_1558 Depth=3
	v_and_b32_e32 v2, 0x7fffffff, v8
	v_cmp_gt_u64_e32 vcc, s[72:73], v[2:3]
	v_and_b32_sdwa v38, v8, s70 dst_sel:DWORD dst_unused:UNUSED_PAD src0_sel:BYTE_3 src1_sel:DWORD
                                        ; implicit-def: $vgpr37
	s_and_saveexec_b64 s[28:29], vcc
	s_xor_b64 s[36:37], exec, s[28:29]
	s_cbranch_execz .LBB4_1891
; %bb.1882:                             ;   in Loop: Header=BB4_1558 Depth=3
	v_mov_b32_e32 v37, 0
	v_cmp_ne_u32_e32 vcc, 0, v8
	s_and_saveexec_b64 s[38:39], vcc
	s_cbranch_execz .LBB4_1890
; %bb.1883:                             ;   in Loop: Header=BB4_1558 Depth=3
	v_bfe_u32 v37, v8, 23, 8
	v_and_b32_e32 v2, 0x7fffff, v8
	v_cmp_gt_u32_e64 s[28:29], s71, v37
	v_sub_u32_e32 v8, 0x79, v37
	v_cmp_eq_u32_e32 vcc, 0, v37
	v_cndmask_b32_e64 v8, 0, v8, s[28:29]
	v_mov_b32_e32 v22, 0x78
	v_cndmask_b32_e32 v39, v8, v22, vcc
	v_or_b32_e32 v9, 0x800000, v2
	v_add_u32_e32 v8, 20, v39
	v_cndmask_b32_e32 v2, v9, v2, vcc
	v_lshlrev_b64 v[8:9], v8, -1
	v_add_u32_e32 v22, 19, v39
	v_lshlrev_b64 v[48:49], v22, 1
	v_bfi_b32 v9, v9, 0, 0
	v_bfi_b32 v8, v8, 0, v2
	v_cmp_eq_u64_e64 s[28:29], v[8:9], v[48:49]
	v_lshrrev_b64 v[8:9], v39, v[2:3]
	v_mov_b32_e32 v41, v9
	v_mov_b32_e32 v40, v8
	s_and_saveexec_b64 s[48:49], s[28:29]
; %bb.1884:                             ;   in Loop: Header=BB4_1558 Depth=3
	v_bfe_u32 v2, v8, 20, 1
	v_add_co_u32_e64 v2, s[28:29], v8, v2
	v_add_co_u32_e64 v40, s[28:29], -1, v2
; %bb.1885:                             ;   in Loop: Header=BB4_1558 Depth=3
	s_or_b64 exec, exec, s[48:49]
	v_add_u32_e32 v2, 0xffffff81, v37
	v_mov_b32_e32 v9, 0xffffff82
	v_cndmask_b32_e32 v2, v2, v9, vcc
	v_lshrrev_b32_e32 v9, 23, v8
	v_add3_u32 v48, v39, v2, v9
	v_add_u32_e32 v39, 6, v48
	v_and_b32_e32 v2, 0xfffff, v40
	v_add_u32_e32 v2, v2, v8
	v_cmp_ne_u32_e32 vcc, 0, v39
                                        ; implicit-def: $vgpr8_vgpr9
                                        ; implicit-def: $vgpr37
	s_and_saveexec_b64 s[28:29], vcc
	s_xor_b64 s[28:29], exec, s[28:29]
; %bb.1886:                             ;   in Loop: Header=BB4_1558 Depth=3
	v_cmp_lt_u64_e32 vcc, s[74:75], v[2:3]
	v_add_u32_e32 v8, 7, v48
	v_cndmask_b32_e32 v37, v39, v8, vcc
	v_cndmask_b32_e64 v8, 0, 1, vcc
	v_lshrrev_b64 v[8:9], v8, v[2:3]
; %bb.1887:                             ;   in Loop: Header=BB4_1558 Depth=3
	s_andn2_saveexec_b64 s[28:29], s[28:29]
; %bb.1888:                             ;   in Loop: Header=BB4_1558 Depth=3
	v_mov_b32_e32 v9, v3
	v_bfe_u32 v37, v2, 23, 1
	v_mov_b32_e32 v8, v2
; %bb.1889:                             ;   in Loop: Header=BB4_1558 Depth=3
	s_or_b64 exec, exec, s[28:29]
	v_lshrrev_b64 v[8:9], 20, v[8:9]
	v_cmp_gt_i32_e32 vcc, 16, v37
	v_cndmask_b32_e32 v9, 0, v9, vcc
	v_cndmask_b32_e32 v8, 7, v8, vcc
	v_min_i32_e32 v2, 15, v37
	v_cmp_eq_u64_e64 s[28:29], 0, v[8:9]
	v_lshlrev_b32_e32 v2, 3, v2
	v_cmp_eq_u32_e32 vcc, 0, v37
	v_and_b32_e32 v2, 0xf8, v2
	v_and_or_b32 v2, v8, 7, v2
	s_and_b64 s[28:29], vcc, s[28:29]
	v_cndmask_b32_e64 v2, v2, 0, s[28:29]
	v_or_b32_e32 v37, v2, v38
.LBB4_1890:                             ;   in Loop: Header=BB4_1558 Depth=3
	s_or_b64 exec, exec, s[38:39]
                                        ; implicit-def: $vgpr38
.LBB4_1891:                             ;   in Loop: Header=BB4_1558 Depth=3
	s_andn2_saveexec_b64 s[28:29], s[36:37]
; %bb.1892:                             ;   in Loop: Header=BB4_1558 Depth=3
	v_or_b32_e32 v37, 0x7e, v38
; %bb.1893:                             ;   in Loop: Header=BB4_1558 Depth=3
	s_or_b64 exec, exec, s[28:29]
                                        ; implicit-def: $vgpr8
.LBB4_1894:                             ;   in Loop: Header=BB4_1558 Depth=3
	s_andn2_saveexec_b64 s[28:29], s[34:35]
; %bb.1895:                             ;   in Loop: Header=BB4_1558 Depth=3
	v_or_b32_sdwa v37, v8, s68 dst_sel:DWORD dst_unused:UNUSED_PAD src0_sel:BYTE_3 src1_sel:DWORD
; %bb.1896:                             ;   in Loop: Header=BB4_1558 Depth=3
	s_or_b64 exec, exec, s[28:29]
	v_cmp_lt_u64_e32 vcc, s[56:57], v[10:11]
	v_mov_b32_e32 v8, 0
	s_and_saveexec_b64 s[28:29], vcc
	s_cbranch_execz .LBB4_1902
; %bb.1897:                             ;   in Loop: Header=BB4_1558 Depth=3
	v_lshrrev_b32_e32 v2, 24, v11
	v_cmp_ne_u32_e32 vcc, s70, v2
	v_bfrev_b32_e32 v8, 1
	s_and_saveexec_b64 s[34:35], vcc
	s_cbranch_execz .LBB4_1901
; %bb.1898:                             ;   in Loop: Header=BB4_1558 Depth=3
	v_bfe_u32 v9, v11, 24, 7
	v_cmp_ne_u32_e32 vcc, s68, v9
	v_mov_b32_e32 v8, 0x7f800001
	s_and_saveexec_b64 s[36:37], vcc
	s_cbranch_execz .LBB4_1900
; %bb.1899:                             ;   in Loop: Header=BB4_1558 Depth=3
	v_and_b32_e32 v10, 7, v2
	v_ffbh_u32_e32 v8, v10
	v_min_u32_e32 v22, 32, v8
	v_subrev_u32_e32 v8, 28, v22
	v_lshrrev_b32_e32 v11, 3, v9
	v_cmp_gt_u32_e32 vcc, 8, v9
	v_lshlrev_b64 v[8:9], v8, v[2:3]
	v_sub_u32_e32 v9, 29, v22
	v_and_b32_e32 v8, 7, v8
	v_cndmask_b32_e32 v9, v11, v9, vcc
	v_cndmask_b32_e32 v8, v10, v8, vcc
	v_lshlrev_b32_e32 v2, 24, v2
	v_lshlrev_b32_e32 v8, 20, v8
	v_and_b32_e32 v2, 0x80000000, v2
	v_lshl_add_u32 v9, v9, 23, v5
	v_or3_b32 v8, v2, v9, v8
.LBB4_1900:                             ;   in Loop: Header=BB4_1558 Depth=3
	s_or_b64 exec, exec, s[36:37]
.LBB4_1901:                             ;   in Loop: Header=BB4_1558 Depth=3
	s_or_b64 exec, exec, s[34:35]
.LBB4_1902:                             ;   in Loop: Header=BB4_1558 Depth=3
	s_or_b64 exec, exec, s[28:29]
	v_mul_f32_e32 v8, v17, v8
	v_and_b32_e32 v2, 0x7f800000, v8
	v_cmp_ne_u64_e32 vcc, s[62:63], v[2:3]
                                        ; implicit-def: $vgpr2
	s_and_saveexec_b64 s[28:29], vcc
	s_xor_b64 s[34:35], exec, s[28:29]
	s_cbranch_execz .LBB4_1916
; %bb.1903:                             ;   in Loop: Header=BB4_1558 Depth=3
	v_and_b32_e32 v2, 0x7fffffff, v8
	v_cmp_gt_u64_e32 vcc, s[72:73], v[2:3]
	v_and_b32_sdwa v11, v8, s70 dst_sel:DWORD dst_unused:UNUSED_PAD src0_sel:BYTE_3 src1_sel:DWORD
                                        ; implicit-def: $vgpr2
	s_and_saveexec_b64 s[28:29], vcc
	s_xor_b64 s[36:37], exec, s[28:29]
	s_cbranch_execz .LBB4_1913
; %bb.1904:                             ;   in Loop: Header=BB4_1558 Depth=3
	v_mov_b32_e32 v2, 0
	v_cmp_ne_u32_e32 vcc, 0, v8
	s_and_saveexec_b64 s[38:39], vcc
	s_cbranch_execz .LBB4_1912
; %bb.1905:                             ;   in Loop: Header=BB4_1558 Depth=3
	v_bfe_u32 v17, v8, 23, 8
	v_and_b32_e32 v2, 0x7fffff, v8
	v_cmp_gt_u32_e64 s[28:29], s71, v17
	v_sub_u32_e32 v8, 0x79, v17
	v_cmp_eq_u32_e32 vcc, 0, v17
	v_cndmask_b32_e64 v8, 0, v8, s[28:29]
	v_mov_b32_e32 v10, 0x78
	v_cndmask_b32_e32 v38, v8, v10, vcc
	v_or_b32_e32 v9, 0x800000, v2
	v_add_u32_e32 v8, 20, v38
	v_cndmask_b32_e32 v2, v9, v2, vcc
	v_lshlrev_b64 v[8:9], v8, -1
	v_add_u32_e32 v10, 19, v38
	v_lshlrev_b64 v[48:49], v10, 1
	v_bfi_b32 v9, v9, 0, 0
	v_bfi_b32 v8, v8, 0, v2
	v_cmp_eq_u64_e64 s[28:29], v[8:9], v[48:49]
	v_lshrrev_b64 v[8:9], v38, v[2:3]
	v_mov_b32_e32 v10, v9
	v_mov_b32_e32 v9, v8
	s_and_saveexec_b64 s[48:49], s[28:29]
; %bb.1906:                             ;   in Loop: Header=BB4_1558 Depth=3
	v_bfe_u32 v2, v8, 20, 1
	v_add_co_u32_e64 v2, s[28:29], v8, v2
	v_add_co_u32_e64 v9, s[28:29], -1, v2
; %bb.1907:                             ;   in Loop: Header=BB4_1558 Depth=3
	s_or_b64 exec, exec, s[48:49]
	v_add_u32_e32 v2, 0xffffff81, v17
	v_mov_b32_e32 v10, 0xffffff82
	v_cndmask_b32_e32 v2, v2, v10, vcc
	v_lshrrev_b32_e32 v10, 23, v8
	v_add3_u32 v38, v38, v2, v10
	v_add_u32_e32 v17, 6, v38
	v_and_b32_e32 v2, 0xfffff, v9
	v_add_u32_e32 v2, v2, v8
	v_cmp_ne_u32_e32 vcc, 0, v17
                                        ; implicit-def: $vgpr8_vgpr9
                                        ; implicit-def: $vgpr10
	s_and_saveexec_b64 s[28:29], vcc
	s_xor_b64 s[28:29], exec, s[28:29]
; %bb.1908:                             ;   in Loop: Header=BB4_1558 Depth=3
	v_cmp_lt_u64_e32 vcc, s[74:75], v[2:3]
	v_add_u32_e32 v8, 7, v38
	v_cndmask_b32_e32 v10, v17, v8, vcc
	v_cndmask_b32_e64 v8, 0, 1, vcc
	v_lshrrev_b64 v[8:9], v8, v[2:3]
; %bb.1909:                             ;   in Loop: Header=BB4_1558 Depth=3
	s_andn2_saveexec_b64 s[28:29], s[28:29]
; %bb.1910:                             ;   in Loop: Header=BB4_1558 Depth=3
	v_mov_b32_e32 v9, v3
	v_bfe_u32 v10, v2, 23, 1
	v_mov_b32_e32 v8, v2
; %bb.1911:                             ;   in Loop: Header=BB4_1558 Depth=3
	s_or_b64 exec, exec, s[28:29]
	v_lshrrev_b64 v[8:9], 20, v[8:9]
	v_cmp_gt_i32_e32 vcc, 16, v10
	v_cndmask_b32_e32 v9, 0, v9, vcc
	v_cndmask_b32_e32 v8, 7, v8, vcc
	v_min_i32_e32 v2, 15, v10
	v_cmp_eq_u64_e64 s[28:29], 0, v[8:9]
	v_lshlrev_b32_e32 v2, 3, v2
	v_cmp_eq_u32_e32 vcc, 0, v10
	v_and_b32_e32 v2, 0xf8, v2
	v_and_or_b32 v2, v8, 7, v2
	s_and_b64 s[28:29], vcc, s[28:29]
	v_cndmask_b32_e64 v2, v2, 0, s[28:29]
	v_or_b32_e32 v2, v2, v11
.LBB4_1912:                             ;   in Loop: Header=BB4_1558 Depth=3
	s_or_b64 exec, exec, s[38:39]
                                        ; implicit-def: $vgpr11
.LBB4_1913:                             ;   in Loop: Header=BB4_1558 Depth=3
	s_andn2_saveexec_b64 s[28:29], s[36:37]
; %bb.1914:                             ;   in Loop: Header=BB4_1558 Depth=3
	v_or_b32_e32 v2, 0x7e, v11
; %bb.1915:                             ;   in Loop: Header=BB4_1558 Depth=3
	s_or_b64 exec, exec, s[28:29]
                                        ; implicit-def: $vgpr8
.LBB4_1916:                             ;   in Loop: Header=BB4_1558 Depth=3
	s_andn2_saveexec_b64 s[28:29], s[34:35]
	s_cbranch_execz .LBB4_1557
; %bb.1917:                             ;   in Loop: Header=BB4_1558 Depth=3
	v_or_b32_sdwa v2, v8, s68 dst_sel:DWORD dst_unused:UNUSED_PAD src0_sel:BYTE_3 src1_sel:DWORD
	s_branch .LBB4_1557
.LBB4_1918:                             ;   in Loop: Header=BB4_57 Depth=2
	s_or_b64 exec, exec, s[30:31]
.LBB4_1919:                             ;   in Loop: Header=BB4_57 Depth=2
	s_or_b64 exec, exec, s[94:95]
	buffer_load_dword v2, off, s[0:3], s33 offset:364 ; 4-byte Folded Reload
	v_cmp_lt_i32_e32 vcc, 0, v7
	s_waitcnt vmcnt(0)
	v_and_b32_e32 v2, 15, v2
	v_sub_u32_e32 v8, v1, v2
	v_cndmask_b32_e64 v1, v1, v2, s[26:27]
	buffer_load_dword v2, off, s[0:3], s33 offset:88 ; 4-byte Folded Reload
	v_cndmask_b32_e64 v8, 0, v8, s[26:27]
	v_add3_u32 v0, v0, v6, v8
	s_waitcnt vmcnt(0)
	v_cndmask_b32_e32 v2, 0, v2, vcc
	v_sub_u32_e32 v2, v2, v7
	v_cmp_ne_u32_e32 vcc, 0, v1
	v_lshl_add_u32 v4, v2, 6, v4
	s_and_b64 s[26:27], vcc, exec
.LBB4_1920:                             ;   in Loop: Header=BB4_57 Depth=2
	s_or_b64 exec, exec, s[92:93]
	s_and_saveexec_b64 s[28:29], s[26:27]
	s_cbranch_execz .LBB4_2381
.LBB4_1921:                             ;   in Loop: Header=BB4_57 Depth=2
	s_waitcnt vmcnt(1)
	v_ashrrev_i32_e32 v2, 31, v4
	v_ashrrev_i32_e32 v7, 31, v1
	v_lshrrev_b32_e32 v2, 26, v2
	v_lshrrev_b32_e32 v7, 22, v7
	v_add_u32_e32 v2, v4, v2
	v_add_u32_e32 v7, v1, v7
	v_ashrrev_i32_e32 v6, 6, v2
	v_ashrrev_i32_e32 v12, 10, v7
	v_sub_u32_e32 v7, v12, v6
	v_cmp_lt_i32_e32 vcc, 0, v7
	s_and_saveexec_b64 s[92:93], vcc
	s_cbranch_execz .LBB4_2346
; %bb.1922:                             ;   in Loop: Header=BB4_57 Depth=2
	v_and_b32_e32 v2, 0xffffffc0, v2
	v_sub_u32_e32 v2, v4, v2
	v_lshlrev_b32_e32 v8, 10, v6
	v_add3_u32 v13, v0, v2, v8
	v_ashrrev_i32_e32 v14, 31, v13
	s_mov_b64 s[94:95], 0
	s_branch .LBB4_1924
.LBB4_1923:                             ;   in Loop: Header=BB4_1924 Depth=3
	s_or_b64 exec, exec, s[26:27]
	v_add_co_u32_e32 v8, vcc, v13, v54
	v_addc_co_u32_e32 v9, vcc, v14, v55, vcc
	flat_store_byte v[8:9], v15 glc slc
	flat_store_byte v[8:9], v16 offset:64 glc slc
	flat_store_byte v[8:9], v17 offset:128 glc slc
	;; [unrolled: 1-line block ×15, first 2 shown]
	buffer_load_dword v2, off, s[0:3], s33 offset:88 ; 4-byte Folded Reload
	s_waitcnt vmcnt(0)
	v_sub_u32_e32 v7, v7, v2
	buffer_load_dword v2, off, s[0:3], s33 offset:92 ; 4-byte Folded Reload
	s_waitcnt vmcnt(0)
	v_add_co_u32_e32 v52, vcc, v52, v2
	v_addc_co_u32_e32 v53, vcc, 0, v53, vcc
	v_cmp_gt_i32_e32 vcc, 1, v7
	s_or_b64 s[94:95], vcc, s[94:95]
	v_add_co_u32_e32 v54, vcc, v54, v2
	v_addc_co_u32_e32 v55, vcc, 0, v55, vcc
	s_andn2_b64 exec, exec, s[94:95]
	s_cbranch_execz .LBB4_2345
.LBB4_1924:                             ;   Parent Loop BB4_47 Depth=1
                                        ;     Parent Loop BB4_57 Depth=2
                                        ; =>    This Inner Loop Header: Depth=3
	s_trap 2
	ds_read_b64 v[8:9], v0
	s_waitcnt lgkmcnt(0)
	v_cmp_eq_u32_sdwa vcc, v8, v3 src0_sel:BYTE_0 src1_sel:DWORD
	v_readfirstlane_b32 s26, v8
	v_readfirstlane_b32 s27, v9
	s_and_b64 vcc, exec, vcc
	s_cbranch_vccnz .LBB4_1928
; %bb.1925:                             ;   in Loop: Header=BB4_1924 Depth=3
	v_cmp_eq_u32_sdwa vcc, v8, s70 src0_sel:BYTE_0 src1_sel:DWORD
	s_brev_b32 s45, 1
	s_and_b64 vcc, exec, vcc
	s_cbranch_vccnz .LBB4_1929
; %bb.1926:                             ;   in Loop: Header=BB4_1924 Depth=3
	s_and_b32 s47, s26, 0x7f
	s_cmpk_eq_i32 s47, 0x7f
	s_mov_b32 s45, 0x7f800001
	s_cbranch_scc1 .LBB4_1929
; %bb.1927:                             ;   in Loop: Header=BB4_1924 Depth=3
	s_and_b32 s45, s26, 7
	s_flbit_i32_b32 s45, s45
	s_min_u32 s45, s45, 32
	s_lshr_b32 vcc_lo, s47, 3
	s_sub_i32 vcc_hi, s45, 28
	s_sub_i32 s45, 29, s45
	s_cmp_lt_u32 s47, 8
	s_cselect_b32 s45, s45, vcc_lo
	s_cselect_b32 s47, vcc_hi, 0
	s_lshl_b64 vcc, s[26:27], s47
	s_lshl_b32 s26, s26, 24
	s_lshl_b32 s45, s45, 23
	s_lshl_b32 s27, vcc_lo, 20
	s_and_b32 s26, s26, 0x80000000
	s_add_i32 s45, s45, 0x3c000000
	s_and_b32 s27, s27, 0x700000
	s_or_b32 s26, s26, s45
	s_or_b32 s45, s26, s27
	s_branch .LBB4_1929
.LBB4_1928:                             ;   in Loop: Header=BB4_1924 Depth=3
	s_mov_b32 s45, 0
.LBB4_1929:                             ;   in Loop: Header=BB4_1924 Depth=3
	v_add_co_u32_e32 v8, vcc, v13, v52
	v_addc_co_u32_e32 v9, vcc, v14, v53, vcc
	flat_load_ubyte v10, v[8:9] glc slc
	v_mov_b32_e32 v11, 0
	s_waitcnt vmcnt(0) lgkmcnt(0)
	v_cmp_ne_u16_e32 vcc, 0, v10
	s_and_saveexec_b64 s[26:27], vcc
	s_cbranch_execz .LBB4_1935
; %bb.1930:                             ;   in Loop: Header=BB4_1924 Depth=3
	v_cmp_ne_u16_e32 vcc, s70, v10
	v_bfrev_b32_e32 v11, 1
	s_and_saveexec_b64 s[30:31], vcc
	s_cbranch_execz .LBB4_1934
; %bb.1931:                             ;   in Loop: Header=BB4_1924 Depth=3
	v_and_b32_e32 v2, 0xffff, v10
	v_and_b32_e32 v15, 0x7f, v2
	v_cmp_ne_u32_e32 vcc, s68, v15
	v_mov_b32_e32 v11, 0x7f800001
	s_and_saveexec_b64 s[34:35], vcc
	s_cbranch_execz .LBB4_1933
; %bb.1932:                             ;   in Loop: Header=BB4_1924 Depth=3
	v_and_b32_e32 v11, 7, v2
	v_lshrrev_b32_e32 v17, 3, v15
	v_cmp_gt_u32_e32 vcc, 8, v15
	v_ffbh_u32_e32 v15, v11
	v_min_u32_e32 v18, 32, v15
	v_subrev_u32_e32 v15, 28, v18
	v_lshlrev_b64 v[15:16], v15, v[2:3]
	v_sub_u32_e32 v2, 29, v18
	v_and_b32_e32 v15, 7, v15
	v_cndmask_b32_e32 v2, v17, v2, vcc
	v_cndmask_b32_e32 v11, v11, v15, vcc
	v_lshlrev_b32_e32 v10, 24, v10
	v_lshlrev_b32_e32 v11, 20, v11
	v_and_b32_e32 v10, 0x80000000, v10
	v_lshl_add_u32 v2, v2, 23, v5
	v_or3_b32 v11, v10, v2, v11
.LBB4_1933:                             ;   in Loop: Header=BB4_1924 Depth=3
	s_or_b64 exec, exec, s[34:35]
.LBB4_1934:                             ;   in Loop: Header=BB4_1924 Depth=3
	s_or_b64 exec, exec, s[30:31]
.LBB4_1935:                             ;   in Loop: Header=BB4_1924 Depth=3
	s_or_b64 exec, exec, s[26:27]
	v_mul_f32_e32 v10, s45, v11
	v_and_b32_e32 v2, 0x7f800000, v10
	v_cmp_ne_u64_e32 vcc, s[62:63], v[2:3]
                                        ; implicit-def: $vgpr15
	s_and_saveexec_b64 s[26:27], vcc
	s_xor_b64 s[30:31], exec, s[26:27]
	s_cbranch_execz .LBB4_1953
; %bb.1936:                             ;   in Loop: Header=BB4_1924 Depth=3
	v_and_b32_e32 v2, 0x7fffffff, v10
	v_cmp_gt_u64_e32 vcc, s[72:73], v[2:3]
	v_and_b32_sdwa v16, v10, s70 dst_sel:DWORD dst_unused:UNUSED_PAD src0_sel:BYTE_3 src1_sel:DWORD
                                        ; implicit-def: $vgpr15
	s_and_saveexec_b64 s[26:27], vcc
	s_xor_b64 s[34:35], exec, s[26:27]
	s_cbranch_execz .LBB4_1950
; %bb.1937:                             ;   in Loop: Header=BB4_1924 Depth=3
	v_cmp_ne_u32_e32 vcc, 0, v10
	v_mov_b32_e32 v15, 0
	s_and_saveexec_b64 s[36:37], vcc
	s_cbranch_execz .LBB4_1949
; %bb.1938:                             ;   in Loop: Header=BB4_1924 Depth=3
	v_bfe_u32 v15, v10, 23, 8
	v_and_b32_e32 v2, 0x7fffff, v10
	v_cmp_gt_u32_e64 s[26:27], s71, v15
	v_sub_u32_e32 v10, 0x79, v15
	v_cmp_eq_u32_e32 vcc, 0, v15
	v_cndmask_b32_e64 v10, 0, v10, s[26:27]
	v_mov_b32_e32 v17, 0x78
	v_cndmask_b32_e32 v17, v10, v17, vcc
	v_or_b32_e32 v11, 0x800000, v2
	v_add_u32_e32 v10, 20, v17
	v_cndmask_b32_e32 v2, v11, v2, vcc
	v_lshlrev_b64 v[10:11], v10, -1
	v_add_u32_e32 v18, 19, v17
	v_lshlrev_b64 v[20:21], v18, 1
	v_bfi_b32 v11, v11, 0, 0
	v_bfi_b32 v10, v10, 0, v2
	v_cmp_eq_u64_e64 s[26:27], v[10:11], v[20:21]
	v_lshrrev_b64 v[10:11], v17, v[2:3]
	v_mov_b32_e32 v41, v11
	v_mov_b32_e32 v40, v10
	s_and_saveexec_b64 s[38:39], s[26:27]
; %bb.1939:                             ;   in Loop: Header=BB4_1924 Depth=3
	v_bfe_u32 v2, v10, 20, 1
	v_add_co_u32_e64 v2, s[26:27], v10, v2
	v_add_co_u32_e64 v40, s[26:27], -1, v2
; %bb.1940:                             ;   in Loop: Header=BB4_1924 Depth=3
	s_or_b64 exec, exec, s[38:39]
	v_add_u32_e32 v2, 0xffffff81, v15
	v_mov_b32_e32 v11, 0xffffff82
	v_cndmask_b32_e32 v2, v2, v11, vcc
	v_lshrrev_b32_e32 v11, 23, v10
	v_add3_u32 v18, v17, v2, v11
	v_add_u32_e32 v15, 6, v18
	v_and_b32_e32 v2, 0xfffff, v40
	v_add_u32_e32 v2, v2, v10
	v_cmp_ne_u32_e32 vcc, 0, v15
                                        ; implicit-def: $vgpr10_vgpr11
                                        ; implicit-def: $vgpr17
	s_and_saveexec_b64 s[26:27], vcc
	s_xor_b64 s[26:27], exec, s[26:27]
; %bb.1941:                             ;   in Loop: Header=BB4_1924 Depth=3
	v_cmp_lt_u64_e32 vcc, s[74:75], v[2:3]
	v_add_u32_e32 v10, 7, v18
	v_cndmask_b32_e32 v17, v15, v10, vcc
	v_cndmask_b32_e64 v10, 0, 1, vcc
	v_lshrrev_b64 v[10:11], v10, v[2:3]
; %bb.1942:                             ;   in Loop: Header=BB4_1924 Depth=3
	s_andn2_saveexec_b64 s[26:27], s[26:27]
; %bb.1943:                             ;   in Loop: Header=BB4_1924 Depth=3
	v_mov_b32_e32 v11, v3
	v_bfe_u32 v17, v2, 23, 1
	v_mov_b32_e32 v10, v2
; %bb.1944:                             ;   in Loop: Header=BB4_1924 Depth=3
	s_or_b64 exec, exec, s[26:27]
	v_lshrrev_b64 v[10:11], 20, v[10:11]
	v_cmp_gt_i32_e32 vcc, 16, v17
	v_cndmask_b32_e32 v11, 0, v11, vcc
	v_cndmask_b32_e32 v10, 7, v10, vcc
	v_cmp_ne_u64_e32 vcc, 0, v[10:11]
	v_cmp_ne_u32_e64 s[26:27], 0, v17
	s_or_b64 s[26:27], s[26:27], vcc
                                        ; implicit-def: $vgpr15
	s_and_saveexec_b64 vcc, s[26:27]
	s_xor_b64 s[26:27], exec, vcc
; %bb.1945:                             ;   in Loop: Header=BB4_1924 Depth=3
	v_min_i32_e32 v2, 15, v17
	v_lshl_or_b32 v2, v2, 3, v16
	v_and_or_b32 v15, v10, 7, v2
                                        ; implicit-def: $vgpr16
; %bb.1946:                             ;   in Loop: Header=BB4_1924 Depth=3
	s_andn2_saveexec_b64 s[26:27], s[26:27]
; %bb.1947:                             ;   in Loop: Header=BB4_1924 Depth=3
	v_mov_b32_e32 v15, v16
; %bb.1948:                             ;   in Loop: Header=BB4_1924 Depth=3
	s_or_b64 exec, exec, s[26:27]
.LBB4_1949:                             ;   in Loop: Header=BB4_1924 Depth=3
	s_or_b64 exec, exec, s[36:37]
                                        ; implicit-def: $vgpr16
.LBB4_1950:                             ;   in Loop: Header=BB4_1924 Depth=3
	s_andn2_saveexec_b64 s[26:27], s[34:35]
; %bb.1951:                             ;   in Loop: Header=BB4_1924 Depth=3
	v_or_b32_e32 v15, 0x7e, v16
; %bb.1952:                             ;   in Loop: Header=BB4_1924 Depth=3
	s_or_b64 exec, exec, s[26:27]
                                        ; implicit-def: $vgpr10
.LBB4_1953:                             ;   in Loop: Header=BB4_1924 Depth=3
	s_andn2_saveexec_b64 s[26:27], s[30:31]
; %bb.1954:                             ;   in Loop: Header=BB4_1924 Depth=3
	v_or_b32_sdwa v15, v10, s68 dst_sel:DWORD dst_unused:UNUSED_PAD src0_sel:BYTE_3 src1_sel:DWORD
; %bb.1955:                             ;   in Loop: Header=BB4_1924 Depth=3
	s_or_b64 exec, exec, s[26:27]
	flat_load_ubyte v10, v[8:9] offset:64 glc slc
	v_mov_b32_e32 v11, 0
	s_waitcnt vmcnt(0) lgkmcnt(0)
	v_cmp_ne_u16_e32 vcc, 0, v10
	s_and_saveexec_b64 s[26:27], vcc
	s_cbranch_execz .LBB4_1961
; %bb.1956:                             ;   in Loop: Header=BB4_1924 Depth=3
	v_cmp_ne_u16_e32 vcc, s70, v10
	v_bfrev_b32_e32 v11, 1
	s_and_saveexec_b64 s[30:31], vcc
	s_cbranch_execz .LBB4_1960
; %bb.1957:                             ;   in Loop: Header=BB4_1924 Depth=3
	v_and_b32_e32 v2, 0xffff, v10
	v_and_b32_e32 v16, 0x7f, v2
	v_cmp_ne_u32_e32 vcc, s68, v16
	v_mov_b32_e32 v11, 0x7f800001
	s_and_saveexec_b64 s[34:35], vcc
	s_cbranch_execz .LBB4_1959
; %bb.1958:                             ;   in Loop: Header=BB4_1924 Depth=3
	v_and_b32_e32 v11, 7, v2
	v_lshrrev_b32_e32 v18, 3, v16
	v_cmp_gt_u32_e32 vcc, 8, v16
	v_ffbh_u32_e32 v16, v11
	v_min_u32_e32 v20, 32, v16
	v_subrev_u32_e32 v16, 28, v20
	v_lshlrev_b64 v[16:17], v16, v[2:3]
	v_sub_u32_e32 v2, 29, v20
	v_and_b32_e32 v16, 7, v16
	v_cndmask_b32_e32 v2, v18, v2, vcc
	v_cndmask_b32_e32 v11, v11, v16, vcc
	v_lshlrev_b32_e32 v10, 24, v10
	v_lshlrev_b32_e32 v11, 20, v11
	v_and_b32_e32 v10, 0x80000000, v10
	v_lshl_add_u32 v2, v2, 23, v5
	v_or3_b32 v11, v10, v2, v11
.LBB4_1959:                             ;   in Loop: Header=BB4_1924 Depth=3
	s_or_b64 exec, exec, s[34:35]
.LBB4_1960:                             ;   in Loop: Header=BB4_1924 Depth=3
	s_or_b64 exec, exec, s[30:31]
.LBB4_1961:                             ;   in Loop: Header=BB4_1924 Depth=3
	s_or_b64 exec, exec, s[26:27]
	v_mul_f32_e32 v10, s45, v11
	v_and_b32_e32 v2, 0x7f800000, v10
	v_cmp_ne_u64_e32 vcc, s[62:63], v[2:3]
                                        ; implicit-def: $vgpr16
	s_and_saveexec_b64 s[26:27], vcc
	s_xor_b64 s[30:31], exec, s[26:27]
	s_cbranch_execz .LBB4_1979
; %bb.1962:                             ;   in Loop: Header=BB4_1924 Depth=3
	v_and_b32_e32 v2, 0x7fffffff, v10
	v_cmp_gt_u64_e32 vcc, s[72:73], v[2:3]
	v_and_b32_sdwa v17, v10, s70 dst_sel:DWORD dst_unused:UNUSED_PAD src0_sel:BYTE_3 src1_sel:DWORD
                                        ; implicit-def: $vgpr16
	s_and_saveexec_b64 s[26:27], vcc
	s_xor_b64 s[34:35], exec, s[26:27]
	s_cbranch_execz .LBB4_1976
; %bb.1963:                             ;   in Loop: Header=BB4_1924 Depth=3
	v_cmp_ne_u32_e32 vcc, 0, v10
	v_mov_b32_e32 v16, 0
	s_and_saveexec_b64 s[36:37], vcc
	s_cbranch_execz .LBB4_1975
; %bb.1964:                             ;   in Loop: Header=BB4_1924 Depth=3
	v_bfe_u32 v16, v10, 23, 8
	v_and_b32_e32 v2, 0x7fffff, v10
	v_cmp_gt_u32_e64 s[26:27], s71, v16
	v_sub_u32_e32 v10, 0x79, v16
	v_cmp_eq_u32_e32 vcc, 0, v16
	v_cndmask_b32_e64 v10, 0, v10, s[26:27]
	v_mov_b32_e32 v18, 0x78
	v_cndmask_b32_e32 v18, v10, v18, vcc
	v_or_b32_e32 v11, 0x800000, v2
	v_add_u32_e32 v10, 20, v18
	v_cndmask_b32_e32 v2, v11, v2, vcc
	v_lshlrev_b64 v[10:11], v10, -1
	v_add_u32_e32 v20, 19, v18
	v_lshlrev_b64 v[20:21], v20, 1
	v_bfi_b32 v11, v11, 0, 0
	v_bfi_b32 v10, v10, 0, v2
	v_cmp_eq_u64_e64 s[26:27], v[10:11], v[20:21]
	v_lshrrev_b64 v[10:11], v18, v[2:3]
	v_mov_b32_e32 v41, v11
	v_mov_b32_e32 v40, v10
	s_and_saveexec_b64 s[38:39], s[26:27]
; %bb.1965:                             ;   in Loop: Header=BB4_1924 Depth=3
	v_bfe_u32 v2, v10, 20, 1
	v_add_co_u32_e64 v2, s[26:27], v10, v2
	v_add_co_u32_e64 v40, s[26:27], -1, v2
; %bb.1966:                             ;   in Loop: Header=BB4_1924 Depth=3
	s_or_b64 exec, exec, s[38:39]
	v_add_u32_e32 v2, 0xffffff81, v16
	v_mov_b32_e32 v11, 0xffffff82
	v_cndmask_b32_e32 v2, v2, v11, vcc
	v_lshrrev_b32_e32 v11, 23, v10
	v_add3_u32 v20, v18, v2, v11
	v_add_u32_e32 v16, 6, v20
	v_and_b32_e32 v2, 0xfffff, v40
	v_add_u32_e32 v2, v2, v10
	v_cmp_ne_u32_e32 vcc, 0, v16
                                        ; implicit-def: $vgpr10_vgpr11
                                        ; implicit-def: $vgpr18
	s_and_saveexec_b64 s[26:27], vcc
	s_xor_b64 s[26:27], exec, s[26:27]
; %bb.1967:                             ;   in Loop: Header=BB4_1924 Depth=3
	v_cmp_lt_u64_e32 vcc, s[74:75], v[2:3]
	v_add_u32_e32 v10, 7, v20
	v_cndmask_b32_e32 v18, v16, v10, vcc
	v_cndmask_b32_e64 v10, 0, 1, vcc
	v_lshrrev_b64 v[10:11], v10, v[2:3]
; %bb.1968:                             ;   in Loop: Header=BB4_1924 Depth=3
	s_andn2_saveexec_b64 s[26:27], s[26:27]
; %bb.1969:                             ;   in Loop: Header=BB4_1924 Depth=3
	v_mov_b32_e32 v11, v3
	v_bfe_u32 v18, v2, 23, 1
	v_mov_b32_e32 v10, v2
; %bb.1970:                             ;   in Loop: Header=BB4_1924 Depth=3
	s_or_b64 exec, exec, s[26:27]
	v_lshrrev_b64 v[10:11], 20, v[10:11]
	v_cmp_gt_i32_e32 vcc, 16, v18
	v_cndmask_b32_e32 v11, 0, v11, vcc
	v_cndmask_b32_e32 v10, 7, v10, vcc
	v_cmp_ne_u64_e32 vcc, 0, v[10:11]
	v_cmp_ne_u32_e64 s[26:27], 0, v18
	s_or_b64 s[26:27], s[26:27], vcc
                                        ; implicit-def: $vgpr16
	s_and_saveexec_b64 vcc, s[26:27]
	s_xor_b64 s[26:27], exec, vcc
; %bb.1971:                             ;   in Loop: Header=BB4_1924 Depth=3
	v_min_i32_e32 v2, 15, v18
	v_lshl_or_b32 v2, v2, 3, v17
	v_and_or_b32 v16, v10, 7, v2
                                        ; implicit-def: $vgpr17
; %bb.1972:                             ;   in Loop: Header=BB4_1924 Depth=3
	s_andn2_saveexec_b64 s[26:27], s[26:27]
; %bb.1973:                             ;   in Loop: Header=BB4_1924 Depth=3
	v_mov_b32_e32 v16, v17
; %bb.1974:                             ;   in Loop: Header=BB4_1924 Depth=3
	s_or_b64 exec, exec, s[26:27]
.LBB4_1975:                             ;   in Loop: Header=BB4_1924 Depth=3
	s_or_b64 exec, exec, s[36:37]
                                        ; implicit-def: $vgpr17
.LBB4_1976:                             ;   in Loop: Header=BB4_1924 Depth=3
	s_andn2_saveexec_b64 s[26:27], s[34:35]
; %bb.1977:                             ;   in Loop: Header=BB4_1924 Depth=3
	v_or_b32_e32 v16, 0x7e, v17
; %bb.1978:                             ;   in Loop: Header=BB4_1924 Depth=3
	s_or_b64 exec, exec, s[26:27]
                                        ; implicit-def: $vgpr10
.LBB4_1979:                             ;   in Loop: Header=BB4_1924 Depth=3
	s_andn2_saveexec_b64 s[26:27], s[30:31]
; %bb.1980:                             ;   in Loop: Header=BB4_1924 Depth=3
	v_or_b32_sdwa v16, v10, s68 dst_sel:DWORD dst_unused:UNUSED_PAD src0_sel:BYTE_3 src1_sel:DWORD
; %bb.1981:                             ;   in Loop: Header=BB4_1924 Depth=3
	s_or_b64 exec, exec, s[26:27]
	flat_load_ubyte v10, v[8:9] offset:128 glc slc
	v_mov_b32_e32 v11, 0
	s_waitcnt vmcnt(0) lgkmcnt(0)
	v_cmp_ne_u16_e32 vcc, 0, v10
	s_and_saveexec_b64 s[26:27], vcc
	s_cbranch_execz .LBB4_1987
; %bb.1982:                             ;   in Loop: Header=BB4_1924 Depth=3
	v_cmp_ne_u16_e32 vcc, s70, v10
	v_bfrev_b32_e32 v11, 1
	s_and_saveexec_b64 s[30:31], vcc
	s_cbranch_execz .LBB4_1986
; %bb.1983:                             ;   in Loop: Header=BB4_1924 Depth=3
	v_and_b32_e32 v2, 0xffff, v10
	v_and_b32_e32 v17, 0x7f, v2
	v_cmp_ne_u32_e32 vcc, s68, v17
	v_mov_b32_e32 v11, 0x7f800001
	s_and_saveexec_b64 s[34:35], vcc
	s_cbranch_execz .LBB4_1985
; %bb.1984:                             ;   in Loop: Header=BB4_1924 Depth=3
	v_and_b32_e32 v11, 7, v2
	v_lshrrev_b32_e32 v20, 3, v17
	v_cmp_gt_u32_e32 vcc, 8, v17
	v_ffbh_u32_e32 v17, v11
	v_min_u32_e32 v21, 32, v17
	v_subrev_u32_e32 v17, 28, v21
	v_lshlrev_b64 v[17:18], v17, v[2:3]
	v_sub_u32_e32 v2, 29, v21
	v_and_b32_e32 v17, 7, v17
	v_cndmask_b32_e32 v2, v20, v2, vcc
	v_cndmask_b32_e32 v11, v11, v17, vcc
	v_lshlrev_b32_e32 v10, 24, v10
	v_lshlrev_b32_e32 v11, 20, v11
	v_and_b32_e32 v10, 0x80000000, v10
	v_lshl_add_u32 v2, v2, 23, v5
	v_or3_b32 v11, v10, v2, v11
.LBB4_1985:                             ;   in Loop: Header=BB4_1924 Depth=3
	s_or_b64 exec, exec, s[34:35]
.LBB4_1986:                             ;   in Loop: Header=BB4_1924 Depth=3
	s_or_b64 exec, exec, s[30:31]
.LBB4_1987:                             ;   in Loop: Header=BB4_1924 Depth=3
	s_or_b64 exec, exec, s[26:27]
	v_mul_f32_e32 v10, s45, v11
	v_and_b32_e32 v2, 0x7f800000, v10
	v_cmp_ne_u64_e32 vcc, s[62:63], v[2:3]
                                        ; implicit-def: $vgpr17
	s_and_saveexec_b64 s[26:27], vcc
	s_xor_b64 s[30:31], exec, s[26:27]
	s_cbranch_execz .LBB4_2005
; %bb.1988:                             ;   in Loop: Header=BB4_1924 Depth=3
	v_and_b32_e32 v2, 0x7fffffff, v10
	v_cmp_gt_u64_e32 vcc, s[72:73], v[2:3]
	v_and_b32_sdwa v18, v10, s70 dst_sel:DWORD dst_unused:UNUSED_PAD src0_sel:BYTE_3 src1_sel:DWORD
                                        ; implicit-def: $vgpr17
	s_and_saveexec_b64 s[26:27], vcc
	s_xor_b64 s[34:35], exec, s[26:27]
	s_cbranch_execz .LBB4_2002
; %bb.1989:                             ;   in Loop: Header=BB4_1924 Depth=3
	v_cmp_ne_u32_e32 vcc, 0, v10
	v_mov_b32_e32 v17, 0
	s_and_saveexec_b64 s[36:37], vcc
	s_cbranch_execz .LBB4_2001
; %bb.1990:                             ;   in Loop: Header=BB4_1924 Depth=3
	v_bfe_u32 v17, v10, 23, 8
	v_and_b32_e32 v2, 0x7fffff, v10
	v_cmp_gt_u32_e64 s[26:27], s71, v17
	v_sub_u32_e32 v10, 0x79, v17
	v_cmp_eq_u32_e32 vcc, 0, v17
	v_cndmask_b32_e64 v10, 0, v10, s[26:27]
	v_mov_b32_e32 v20, 0x78
	v_cndmask_b32_e32 v20, v10, v20, vcc
	v_or_b32_e32 v11, 0x800000, v2
	v_add_u32_e32 v10, 20, v20
	v_cndmask_b32_e32 v2, v11, v2, vcc
	v_lshlrev_b64 v[10:11], v10, -1
	v_add_u32_e32 v21, 19, v20
	v_lshlrev_b64 v[24:25], v21, 1
	v_bfi_b32 v11, v11, 0, 0
	v_bfi_b32 v10, v10, 0, v2
	v_cmp_eq_u64_e64 s[26:27], v[10:11], v[24:25]
	v_lshrrev_b64 v[10:11], v20, v[2:3]
	v_mov_b32_e32 v41, v11
	v_mov_b32_e32 v40, v10
	s_and_saveexec_b64 s[38:39], s[26:27]
; %bb.1991:                             ;   in Loop: Header=BB4_1924 Depth=3
	v_bfe_u32 v2, v10, 20, 1
	v_add_co_u32_e64 v2, s[26:27], v10, v2
	v_add_co_u32_e64 v40, s[26:27], -1, v2
; %bb.1992:                             ;   in Loop: Header=BB4_1924 Depth=3
	s_or_b64 exec, exec, s[38:39]
	v_add_u32_e32 v2, 0xffffff81, v17
	v_mov_b32_e32 v11, 0xffffff82
	v_cndmask_b32_e32 v2, v2, v11, vcc
	v_lshrrev_b32_e32 v11, 23, v10
	v_add3_u32 v21, v20, v2, v11
	v_add_u32_e32 v17, 6, v21
	v_and_b32_e32 v2, 0xfffff, v40
	v_add_u32_e32 v2, v2, v10
	v_cmp_ne_u32_e32 vcc, 0, v17
                                        ; implicit-def: $vgpr10_vgpr11
                                        ; implicit-def: $vgpr20
	s_and_saveexec_b64 s[26:27], vcc
	s_xor_b64 s[26:27], exec, s[26:27]
; %bb.1993:                             ;   in Loop: Header=BB4_1924 Depth=3
	v_cmp_lt_u64_e32 vcc, s[74:75], v[2:3]
	v_add_u32_e32 v10, 7, v21
	v_cndmask_b32_e32 v20, v17, v10, vcc
	v_cndmask_b32_e64 v10, 0, 1, vcc
	v_lshrrev_b64 v[10:11], v10, v[2:3]
; %bb.1994:                             ;   in Loop: Header=BB4_1924 Depth=3
	s_andn2_saveexec_b64 s[26:27], s[26:27]
; %bb.1995:                             ;   in Loop: Header=BB4_1924 Depth=3
	v_mov_b32_e32 v11, v3
	v_bfe_u32 v20, v2, 23, 1
	v_mov_b32_e32 v10, v2
; %bb.1996:                             ;   in Loop: Header=BB4_1924 Depth=3
	s_or_b64 exec, exec, s[26:27]
	v_lshrrev_b64 v[10:11], 20, v[10:11]
	v_cmp_gt_i32_e32 vcc, 16, v20
	v_cndmask_b32_e32 v11, 0, v11, vcc
	v_cndmask_b32_e32 v10, 7, v10, vcc
	v_cmp_ne_u64_e32 vcc, 0, v[10:11]
	v_cmp_ne_u32_e64 s[26:27], 0, v20
	s_or_b64 s[26:27], s[26:27], vcc
                                        ; implicit-def: $vgpr17
	s_and_saveexec_b64 vcc, s[26:27]
	s_xor_b64 s[26:27], exec, vcc
; %bb.1997:                             ;   in Loop: Header=BB4_1924 Depth=3
	v_min_i32_e32 v2, 15, v20
	v_lshl_or_b32 v2, v2, 3, v18
	v_and_or_b32 v17, v10, 7, v2
                                        ; implicit-def: $vgpr18
; %bb.1998:                             ;   in Loop: Header=BB4_1924 Depth=3
	s_andn2_saveexec_b64 s[26:27], s[26:27]
; %bb.1999:                             ;   in Loop: Header=BB4_1924 Depth=3
	v_mov_b32_e32 v17, v18
; %bb.2000:                             ;   in Loop: Header=BB4_1924 Depth=3
	s_or_b64 exec, exec, s[26:27]
.LBB4_2001:                             ;   in Loop: Header=BB4_1924 Depth=3
	s_or_b64 exec, exec, s[36:37]
                                        ; implicit-def: $vgpr18
.LBB4_2002:                             ;   in Loop: Header=BB4_1924 Depth=3
	s_andn2_saveexec_b64 s[26:27], s[34:35]
; %bb.2003:                             ;   in Loop: Header=BB4_1924 Depth=3
	v_or_b32_e32 v17, 0x7e, v18
; %bb.2004:                             ;   in Loop: Header=BB4_1924 Depth=3
	s_or_b64 exec, exec, s[26:27]
                                        ; implicit-def: $vgpr10
.LBB4_2005:                             ;   in Loop: Header=BB4_1924 Depth=3
	s_andn2_saveexec_b64 s[26:27], s[30:31]
; %bb.2006:                             ;   in Loop: Header=BB4_1924 Depth=3
	v_or_b32_sdwa v17, v10, s68 dst_sel:DWORD dst_unused:UNUSED_PAD src0_sel:BYTE_3 src1_sel:DWORD
; %bb.2007:                             ;   in Loop: Header=BB4_1924 Depth=3
	s_or_b64 exec, exec, s[26:27]
	flat_load_ubyte v10, v[8:9] offset:192 glc slc
	v_mov_b32_e32 v11, 0
	s_waitcnt vmcnt(0) lgkmcnt(0)
	v_cmp_ne_u16_e32 vcc, 0, v10
	s_and_saveexec_b64 s[26:27], vcc
	s_cbranch_execz .LBB4_2013
; %bb.2008:                             ;   in Loop: Header=BB4_1924 Depth=3
	v_cmp_ne_u16_e32 vcc, s70, v10
	v_bfrev_b32_e32 v11, 1
	s_and_saveexec_b64 s[30:31], vcc
	s_cbranch_execz .LBB4_2012
; %bb.2009:                             ;   in Loop: Header=BB4_1924 Depth=3
	v_and_b32_e32 v2, 0xffff, v10
	v_and_b32_e32 v18, 0x7f, v2
	v_cmp_ne_u32_e32 vcc, s68, v18
	v_mov_b32_e32 v11, 0x7f800001
	s_and_saveexec_b64 s[34:35], vcc
	s_cbranch_execz .LBB4_2011
; %bb.2010:                             ;   in Loop: Header=BB4_1924 Depth=3
	v_and_b32_e32 v11, 7, v2
	v_lshrrev_b32_e32 v22, 3, v18
	v_cmp_gt_u32_e32 vcc, 8, v18
	v_ffbh_u32_e32 v18, v11
	v_min_u32_e32 v18, 32, v18
	v_subrev_u32_e32 v20, 28, v18
	v_lshlrev_b64 v[20:21], v20, v[2:3]
	v_sub_u32_e32 v2, 29, v18
	v_and_b32_e32 v18, 7, v20
	v_cndmask_b32_e32 v2, v22, v2, vcc
	v_cndmask_b32_e32 v11, v11, v18, vcc
	v_lshlrev_b32_e32 v10, 24, v10
	v_lshlrev_b32_e32 v11, 20, v11
	v_and_b32_e32 v10, 0x80000000, v10
	v_lshl_add_u32 v2, v2, 23, v5
	v_or3_b32 v11, v10, v2, v11
.LBB4_2011:                             ;   in Loop: Header=BB4_1924 Depth=3
	s_or_b64 exec, exec, s[34:35]
.LBB4_2012:                             ;   in Loop: Header=BB4_1924 Depth=3
	s_or_b64 exec, exec, s[30:31]
.LBB4_2013:                             ;   in Loop: Header=BB4_1924 Depth=3
	s_or_b64 exec, exec, s[26:27]
	v_mul_f32_e32 v10, s45, v11
	v_and_b32_e32 v2, 0x7f800000, v10
	v_cmp_ne_u64_e32 vcc, s[62:63], v[2:3]
                                        ; implicit-def: $vgpr18
	s_and_saveexec_b64 s[26:27], vcc
	s_xor_b64 s[30:31], exec, s[26:27]
	s_cbranch_execz .LBB4_2031
; %bb.2014:                             ;   in Loop: Header=BB4_1924 Depth=3
	v_and_b32_e32 v2, 0x7fffffff, v10
	v_cmp_gt_u64_e32 vcc, s[72:73], v[2:3]
	v_and_b32_sdwa v20, v10, s70 dst_sel:DWORD dst_unused:UNUSED_PAD src0_sel:BYTE_3 src1_sel:DWORD
                                        ; implicit-def: $vgpr18
	s_and_saveexec_b64 s[26:27], vcc
	s_xor_b64 s[34:35], exec, s[26:27]
	s_cbranch_execz .LBB4_2028
; %bb.2015:                             ;   in Loop: Header=BB4_1924 Depth=3
	v_cmp_ne_u32_e32 vcc, 0, v10
	v_mov_b32_e32 v18, 0
	s_and_saveexec_b64 s[36:37], vcc
	s_cbranch_execz .LBB4_2027
; %bb.2016:                             ;   in Loop: Header=BB4_1924 Depth=3
	v_bfe_u32 v18, v10, 23, 8
	v_and_b32_e32 v2, 0x7fffff, v10
	v_cmp_gt_u32_e64 s[26:27], s71, v18
	v_sub_u32_e32 v10, 0x79, v18
	v_cmp_eq_u32_e32 vcc, 0, v18
	v_cndmask_b32_e64 v10, 0, v10, s[26:27]
	v_mov_b32_e32 v21, 0x78
	v_cndmask_b32_e32 v21, v10, v21, vcc
	v_or_b32_e32 v11, 0x800000, v2
	v_add_u32_e32 v10, 20, v21
	v_cndmask_b32_e32 v2, v11, v2, vcc
	v_lshlrev_b64 v[10:11], v10, -1
	v_add_u32_e32 v22, 19, v21
	v_lshlrev_b64 v[24:25], v22, 1
	v_bfi_b32 v11, v11, 0, 0
	v_bfi_b32 v10, v10, 0, v2
	v_cmp_eq_u64_e64 s[26:27], v[10:11], v[24:25]
	v_lshrrev_b64 v[10:11], v21, v[2:3]
	v_mov_b32_e32 v41, v11
	v_mov_b32_e32 v40, v10
	s_and_saveexec_b64 s[38:39], s[26:27]
; %bb.2017:                             ;   in Loop: Header=BB4_1924 Depth=3
	v_bfe_u32 v2, v10, 20, 1
	v_add_co_u32_e64 v2, s[26:27], v10, v2
	v_add_co_u32_e64 v40, s[26:27], -1, v2
; %bb.2018:                             ;   in Loop: Header=BB4_1924 Depth=3
	s_or_b64 exec, exec, s[38:39]
	v_add_u32_e32 v2, 0xffffff81, v18
	v_mov_b32_e32 v11, 0xffffff82
	v_cndmask_b32_e32 v2, v2, v11, vcc
	v_lshrrev_b32_e32 v11, 23, v10
	v_add3_u32 v24, v21, v2, v11
	v_add_u32_e32 v18, 6, v24
	v_and_b32_e32 v2, 0xfffff, v40
	v_add_u32_e32 v2, v2, v10
	v_cmp_ne_u32_e32 vcc, 0, v18
                                        ; implicit-def: $vgpr10_vgpr11
                                        ; implicit-def: $vgpr21
	s_and_saveexec_b64 s[26:27], vcc
	s_xor_b64 s[26:27], exec, s[26:27]
; %bb.2019:                             ;   in Loop: Header=BB4_1924 Depth=3
	v_cmp_lt_u64_e32 vcc, s[74:75], v[2:3]
	v_add_u32_e32 v10, 7, v24
	v_cndmask_b32_e32 v21, v18, v10, vcc
	v_cndmask_b32_e64 v10, 0, 1, vcc
	v_lshrrev_b64 v[10:11], v10, v[2:3]
; %bb.2020:                             ;   in Loop: Header=BB4_1924 Depth=3
	s_andn2_saveexec_b64 s[26:27], s[26:27]
; %bb.2021:                             ;   in Loop: Header=BB4_1924 Depth=3
	v_mov_b32_e32 v11, v3
	v_bfe_u32 v21, v2, 23, 1
	v_mov_b32_e32 v10, v2
; %bb.2022:                             ;   in Loop: Header=BB4_1924 Depth=3
	s_or_b64 exec, exec, s[26:27]
	v_lshrrev_b64 v[10:11], 20, v[10:11]
	v_cmp_gt_i32_e32 vcc, 16, v21
	v_cndmask_b32_e32 v11, 0, v11, vcc
	v_cndmask_b32_e32 v10, 7, v10, vcc
	v_cmp_ne_u64_e32 vcc, 0, v[10:11]
	v_cmp_ne_u32_e64 s[26:27], 0, v21
	s_or_b64 s[26:27], s[26:27], vcc
                                        ; implicit-def: $vgpr18
	s_and_saveexec_b64 vcc, s[26:27]
	s_xor_b64 s[26:27], exec, vcc
; %bb.2023:                             ;   in Loop: Header=BB4_1924 Depth=3
	v_min_i32_e32 v2, 15, v21
	v_lshl_or_b32 v2, v2, 3, v20
	v_and_or_b32 v18, v10, 7, v2
                                        ; implicit-def: $vgpr20
; %bb.2024:                             ;   in Loop: Header=BB4_1924 Depth=3
	s_andn2_saveexec_b64 s[26:27], s[26:27]
; %bb.2025:                             ;   in Loop: Header=BB4_1924 Depth=3
	v_mov_b32_e32 v18, v20
; %bb.2026:                             ;   in Loop: Header=BB4_1924 Depth=3
	s_or_b64 exec, exec, s[26:27]
.LBB4_2027:                             ;   in Loop: Header=BB4_1924 Depth=3
	s_or_b64 exec, exec, s[36:37]
                                        ; implicit-def: $vgpr20
.LBB4_2028:                             ;   in Loop: Header=BB4_1924 Depth=3
	s_andn2_saveexec_b64 s[26:27], s[34:35]
; %bb.2029:                             ;   in Loop: Header=BB4_1924 Depth=3
	v_or_b32_e32 v18, 0x7e, v20
; %bb.2030:                             ;   in Loop: Header=BB4_1924 Depth=3
	s_or_b64 exec, exec, s[26:27]
                                        ; implicit-def: $vgpr10
.LBB4_2031:                             ;   in Loop: Header=BB4_1924 Depth=3
	s_andn2_saveexec_b64 s[26:27], s[30:31]
; %bb.2032:                             ;   in Loop: Header=BB4_1924 Depth=3
	v_or_b32_sdwa v18, v10, s68 dst_sel:DWORD dst_unused:UNUSED_PAD src0_sel:BYTE_3 src1_sel:DWORD
; %bb.2033:                             ;   in Loop: Header=BB4_1924 Depth=3
	s_or_b64 exec, exec, s[26:27]
	flat_load_ubyte v10, v[8:9] offset:256 glc slc
	v_mov_b32_e32 v11, 0
	s_waitcnt vmcnt(0) lgkmcnt(0)
	v_cmp_ne_u16_e32 vcc, 0, v10
	s_and_saveexec_b64 s[26:27], vcc
	s_cbranch_execz .LBB4_2039
; %bb.2034:                             ;   in Loop: Header=BB4_1924 Depth=3
	v_cmp_ne_u16_e32 vcc, s70, v10
	v_bfrev_b32_e32 v11, 1
	s_and_saveexec_b64 s[30:31], vcc
	s_cbranch_execz .LBB4_2038
; %bb.2035:                             ;   in Loop: Header=BB4_1924 Depth=3
	v_and_b32_e32 v2, 0xffff, v10
	v_and_b32_e32 v20, 0x7f, v2
	v_cmp_ne_u32_e32 vcc, s68, v20
	v_mov_b32_e32 v11, 0x7f800001
	s_and_saveexec_b64 s[34:35], vcc
	s_cbranch_execz .LBB4_2037
; %bb.2036:                             ;   in Loop: Header=BB4_1924 Depth=3
	v_and_b32_e32 v11, 7, v2
	v_lshrrev_b32_e32 v22, 3, v20
	v_cmp_gt_u32_e32 vcc, 8, v20
	v_ffbh_u32_e32 v20, v11
	v_min_u32_e32 v23, 32, v20
	v_subrev_u32_e32 v20, 28, v23
	v_lshlrev_b64 v[20:21], v20, v[2:3]
	v_sub_u32_e32 v2, 29, v23
	v_and_b32_e32 v20, 7, v20
	v_cndmask_b32_e32 v2, v22, v2, vcc
	v_cndmask_b32_e32 v11, v11, v20, vcc
	v_lshlrev_b32_e32 v10, 24, v10
	v_lshlrev_b32_e32 v11, 20, v11
	v_and_b32_e32 v10, 0x80000000, v10
	v_lshl_add_u32 v2, v2, 23, v5
	v_or3_b32 v11, v10, v2, v11
.LBB4_2037:                             ;   in Loop: Header=BB4_1924 Depth=3
	s_or_b64 exec, exec, s[34:35]
.LBB4_2038:                             ;   in Loop: Header=BB4_1924 Depth=3
	s_or_b64 exec, exec, s[30:31]
.LBB4_2039:                             ;   in Loop: Header=BB4_1924 Depth=3
	s_or_b64 exec, exec, s[26:27]
	v_mul_f32_e32 v10, s45, v11
	v_and_b32_e32 v2, 0x7f800000, v10
	v_cmp_ne_u64_e32 vcc, s[62:63], v[2:3]
                                        ; implicit-def: $vgpr20
	s_and_saveexec_b64 s[26:27], vcc
	s_xor_b64 s[30:31], exec, s[26:27]
	s_cbranch_execz .LBB4_2057
; %bb.2040:                             ;   in Loop: Header=BB4_1924 Depth=3
	v_and_b32_e32 v2, 0x7fffffff, v10
	v_cmp_gt_u64_e32 vcc, s[72:73], v[2:3]
	v_and_b32_sdwa v21, v10, s70 dst_sel:DWORD dst_unused:UNUSED_PAD src0_sel:BYTE_3 src1_sel:DWORD
                                        ; implicit-def: $vgpr20
	s_and_saveexec_b64 s[26:27], vcc
	s_xor_b64 s[34:35], exec, s[26:27]
	s_cbranch_execz .LBB4_2054
; %bb.2041:                             ;   in Loop: Header=BB4_1924 Depth=3
	v_cmp_ne_u32_e32 vcc, 0, v10
	v_mov_b32_e32 v20, 0
	s_and_saveexec_b64 s[36:37], vcc
	s_cbranch_execz .LBB4_2053
; %bb.2042:                             ;   in Loop: Header=BB4_1924 Depth=3
	v_bfe_u32 v20, v10, 23, 8
	v_and_b32_e32 v2, 0x7fffff, v10
	v_cmp_gt_u32_e64 s[26:27], s71, v20
	v_sub_u32_e32 v10, 0x79, v20
	v_cmp_eq_u32_e32 vcc, 0, v20
	v_cndmask_b32_e64 v10, 0, v10, s[26:27]
	v_mov_b32_e32 v22, 0x78
	v_cndmask_b32_e32 v24, v10, v22, vcc
	v_or_b32_e32 v11, 0x800000, v2
	v_add_u32_e32 v10, 20, v24
	v_cndmask_b32_e32 v2, v11, v2, vcc
	v_lshlrev_b64 v[10:11], v10, -1
	v_add_u32_e32 v22, 19, v24
	v_lshlrev_b64 v[25:26], v22, 1
	v_bfi_b32 v11, v11, 0, 0
	v_bfi_b32 v10, v10, 0, v2
	v_cmp_eq_u64_e64 s[26:27], v[10:11], v[25:26]
	v_lshrrev_b64 v[10:11], v24, v[2:3]
	v_mov_b32_e32 v41, v11
	v_mov_b32_e32 v40, v10
	s_and_saveexec_b64 s[38:39], s[26:27]
; %bb.2043:                             ;   in Loop: Header=BB4_1924 Depth=3
	v_bfe_u32 v2, v10, 20, 1
	v_add_co_u32_e64 v2, s[26:27], v10, v2
	v_add_co_u32_e64 v40, s[26:27], -1, v2
; %bb.2044:                             ;   in Loop: Header=BB4_1924 Depth=3
	s_or_b64 exec, exec, s[38:39]
	v_add_u32_e32 v2, 0xffffff81, v20
	v_mov_b32_e32 v11, 0xffffff82
	v_cndmask_b32_e32 v2, v2, v11, vcc
	v_lshrrev_b32_e32 v11, 23, v10
	v_add3_u32 v25, v24, v2, v11
	v_add_u32_e32 v20, 6, v25
	v_and_b32_e32 v2, 0xfffff, v40
	v_add_u32_e32 v2, v2, v10
	v_cmp_ne_u32_e32 vcc, 0, v20
                                        ; implicit-def: $vgpr10_vgpr11
                                        ; implicit-def: $vgpr24
	s_and_saveexec_b64 s[26:27], vcc
	s_xor_b64 s[26:27], exec, s[26:27]
; %bb.2045:                             ;   in Loop: Header=BB4_1924 Depth=3
	v_cmp_lt_u64_e32 vcc, s[74:75], v[2:3]
	v_add_u32_e32 v10, 7, v25
	v_cndmask_b32_e32 v24, v20, v10, vcc
	v_cndmask_b32_e64 v10, 0, 1, vcc
	v_lshrrev_b64 v[10:11], v10, v[2:3]
; %bb.2046:                             ;   in Loop: Header=BB4_1924 Depth=3
	s_andn2_saveexec_b64 s[26:27], s[26:27]
; %bb.2047:                             ;   in Loop: Header=BB4_1924 Depth=3
	v_mov_b32_e32 v11, v3
	v_bfe_u32 v24, v2, 23, 1
	v_mov_b32_e32 v10, v2
; %bb.2048:                             ;   in Loop: Header=BB4_1924 Depth=3
	s_or_b64 exec, exec, s[26:27]
	v_lshrrev_b64 v[10:11], 20, v[10:11]
	v_cmp_gt_i32_e32 vcc, 16, v24
	v_cndmask_b32_e32 v11, 0, v11, vcc
	v_cndmask_b32_e32 v10, 7, v10, vcc
	v_cmp_ne_u64_e32 vcc, 0, v[10:11]
	v_cmp_ne_u32_e64 s[26:27], 0, v24
	s_or_b64 s[26:27], s[26:27], vcc
                                        ; implicit-def: $vgpr20
	s_and_saveexec_b64 vcc, s[26:27]
	s_xor_b64 s[26:27], exec, vcc
; %bb.2049:                             ;   in Loop: Header=BB4_1924 Depth=3
	v_min_i32_e32 v2, 15, v24
	v_lshl_or_b32 v2, v2, 3, v21
	v_and_or_b32 v20, v10, 7, v2
                                        ; implicit-def: $vgpr21
; %bb.2050:                             ;   in Loop: Header=BB4_1924 Depth=3
	s_andn2_saveexec_b64 s[26:27], s[26:27]
; %bb.2051:                             ;   in Loop: Header=BB4_1924 Depth=3
	v_mov_b32_e32 v20, v21
; %bb.2052:                             ;   in Loop: Header=BB4_1924 Depth=3
	s_or_b64 exec, exec, s[26:27]
.LBB4_2053:                             ;   in Loop: Header=BB4_1924 Depth=3
	s_or_b64 exec, exec, s[36:37]
                                        ; implicit-def: $vgpr21
.LBB4_2054:                             ;   in Loop: Header=BB4_1924 Depth=3
	s_andn2_saveexec_b64 s[26:27], s[34:35]
; %bb.2055:                             ;   in Loop: Header=BB4_1924 Depth=3
	v_or_b32_e32 v20, 0x7e, v21
; %bb.2056:                             ;   in Loop: Header=BB4_1924 Depth=3
	s_or_b64 exec, exec, s[26:27]
                                        ; implicit-def: $vgpr10
.LBB4_2057:                             ;   in Loop: Header=BB4_1924 Depth=3
	s_andn2_saveexec_b64 s[26:27], s[30:31]
; %bb.2058:                             ;   in Loop: Header=BB4_1924 Depth=3
	v_or_b32_sdwa v20, v10, s68 dst_sel:DWORD dst_unused:UNUSED_PAD src0_sel:BYTE_3 src1_sel:DWORD
; %bb.2059:                             ;   in Loop: Header=BB4_1924 Depth=3
	s_or_b64 exec, exec, s[26:27]
	flat_load_ubyte v10, v[8:9] offset:320 glc slc
	v_mov_b32_e32 v11, 0
	s_waitcnt vmcnt(0) lgkmcnt(0)
	v_cmp_ne_u16_e32 vcc, 0, v10
	s_and_saveexec_b64 s[26:27], vcc
	s_cbranch_execz .LBB4_2065
; %bb.2060:                             ;   in Loop: Header=BB4_1924 Depth=3
	v_cmp_ne_u16_e32 vcc, s70, v10
	v_bfrev_b32_e32 v11, 1
	s_and_saveexec_b64 s[30:31], vcc
	s_cbranch_execz .LBB4_2064
; %bb.2061:                             ;   in Loop: Header=BB4_1924 Depth=3
	v_and_b32_e32 v2, 0xffff, v10
	v_and_b32_e32 v21, 0x7f, v2
	v_cmp_ne_u32_e32 vcc, s68, v21
	v_mov_b32_e32 v11, 0x7f800001
	s_and_saveexec_b64 s[34:35], vcc
	s_cbranch_execz .LBB4_2063
; %bb.2062:                             ;   in Loop: Header=BB4_1924 Depth=3
	v_and_b32_e32 v11, 7, v2
	v_lshrrev_b32_e32 v22, 3, v21
	v_cmp_gt_u32_e32 vcc, 8, v21
	v_ffbh_u32_e32 v21, v11
	v_min_u32_e32 v21, 32, v21
	v_subrev_u32_e32 v23, 28, v21
	v_lshlrev_b64 v[24:25], v23, v[2:3]
	v_sub_u32_e32 v2, 29, v21
	v_and_b32_e32 v21, 7, v24
	v_cndmask_b32_e32 v2, v22, v2, vcc
	v_cndmask_b32_e32 v11, v11, v21, vcc
	v_lshlrev_b32_e32 v10, 24, v10
	v_lshlrev_b32_e32 v11, 20, v11
	v_and_b32_e32 v10, 0x80000000, v10
	v_lshl_add_u32 v2, v2, 23, v5
	v_or3_b32 v11, v10, v2, v11
.LBB4_2063:                             ;   in Loop: Header=BB4_1924 Depth=3
	s_or_b64 exec, exec, s[34:35]
.LBB4_2064:                             ;   in Loop: Header=BB4_1924 Depth=3
	s_or_b64 exec, exec, s[30:31]
.LBB4_2065:                             ;   in Loop: Header=BB4_1924 Depth=3
	s_or_b64 exec, exec, s[26:27]
	v_mul_f32_e32 v10, s45, v11
	v_and_b32_e32 v2, 0x7f800000, v10
	v_cmp_ne_u64_e32 vcc, s[62:63], v[2:3]
                                        ; implicit-def: $vgpr21
	s_and_saveexec_b64 s[26:27], vcc
	s_xor_b64 s[30:31], exec, s[26:27]
	s_cbranch_execz .LBB4_2083
; %bb.2066:                             ;   in Loop: Header=BB4_1924 Depth=3
	v_and_b32_e32 v2, 0x7fffffff, v10
	v_cmp_gt_u64_e32 vcc, s[72:73], v[2:3]
	v_and_b32_sdwa v24, v10, s70 dst_sel:DWORD dst_unused:UNUSED_PAD src0_sel:BYTE_3 src1_sel:DWORD
                                        ; implicit-def: $vgpr21
	s_and_saveexec_b64 s[26:27], vcc
	s_xor_b64 s[34:35], exec, s[26:27]
	s_cbranch_execz .LBB4_2080
; %bb.2067:                             ;   in Loop: Header=BB4_1924 Depth=3
	v_cmp_ne_u32_e32 vcc, 0, v10
	v_mov_b32_e32 v21, 0
	s_and_saveexec_b64 s[36:37], vcc
	s_cbranch_execz .LBB4_2079
; %bb.2068:                             ;   in Loop: Header=BB4_1924 Depth=3
	v_bfe_u32 v21, v10, 23, 8
	v_and_b32_e32 v2, 0x7fffff, v10
	v_cmp_gt_u32_e64 s[26:27], s71, v21
	v_sub_u32_e32 v10, 0x79, v21
	v_cmp_eq_u32_e32 vcc, 0, v21
	v_cndmask_b32_e64 v10, 0, v10, s[26:27]
	v_mov_b32_e32 v22, 0x78
	v_cndmask_b32_e32 v25, v10, v22, vcc
	v_or_b32_e32 v11, 0x800000, v2
	v_add_u32_e32 v10, 20, v25
	v_cndmask_b32_e32 v2, v11, v2, vcc
	v_lshlrev_b64 v[10:11], v10, -1
	v_add_u32_e32 v22, 19, v25
	v_lshlrev_b64 v[26:27], v22, 1
	v_bfi_b32 v11, v11, 0, 0
	v_bfi_b32 v10, v10, 0, v2
	v_cmp_eq_u64_e64 s[26:27], v[10:11], v[26:27]
	v_lshrrev_b64 v[10:11], v25, v[2:3]
	v_mov_b32_e32 v41, v11
	v_mov_b32_e32 v40, v10
	s_and_saveexec_b64 s[38:39], s[26:27]
; %bb.2069:                             ;   in Loop: Header=BB4_1924 Depth=3
	v_bfe_u32 v2, v10, 20, 1
	v_add_co_u32_e64 v2, s[26:27], v10, v2
	v_add_co_u32_e64 v40, s[26:27], -1, v2
; %bb.2070:                             ;   in Loop: Header=BB4_1924 Depth=3
	s_or_b64 exec, exec, s[38:39]
	v_add_u32_e32 v2, 0xffffff81, v21
	v_mov_b32_e32 v11, 0xffffff82
	v_cndmask_b32_e32 v2, v2, v11, vcc
	v_lshrrev_b32_e32 v11, 23, v10
	v_add3_u32 v26, v25, v2, v11
	v_add_u32_e32 v21, 6, v26
	v_and_b32_e32 v2, 0xfffff, v40
	v_add_u32_e32 v2, v2, v10
	v_cmp_ne_u32_e32 vcc, 0, v21
                                        ; implicit-def: $vgpr10_vgpr11
                                        ; implicit-def: $vgpr25
	s_and_saveexec_b64 s[26:27], vcc
	s_xor_b64 s[26:27], exec, s[26:27]
; %bb.2071:                             ;   in Loop: Header=BB4_1924 Depth=3
	v_cmp_lt_u64_e32 vcc, s[74:75], v[2:3]
	v_add_u32_e32 v10, 7, v26
	v_cndmask_b32_e32 v25, v21, v10, vcc
	v_cndmask_b32_e64 v10, 0, 1, vcc
	v_lshrrev_b64 v[10:11], v10, v[2:3]
; %bb.2072:                             ;   in Loop: Header=BB4_1924 Depth=3
	s_andn2_saveexec_b64 s[26:27], s[26:27]
; %bb.2073:                             ;   in Loop: Header=BB4_1924 Depth=3
	v_mov_b32_e32 v11, v3
	v_bfe_u32 v25, v2, 23, 1
	v_mov_b32_e32 v10, v2
; %bb.2074:                             ;   in Loop: Header=BB4_1924 Depth=3
	s_or_b64 exec, exec, s[26:27]
	v_lshrrev_b64 v[10:11], 20, v[10:11]
	v_cmp_gt_i32_e32 vcc, 16, v25
	v_cndmask_b32_e32 v11, 0, v11, vcc
	v_cndmask_b32_e32 v10, 7, v10, vcc
	v_cmp_ne_u64_e32 vcc, 0, v[10:11]
	v_cmp_ne_u32_e64 s[26:27], 0, v25
	s_or_b64 s[26:27], s[26:27], vcc
                                        ; implicit-def: $vgpr21
	s_and_saveexec_b64 vcc, s[26:27]
	s_xor_b64 s[26:27], exec, vcc
; %bb.2075:                             ;   in Loop: Header=BB4_1924 Depth=3
	v_min_i32_e32 v2, 15, v25
	v_lshl_or_b32 v2, v2, 3, v24
	v_and_or_b32 v21, v10, 7, v2
                                        ; implicit-def: $vgpr24
; %bb.2076:                             ;   in Loop: Header=BB4_1924 Depth=3
	s_andn2_saveexec_b64 s[26:27], s[26:27]
; %bb.2077:                             ;   in Loop: Header=BB4_1924 Depth=3
	v_mov_b32_e32 v21, v24
; %bb.2078:                             ;   in Loop: Header=BB4_1924 Depth=3
	s_or_b64 exec, exec, s[26:27]
.LBB4_2079:                             ;   in Loop: Header=BB4_1924 Depth=3
	s_or_b64 exec, exec, s[36:37]
                                        ; implicit-def: $vgpr24
.LBB4_2080:                             ;   in Loop: Header=BB4_1924 Depth=3
	s_andn2_saveexec_b64 s[26:27], s[34:35]
; %bb.2081:                             ;   in Loop: Header=BB4_1924 Depth=3
	v_or_b32_e32 v21, 0x7e, v24
; %bb.2082:                             ;   in Loop: Header=BB4_1924 Depth=3
	s_or_b64 exec, exec, s[26:27]
                                        ; implicit-def: $vgpr10
.LBB4_2083:                             ;   in Loop: Header=BB4_1924 Depth=3
	s_andn2_saveexec_b64 s[26:27], s[30:31]
; %bb.2084:                             ;   in Loop: Header=BB4_1924 Depth=3
	v_or_b32_sdwa v21, v10, s68 dst_sel:DWORD dst_unused:UNUSED_PAD src0_sel:BYTE_3 src1_sel:DWORD
; %bb.2085:                             ;   in Loop: Header=BB4_1924 Depth=3
	s_or_b64 exec, exec, s[26:27]
	flat_load_ubyte v10, v[8:9] offset:384 glc slc
	v_mov_b32_e32 v11, 0
	s_waitcnt vmcnt(0) lgkmcnt(0)
	v_cmp_ne_u16_e32 vcc, 0, v10
	s_and_saveexec_b64 s[26:27], vcc
	s_cbranch_execz .LBB4_2091
; %bb.2086:                             ;   in Loop: Header=BB4_1924 Depth=3
	v_cmp_ne_u16_e32 vcc, s70, v10
	v_bfrev_b32_e32 v11, 1
	s_and_saveexec_b64 s[30:31], vcc
	s_cbranch_execz .LBB4_2090
; %bb.2087:                             ;   in Loop: Header=BB4_1924 Depth=3
	v_and_b32_e32 v2, 0xffff, v10
	v_and_b32_e32 v24, 0x7f, v2
	v_cmp_ne_u32_e32 vcc, s68, v24
	v_mov_b32_e32 v11, 0x7f800001
	s_and_saveexec_b64 s[34:35], vcc
	s_cbranch_execz .LBB4_2089
; %bb.2088:                             ;   in Loop: Header=BB4_1924 Depth=3
	v_and_b32_e32 v11, 7, v2
	v_ffbh_u32_e32 v23, v11
	v_min_u32_e32 v23, 32, v23
	v_lshrrev_b32_e32 v22, 3, v24
	v_cmp_gt_u32_e32 vcc, 8, v24
	v_subrev_u32_e32 v24, 28, v23
	v_lshlrev_b64 v[24:25], v24, v[2:3]
	v_sub_u32_e32 v2, 29, v23
	v_and_b32_e32 v23, 7, v24
	v_cndmask_b32_e32 v2, v22, v2, vcc
	v_cndmask_b32_e32 v11, v11, v23, vcc
	v_lshlrev_b32_e32 v10, 24, v10
	v_lshlrev_b32_e32 v11, 20, v11
	v_and_b32_e32 v10, 0x80000000, v10
	v_lshl_add_u32 v2, v2, 23, v5
	v_or3_b32 v11, v10, v2, v11
.LBB4_2089:                             ;   in Loop: Header=BB4_1924 Depth=3
	s_or_b64 exec, exec, s[34:35]
.LBB4_2090:                             ;   in Loop: Header=BB4_1924 Depth=3
	s_or_b64 exec, exec, s[30:31]
.LBB4_2091:                             ;   in Loop: Header=BB4_1924 Depth=3
	s_or_b64 exec, exec, s[26:27]
	v_mul_f32_e32 v10, s45, v11
	v_and_b32_e32 v2, 0x7f800000, v10
	v_cmp_ne_u64_e32 vcc, s[62:63], v[2:3]
                                        ; implicit-def: $vgpr24
	s_and_saveexec_b64 s[26:27], vcc
	s_xor_b64 s[30:31], exec, s[26:27]
	s_cbranch_execz .LBB4_2109
; %bb.2092:                             ;   in Loop: Header=BB4_1924 Depth=3
	v_and_b32_e32 v2, 0x7fffffff, v10
	v_cmp_gt_u64_e32 vcc, s[72:73], v[2:3]
	v_and_b32_sdwa v25, v10, s70 dst_sel:DWORD dst_unused:UNUSED_PAD src0_sel:BYTE_3 src1_sel:DWORD
                                        ; implicit-def: $vgpr24
	s_and_saveexec_b64 s[26:27], vcc
	s_xor_b64 s[34:35], exec, s[26:27]
	s_cbranch_execz .LBB4_2106
; %bb.2093:                             ;   in Loop: Header=BB4_1924 Depth=3
	v_cmp_ne_u32_e32 vcc, 0, v10
	v_mov_b32_e32 v24, 0
	s_and_saveexec_b64 s[36:37], vcc
	s_cbranch_execz .LBB4_2105
; %bb.2094:                             ;   in Loop: Header=BB4_1924 Depth=3
	v_bfe_u32 v24, v10, 23, 8
	v_and_b32_e32 v2, 0x7fffff, v10
	v_cmp_gt_u32_e64 s[26:27], s71, v24
	v_sub_u32_e32 v10, 0x79, v24
	v_cmp_eq_u32_e32 vcc, 0, v24
	v_cndmask_b32_e64 v10, 0, v10, s[26:27]
	v_mov_b32_e32 v22, 0x78
	v_cndmask_b32_e32 v26, v10, v22, vcc
	v_or_b32_e32 v11, 0x800000, v2
	v_add_u32_e32 v10, 20, v26
	v_cndmask_b32_e32 v2, v11, v2, vcc
	v_lshlrev_b64 v[10:11], v10, -1
	v_add_u32_e32 v22, 19, v26
	v_lshlrev_b64 v[27:28], v22, 1
	v_bfi_b32 v11, v11, 0, 0
	v_bfi_b32 v10, v10, 0, v2
	v_cmp_eq_u64_e64 s[26:27], v[10:11], v[27:28]
	v_lshrrev_b64 v[10:11], v26, v[2:3]
	v_mov_b32_e32 v41, v11
	v_mov_b32_e32 v40, v10
	s_and_saveexec_b64 s[38:39], s[26:27]
; %bb.2095:                             ;   in Loop: Header=BB4_1924 Depth=3
	v_bfe_u32 v2, v10, 20, 1
	v_add_co_u32_e64 v2, s[26:27], v10, v2
	v_add_co_u32_e64 v40, s[26:27], -1, v2
; %bb.2096:                             ;   in Loop: Header=BB4_1924 Depth=3
	s_or_b64 exec, exec, s[38:39]
	v_add_u32_e32 v2, 0xffffff81, v24
	v_mov_b32_e32 v11, 0xffffff82
	v_cndmask_b32_e32 v2, v2, v11, vcc
	v_lshrrev_b32_e32 v11, 23, v10
	v_add3_u32 v27, v26, v2, v11
	v_add_u32_e32 v24, 6, v27
	v_and_b32_e32 v2, 0xfffff, v40
	v_add_u32_e32 v2, v2, v10
	v_cmp_ne_u32_e32 vcc, 0, v24
                                        ; implicit-def: $vgpr10_vgpr11
                                        ; implicit-def: $vgpr26
	s_and_saveexec_b64 s[26:27], vcc
	s_xor_b64 s[26:27], exec, s[26:27]
; %bb.2097:                             ;   in Loop: Header=BB4_1924 Depth=3
	v_cmp_lt_u64_e32 vcc, s[74:75], v[2:3]
	v_add_u32_e32 v10, 7, v27
	v_cndmask_b32_e32 v26, v24, v10, vcc
	v_cndmask_b32_e64 v10, 0, 1, vcc
	v_lshrrev_b64 v[10:11], v10, v[2:3]
; %bb.2098:                             ;   in Loop: Header=BB4_1924 Depth=3
	s_andn2_saveexec_b64 s[26:27], s[26:27]
; %bb.2099:                             ;   in Loop: Header=BB4_1924 Depth=3
	v_mov_b32_e32 v11, v3
	v_bfe_u32 v26, v2, 23, 1
	v_mov_b32_e32 v10, v2
; %bb.2100:                             ;   in Loop: Header=BB4_1924 Depth=3
	s_or_b64 exec, exec, s[26:27]
	v_lshrrev_b64 v[10:11], 20, v[10:11]
	v_cmp_gt_i32_e32 vcc, 16, v26
	v_cndmask_b32_e32 v11, 0, v11, vcc
	v_cndmask_b32_e32 v10, 7, v10, vcc
	v_cmp_ne_u64_e32 vcc, 0, v[10:11]
	v_cmp_ne_u32_e64 s[26:27], 0, v26
	s_or_b64 s[26:27], s[26:27], vcc
                                        ; implicit-def: $vgpr24
	s_and_saveexec_b64 vcc, s[26:27]
	s_xor_b64 s[26:27], exec, vcc
; %bb.2101:                             ;   in Loop: Header=BB4_1924 Depth=3
	v_min_i32_e32 v2, 15, v26
	v_lshl_or_b32 v2, v2, 3, v25
	v_and_or_b32 v24, v10, 7, v2
                                        ; implicit-def: $vgpr25
; %bb.2102:                             ;   in Loop: Header=BB4_1924 Depth=3
	s_andn2_saveexec_b64 s[26:27], s[26:27]
; %bb.2103:                             ;   in Loop: Header=BB4_1924 Depth=3
	v_mov_b32_e32 v24, v25
; %bb.2104:                             ;   in Loop: Header=BB4_1924 Depth=3
	s_or_b64 exec, exec, s[26:27]
.LBB4_2105:                             ;   in Loop: Header=BB4_1924 Depth=3
	s_or_b64 exec, exec, s[36:37]
                                        ; implicit-def: $vgpr25
.LBB4_2106:                             ;   in Loop: Header=BB4_1924 Depth=3
	s_andn2_saveexec_b64 s[26:27], s[34:35]
; %bb.2107:                             ;   in Loop: Header=BB4_1924 Depth=3
	v_or_b32_e32 v24, 0x7e, v25
; %bb.2108:                             ;   in Loop: Header=BB4_1924 Depth=3
	s_or_b64 exec, exec, s[26:27]
                                        ; implicit-def: $vgpr10
.LBB4_2109:                             ;   in Loop: Header=BB4_1924 Depth=3
	s_andn2_saveexec_b64 s[26:27], s[30:31]
; %bb.2110:                             ;   in Loop: Header=BB4_1924 Depth=3
	v_or_b32_sdwa v24, v10, s68 dst_sel:DWORD dst_unused:UNUSED_PAD src0_sel:BYTE_3 src1_sel:DWORD
; %bb.2111:                             ;   in Loop: Header=BB4_1924 Depth=3
	s_or_b64 exec, exec, s[26:27]
	flat_load_ubyte v10, v[8:9] offset:448 glc slc
	v_mov_b32_e32 v11, 0
	s_waitcnt vmcnt(0) lgkmcnt(0)
	v_cmp_ne_u16_e32 vcc, 0, v10
	s_and_saveexec_b64 s[26:27], vcc
	s_cbranch_execz .LBB4_2117
; %bb.2112:                             ;   in Loop: Header=BB4_1924 Depth=3
	v_cmp_ne_u16_e32 vcc, s70, v10
	v_bfrev_b32_e32 v11, 1
	s_and_saveexec_b64 s[30:31], vcc
	s_cbranch_execz .LBB4_2116
; %bb.2113:                             ;   in Loop: Header=BB4_1924 Depth=3
	v_and_b32_e32 v2, 0xffff, v10
	v_and_b32_e32 v25, 0x7f, v2
	v_cmp_ne_u32_e32 vcc, s68, v25
	v_mov_b32_e32 v11, 0x7f800001
	s_and_saveexec_b64 s[34:35], vcc
	s_cbranch_execz .LBB4_2115
; %bb.2114:                             ;   in Loop: Header=BB4_1924 Depth=3
	v_and_b32_e32 v11, 7, v2
	v_ffbh_u32_e32 v23, v11
	v_min_u32_e32 v23, 32, v23
	v_lshrrev_b32_e32 v22, 3, v25
	v_cmp_gt_u32_e32 vcc, 8, v25
	v_subrev_u32_e32 v25, 28, v23
	v_lshlrev_b64 v[25:26], v25, v[2:3]
	v_sub_u32_e32 v2, 29, v23
	v_and_b32_e32 v23, 7, v25
	v_cndmask_b32_e32 v2, v22, v2, vcc
	v_cndmask_b32_e32 v11, v11, v23, vcc
	v_lshlrev_b32_e32 v10, 24, v10
	v_lshlrev_b32_e32 v11, 20, v11
	v_and_b32_e32 v10, 0x80000000, v10
	v_lshl_add_u32 v2, v2, 23, v5
	v_or3_b32 v11, v10, v2, v11
.LBB4_2115:                             ;   in Loop: Header=BB4_1924 Depth=3
	s_or_b64 exec, exec, s[34:35]
.LBB4_2116:                             ;   in Loop: Header=BB4_1924 Depth=3
	s_or_b64 exec, exec, s[30:31]
.LBB4_2117:                             ;   in Loop: Header=BB4_1924 Depth=3
	s_or_b64 exec, exec, s[26:27]
	v_mul_f32_e32 v10, s45, v11
	v_and_b32_e32 v2, 0x7f800000, v10
	v_cmp_ne_u64_e32 vcc, s[62:63], v[2:3]
                                        ; implicit-def: $vgpr25
	s_and_saveexec_b64 s[26:27], vcc
	s_xor_b64 s[30:31], exec, s[26:27]
	s_cbranch_execz .LBB4_2135
; %bb.2118:                             ;   in Loop: Header=BB4_1924 Depth=3
	v_and_b32_e32 v2, 0x7fffffff, v10
	v_cmp_gt_u64_e32 vcc, s[72:73], v[2:3]
	v_and_b32_sdwa v26, v10, s70 dst_sel:DWORD dst_unused:UNUSED_PAD src0_sel:BYTE_3 src1_sel:DWORD
                                        ; implicit-def: $vgpr25
	s_and_saveexec_b64 s[26:27], vcc
	s_xor_b64 s[34:35], exec, s[26:27]
	s_cbranch_execz .LBB4_2132
; %bb.2119:                             ;   in Loop: Header=BB4_1924 Depth=3
	v_cmp_ne_u32_e32 vcc, 0, v10
	v_mov_b32_e32 v25, 0
	s_and_saveexec_b64 s[36:37], vcc
	s_cbranch_execz .LBB4_2131
; %bb.2120:                             ;   in Loop: Header=BB4_1924 Depth=3
	v_bfe_u32 v25, v10, 23, 8
	v_and_b32_e32 v2, 0x7fffff, v10
	v_cmp_gt_u32_e64 s[26:27], s71, v25
	v_sub_u32_e32 v10, 0x79, v25
	v_cmp_eq_u32_e32 vcc, 0, v25
	v_cndmask_b32_e64 v10, 0, v10, s[26:27]
	v_mov_b32_e32 v22, 0x78
	v_cndmask_b32_e32 v27, v10, v22, vcc
	v_or_b32_e32 v11, 0x800000, v2
	v_add_u32_e32 v10, 20, v27
	v_cndmask_b32_e32 v2, v11, v2, vcc
	v_lshlrev_b64 v[10:11], v10, -1
	v_add_u32_e32 v22, 19, v27
	v_lshlrev_b64 v[28:29], v22, 1
	v_bfi_b32 v11, v11, 0, 0
	v_bfi_b32 v10, v10, 0, v2
	v_cmp_eq_u64_e64 s[26:27], v[10:11], v[28:29]
	v_lshrrev_b64 v[10:11], v27, v[2:3]
	v_mov_b32_e32 v41, v11
	v_mov_b32_e32 v40, v10
	s_and_saveexec_b64 s[38:39], s[26:27]
; %bb.2121:                             ;   in Loop: Header=BB4_1924 Depth=3
	v_bfe_u32 v2, v10, 20, 1
	v_add_co_u32_e64 v2, s[26:27], v10, v2
	v_add_co_u32_e64 v40, s[26:27], -1, v2
; %bb.2122:                             ;   in Loop: Header=BB4_1924 Depth=3
	s_or_b64 exec, exec, s[38:39]
	v_add_u32_e32 v2, 0xffffff81, v25
	v_mov_b32_e32 v11, 0xffffff82
	v_cndmask_b32_e32 v2, v2, v11, vcc
	v_lshrrev_b32_e32 v11, 23, v10
	v_add3_u32 v28, v27, v2, v11
	v_add_u32_e32 v25, 6, v28
	v_and_b32_e32 v2, 0xfffff, v40
	v_add_u32_e32 v2, v2, v10
	v_cmp_ne_u32_e32 vcc, 0, v25
                                        ; implicit-def: $vgpr10_vgpr11
                                        ; implicit-def: $vgpr27
	s_and_saveexec_b64 s[26:27], vcc
	s_xor_b64 s[26:27], exec, s[26:27]
; %bb.2123:                             ;   in Loop: Header=BB4_1924 Depth=3
	v_cmp_lt_u64_e32 vcc, s[74:75], v[2:3]
	v_add_u32_e32 v10, 7, v28
	v_cndmask_b32_e32 v27, v25, v10, vcc
	v_cndmask_b32_e64 v10, 0, 1, vcc
	v_lshrrev_b64 v[10:11], v10, v[2:3]
; %bb.2124:                             ;   in Loop: Header=BB4_1924 Depth=3
	s_andn2_saveexec_b64 s[26:27], s[26:27]
; %bb.2125:                             ;   in Loop: Header=BB4_1924 Depth=3
	v_mov_b32_e32 v11, v3
	v_bfe_u32 v27, v2, 23, 1
	v_mov_b32_e32 v10, v2
; %bb.2126:                             ;   in Loop: Header=BB4_1924 Depth=3
	s_or_b64 exec, exec, s[26:27]
	v_lshrrev_b64 v[10:11], 20, v[10:11]
	v_cmp_gt_i32_e32 vcc, 16, v27
	v_cndmask_b32_e32 v11, 0, v11, vcc
	v_cndmask_b32_e32 v10, 7, v10, vcc
	v_cmp_ne_u64_e32 vcc, 0, v[10:11]
	v_cmp_ne_u32_e64 s[26:27], 0, v27
	s_or_b64 s[26:27], s[26:27], vcc
                                        ; implicit-def: $vgpr25
	s_and_saveexec_b64 vcc, s[26:27]
	s_xor_b64 s[26:27], exec, vcc
; %bb.2127:                             ;   in Loop: Header=BB4_1924 Depth=3
	v_min_i32_e32 v2, 15, v27
	v_lshl_or_b32 v2, v2, 3, v26
	v_and_or_b32 v25, v10, 7, v2
                                        ; implicit-def: $vgpr26
; %bb.2128:                             ;   in Loop: Header=BB4_1924 Depth=3
	s_andn2_saveexec_b64 s[26:27], s[26:27]
; %bb.2129:                             ;   in Loop: Header=BB4_1924 Depth=3
	v_mov_b32_e32 v25, v26
; %bb.2130:                             ;   in Loop: Header=BB4_1924 Depth=3
	s_or_b64 exec, exec, s[26:27]
.LBB4_2131:                             ;   in Loop: Header=BB4_1924 Depth=3
	s_or_b64 exec, exec, s[36:37]
                                        ; implicit-def: $vgpr26
.LBB4_2132:                             ;   in Loop: Header=BB4_1924 Depth=3
	s_andn2_saveexec_b64 s[26:27], s[34:35]
; %bb.2133:                             ;   in Loop: Header=BB4_1924 Depth=3
	v_or_b32_e32 v25, 0x7e, v26
; %bb.2134:                             ;   in Loop: Header=BB4_1924 Depth=3
	s_or_b64 exec, exec, s[26:27]
                                        ; implicit-def: $vgpr10
.LBB4_2135:                             ;   in Loop: Header=BB4_1924 Depth=3
	s_andn2_saveexec_b64 s[26:27], s[30:31]
; %bb.2136:                             ;   in Loop: Header=BB4_1924 Depth=3
	v_or_b32_sdwa v25, v10, s68 dst_sel:DWORD dst_unused:UNUSED_PAD src0_sel:BYTE_3 src1_sel:DWORD
; %bb.2137:                             ;   in Loop: Header=BB4_1924 Depth=3
	s_or_b64 exec, exec, s[26:27]
	flat_load_ubyte v10, v[8:9] offset:512 glc slc
	v_mov_b32_e32 v11, 0
	s_waitcnt vmcnt(0) lgkmcnt(0)
	v_cmp_ne_u16_e32 vcc, 0, v10
	s_and_saveexec_b64 s[26:27], vcc
	s_cbranch_execz .LBB4_2143
; %bb.2138:                             ;   in Loop: Header=BB4_1924 Depth=3
	v_cmp_ne_u16_e32 vcc, s70, v10
	v_bfrev_b32_e32 v11, 1
	s_and_saveexec_b64 s[30:31], vcc
	s_cbranch_execz .LBB4_2142
; %bb.2139:                             ;   in Loop: Header=BB4_1924 Depth=3
	v_and_b32_e32 v2, 0xffff, v10
	v_and_b32_e32 v26, 0x7f, v2
	v_cmp_ne_u32_e32 vcc, s68, v26
	v_mov_b32_e32 v11, 0x7f800001
	s_and_saveexec_b64 s[34:35], vcc
	s_cbranch_execz .LBB4_2141
; %bb.2140:                             ;   in Loop: Header=BB4_1924 Depth=3
	v_and_b32_e32 v11, 7, v2
	v_ffbh_u32_e32 v23, v11
	v_min_u32_e32 v23, 32, v23
	v_lshrrev_b32_e32 v22, 3, v26
	v_cmp_gt_u32_e32 vcc, 8, v26
	v_subrev_u32_e32 v26, 28, v23
	v_lshlrev_b64 v[26:27], v26, v[2:3]
	v_sub_u32_e32 v2, 29, v23
	v_and_b32_e32 v23, 7, v26
	v_cndmask_b32_e32 v2, v22, v2, vcc
	v_cndmask_b32_e32 v11, v11, v23, vcc
	v_lshlrev_b32_e32 v10, 24, v10
	v_lshlrev_b32_e32 v11, 20, v11
	v_and_b32_e32 v10, 0x80000000, v10
	v_lshl_add_u32 v2, v2, 23, v5
	v_or3_b32 v11, v10, v2, v11
.LBB4_2141:                             ;   in Loop: Header=BB4_1924 Depth=3
	s_or_b64 exec, exec, s[34:35]
.LBB4_2142:                             ;   in Loop: Header=BB4_1924 Depth=3
	s_or_b64 exec, exec, s[30:31]
.LBB4_2143:                             ;   in Loop: Header=BB4_1924 Depth=3
	s_or_b64 exec, exec, s[26:27]
	v_mul_f32_e32 v10, s45, v11
	v_and_b32_e32 v2, 0x7f800000, v10
	v_cmp_ne_u64_e32 vcc, s[62:63], v[2:3]
                                        ; implicit-def: $vgpr26
	s_and_saveexec_b64 s[26:27], vcc
	s_xor_b64 s[30:31], exec, s[26:27]
	s_cbranch_execz .LBB4_2161
; %bb.2144:                             ;   in Loop: Header=BB4_1924 Depth=3
	v_and_b32_e32 v2, 0x7fffffff, v10
	v_cmp_gt_u64_e32 vcc, s[72:73], v[2:3]
	v_and_b32_sdwa v27, v10, s70 dst_sel:DWORD dst_unused:UNUSED_PAD src0_sel:BYTE_3 src1_sel:DWORD
                                        ; implicit-def: $vgpr26
	s_and_saveexec_b64 s[26:27], vcc
	s_xor_b64 s[34:35], exec, s[26:27]
	s_cbranch_execz .LBB4_2158
; %bb.2145:                             ;   in Loop: Header=BB4_1924 Depth=3
	v_cmp_ne_u32_e32 vcc, 0, v10
	v_mov_b32_e32 v26, 0
	s_and_saveexec_b64 s[36:37], vcc
	s_cbranch_execz .LBB4_2157
; %bb.2146:                             ;   in Loop: Header=BB4_1924 Depth=3
	v_bfe_u32 v26, v10, 23, 8
	v_and_b32_e32 v2, 0x7fffff, v10
	v_cmp_gt_u32_e64 s[26:27], s71, v26
	v_sub_u32_e32 v10, 0x79, v26
	v_cmp_eq_u32_e32 vcc, 0, v26
	v_cndmask_b32_e64 v10, 0, v10, s[26:27]
	v_mov_b32_e32 v22, 0x78
	v_cndmask_b32_e32 v28, v10, v22, vcc
	v_or_b32_e32 v11, 0x800000, v2
	v_add_u32_e32 v10, 20, v28
	v_cndmask_b32_e32 v2, v11, v2, vcc
	v_lshlrev_b64 v[10:11], v10, -1
	v_add_u32_e32 v22, 19, v28
	v_lshlrev_b64 v[29:30], v22, 1
	v_bfi_b32 v11, v11, 0, 0
	v_bfi_b32 v10, v10, 0, v2
	v_cmp_eq_u64_e64 s[26:27], v[10:11], v[29:30]
	v_lshrrev_b64 v[10:11], v28, v[2:3]
	v_mov_b32_e32 v41, v11
	v_mov_b32_e32 v40, v10
	s_and_saveexec_b64 s[38:39], s[26:27]
; %bb.2147:                             ;   in Loop: Header=BB4_1924 Depth=3
	v_bfe_u32 v2, v10, 20, 1
	v_add_co_u32_e64 v2, s[26:27], v10, v2
	v_add_co_u32_e64 v40, s[26:27], -1, v2
; %bb.2148:                             ;   in Loop: Header=BB4_1924 Depth=3
	s_or_b64 exec, exec, s[38:39]
	v_add_u32_e32 v2, 0xffffff81, v26
	v_mov_b32_e32 v11, 0xffffff82
	v_cndmask_b32_e32 v2, v2, v11, vcc
	v_lshrrev_b32_e32 v11, 23, v10
	v_add3_u32 v29, v28, v2, v11
	v_add_u32_e32 v26, 6, v29
	v_and_b32_e32 v2, 0xfffff, v40
	v_add_u32_e32 v2, v2, v10
	v_cmp_ne_u32_e32 vcc, 0, v26
                                        ; implicit-def: $vgpr10_vgpr11
                                        ; implicit-def: $vgpr28
	s_and_saveexec_b64 s[26:27], vcc
	s_xor_b64 s[26:27], exec, s[26:27]
; %bb.2149:                             ;   in Loop: Header=BB4_1924 Depth=3
	v_cmp_lt_u64_e32 vcc, s[74:75], v[2:3]
	v_add_u32_e32 v10, 7, v29
	v_cndmask_b32_e32 v28, v26, v10, vcc
	v_cndmask_b32_e64 v10, 0, 1, vcc
	v_lshrrev_b64 v[10:11], v10, v[2:3]
; %bb.2150:                             ;   in Loop: Header=BB4_1924 Depth=3
	s_andn2_saveexec_b64 s[26:27], s[26:27]
; %bb.2151:                             ;   in Loop: Header=BB4_1924 Depth=3
	v_mov_b32_e32 v11, v3
	v_bfe_u32 v28, v2, 23, 1
	v_mov_b32_e32 v10, v2
; %bb.2152:                             ;   in Loop: Header=BB4_1924 Depth=3
	s_or_b64 exec, exec, s[26:27]
	v_lshrrev_b64 v[10:11], 20, v[10:11]
	v_cmp_gt_i32_e32 vcc, 16, v28
	v_cndmask_b32_e32 v11, 0, v11, vcc
	v_cndmask_b32_e32 v10, 7, v10, vcc
	v_cmp_ne_u64_e32 vcc, 0, v[10:11]
	v_cmp_ne_u32_e64 s[26:27], 0, v28
	s_or_b64 s[26:27], s[26:27], vcc
                                        ; implicit-def: $vgpr26
	s_and_saveexec_b64 vcc, s[26:27]
	s_xor_b64 s[26:27], exec, vcc
; %bb.2153:                             ;   in Loop: Header=BB4_1924 Depth=3
	v_min_i32_e32 v2, 15, v28
	v_lshl_or_b32 v2, v2, 3, v27
	v_and_or_b32 v26, v10, 7, v2
                                        ; implicit-def: $vgpr27
; %bb.2154:                             ;   in Loop: Header=BB4_1924 Depth=3
	s_andn2_saveexec_b64 s[26:27], s[26:27]
; %bb.2155:                             ;   in Loop: Header=BB4_1924 Depth=3
	v_mov_b32_e32 v26, v27
; %bb.2156:                             ;   in Loop: Header=BB4_1924 Depth=3
	s_or_b64 exec, exec, s[26:27]
.LBB4_2157:                             ;   in Loop: Header=BB4_1924 Depth=3
	s_or_b64 exec, exec, s[36:37]
                                        ; implicit-def: $vgpr27
.LBB4_2158:                             ;   in Loop: Header=BB4_1924 Depth=3
	s_andn2_saveexec_b64 s[26:27], s[34:35]
; %bb.2159:                             ;   in Loop: Header=BB4_1924 Depth=3
	v_or_b32_e32 v26, 0x7e, v27
; %bb.2160:                             ;   in Loop: Header=BB4_1924 Depth=3
	s_or_b64 exec, exec, s[26:27]
                                        ; implicit-def: $vgpr10
.LBB4_2161:                             ;   in Loop: Header=BB4_1924 Depth=3
	s_andn2_saveexec_b64 s[26:27], s[30:31]
; %bb.2162:                             ;   in Loop: Header=BB4_1924 Depth=3
	v_or_b32_sdwa v26, v10, s68 dst_sel:DWORD dst_unused:UNUSED_PAD src0_sel:BYTE_3 src1_sel:DWORD
; %bb.2163:                             ;   in Loop: Header=BB4_1924 Depth=3
	s_or_b64 exec, exec, s[26:27]
	flat_load_ubyte v10, v[8:9] offset:576 glc slc
	v_mov_b32_e32 v11, 0
	s_waitcnt vmcnt(0) lgkmcnt(0)
	v_cmp_ne_u16_e32 vcc, 0, v10
	s_and_saveexec_b64 s[26:27], vcc
	s_cbranch_execz .LBB4_2169
; %bb.2164:                             ;   in Loop: Header=BB4_1924 Depth=3
	v_cmp_ne_u16_e32 vcc, s70, v10
	v_bfrev_b32_e32 v11, 1
	s_and_saveexec_b64 s[30:31], vcc
	s_cbranch_execz .LBB4_2168
; %bb.2165:                             ;   in Loop: Header=BB4_1924 Depth=3
	v_and_b32_e32 v2, 0xffff, v10
	v_and_b32_e32 v27, 0x7f, v2
	v_cmp_ne_u32_e32 vcc, s68, v27
	v_mov_b32_e32 v11, 0x7f800001
	s_and_saveexec_b64 s[34:35], vcc
	s_cbranch_execz .LBB4_2167
; %bb.2166:                             ;   in Loop: Header=BB4_1924 Depth=3
	v_and_b32_e32 v11, 7, v2
	v_ffbh_u32_e32 v23, v11
	v_min_u32_e32 v23, 32, v23
	v_lshrrev_b32_e32 v22, 3, v27
	v_cmp_gt_u32_e32 vcc, 8, v27
	v_subrev_u32_e32 v27, 28, v23
	v_lshlrev_b64 v[27:28], v27, v[2:3]
	v_sub_u32_e32 v2, 29, v23
	v_and_b32_e32 v23, 7, v27
	v_cndmask_b32_e32 v2, v22, v2, vcc
	v_cndmask_b32_e32 v11, v11, v23, vcc
	v_lshlrev_b32_e32 v10, 24, v10
	v_lshlrev_b32_e32 v11, 20, v11
	v_and_b32_e32 v10, 0x80000000, v10
	v_lshl_add_u32 v2, v2, 23, v5
	v_or3_b32 v11, v10, v2, v11
.LBB4_2167:                             ;   in Loop: Header=BB4_1924 Depth=3
	s_or_b64 exec, exec, s[34:35]
.LBB4_2168:                             ;   in Loop: Header=BB4_1924 Depth=3
	s_or_b64 exec, exec, s[30:31]
.LBB4_2169:                             ;   in Loop: Header=BB4_1924 Depth=3
	s_or_b64 exec, exec, s[26:27]
	v_mul_f32_e32 v10, s45, v11
	v_and_b32_e32 v2, 0x7f800000, v10
	v_cmp_ne_u64_e32 vcc, s[62:63], v[2:3]
                                        ; implicit-def: $vgpr27
	s_and_saveexec_b64 s[26:27], vcc
	s_xor_b64 s[30:31], exec, s[26:27]
	s_cbranch_execz .LBB4_2187
; %bb.2170:                             ;   in Loop: Header=BB4_1924 Depth=3
	v_and_b32_e32 v2, 0x7fffffff, v10
	v_cmp_gt_u64_e32 vcc, s[72:73], v[2:3]
	v_and_b32_sdwa v28, v10, s70 dst_sel:DWORD dst_unused:UNUSED_PAD src0_sel:BYTE_3 src1_sel:DWORD
                                        ; implicit-def: $vgpr27
	s_and_saveexec_b64 s[26:27], vcc
	s_xor_b64 s[34:35], exec, s[26:27]
	s_cbranch_execz .LBB4_2184
; %bb.2171:                             ;   in Loop: Header=BB4_1924 Depth=3
	v_cmp_ne_u32_e32 vcc, 0, v10
	v_mov_b32_e32 v27, 0
	s_and_saveexec_b64 s[36:37], vcc
	s_cbranch_execz .LBB4_2183
; %bb.2172:                             ;   in Loop: Header=BB4_1924 Depth=3
	v_bfe_u32 v27, v10, 23, 8
	v_and_b32_e32 v2, 0x7fffff, v10
	v_cmp_gt_u32_e64 s[26:27], s71, v27
	v_sub_u32_e32 v10, 0x79, v27
	v_cmp_eq_u32_e32 vcc, 0, v27
	v_cndmask_b32_e64 v10, 0, v10, s[26:27]
	v_mov_b32_e32 v22, 0x78
	v_cndmask_b32_e32 v29, v10, v22, vcc
	v_or_b32_e32 v11, 0x800000, v2
	v_add_u32_e32 v10, 20, v29
	v_cndmask_b32_e32 v2, v11, v2, vcc
	v_lshlrev_b64 v[10:11], v10, -1
	v_add_u32_e32 v22, 19, v29
	v_lshlrev_b64 v[30:31], v22, 1
	v_bfi_b32 v11, v11, 0, 0
	v_bfi_b32 v10, v10, 0, v2
	v_cmp_eq_u64_e64 s[26:27], v[10:11], v[30:31]
	v_lshrrev_b64 v[10:11], v29, v[2:3]
	v_mov_b32_e32 v41, v11
	v_mov_b32_e32 v40, v10
	s_and_saveexec_b64 s[38:39], s[26:27]
; %bb.2173:                             ;   in Loop: Header=BB4_1924 Depth=3
	v_bfe_u32 v2, v10, 20, 1
	v_add_co_u32_e64 v2, s[26:27], v10, v2
	v_add_co_u32_e64 v40, s[26:27], -1, v2
; %bb.2174:                             ;   in Loop: Header=BB4_1924 Depth=3
	s_or_b64 exec, exec, s[38:39]
	v_add_u32_e32 v2, 0xffffff81, v27
	v_mov_b32_e32 v11, 0xffffff82
	v_cndmask_b32_e32 v2, v2, v11, vcc
	v_lshrrev_b32_e32 v11, 23, v10
	v_add3_u32 v31, v29, v2, v11
	v_add_u32_e32 v27, 6, v31
	v_and_b32_e32 v2, 0xfffff, v40
	v_add_u32_e32 v2, v2, v10
	v_cmp_ne_u32_e32 vcc, 0, v27
                                        ; implicit-def: $vgpr10_vgpr11
                                        ; implicit-def: $vgpr29
	s_and_saveexec_b64 s[26:27], vcc
	s_xor_b64 s[26:27], exec, s[26:27]
; %bb.2175:                             ;   in Loop: Header=BB4_1924 Depth=3
	v_cmp_lt_u64_e32 vcc, s[74:75], v[2:3]
	v_add_u32_e32 v10, 7, v31
	v_cndmask_b32_e32 v29, v27, v10, vcc
	v_cndmask_b32_e64 v10, 0, 1, vcc
	v_lshrrev_b64 v[10:11], v10, v[2:3]
; %bb.2176:                             ;   in Loop: Header=BB4_1924 Depth=3
	s_andn2_saveexec_b64 s[26:27], s[26:27]
; %bb.2177:                             ;   in Loop: Header=BB4_1924 Depth=3
	v_mov_b32_e32 v11, v3
	v_bfe_u32 v29, v2, 23, 1
	v_mov_b32_e32 v10, v2
; %bb.2178:                             ;   in Loop: Header=BB4_1924 Depth=3
	s_or_b64 exec, exec, s[26:27]
	v_lshrrev_b64 v[10:11], 20, v[10:11]
	v_cmp_gt_i32_e32 vcc, 16, v29
	v_cndmask_b32_e32 v11, 0, v11, vcc
	v_cndmask_b32_e32 v10, 7, v10, vcc
	v_cmp_ne_u64_e32 vcc, 0, v[10:11]
	v_cmp_ne_u32_e64 s[26:27], 0, v29
	s_or_b64 s[26:27], s[26:27], vcc
                                        ; implicit-def: $vgpr27
	s_and_saveexec_b64 vcc, s[26:27]
	s_xor_b64 s[26:27], exec, vcc
; %bb.2179:                             ;   in Loop: Header=BB4_1924 Depth=3
	v_min_i32_e32 v2, 15, v29
	v_lshl_or_b32 v2, v2, 3, v28
	v_and_or_b32 v27, v10, 7, v2
                                        ; implicit-def: $vgpr28
; %bb.2180:                             ;   in Loop: Header=BB4_1924 Depth=3
	s_andn2_saveexec_b64 s[26:27], s[26:27]
; %bb.2181:                             ;   in Loop: Header=BB4_1924 Depth=3
	v_mov_b32_e32 v27, v28
; %bb.2182:                             ;   in Loop: Header=BB4_1924 Depth=3
	s_or_b64 exec, exec, s[26:27]
.LBB4_2183:                             ;   in Loop: Header=BB4_1924 Depth=3
	s_or_b64 exec, exec, s[36:37]
                                        ; implicit-def: $vgpr28
.LBB4_2184:                             ;   in Loop: Header=BB4_1924 Depth=3
	s_andn2_saveexec_b64 s[26:27], s[34:35]
; %bb.2185:                             ;   in Loop: Header=BB4_1924 Depth=3
	v_or_b32_e32 v27, 0x7e, v28
; %bb.2186:                             ;   in Loop: Header=BB4_1924 Depth=3
	s_or_b64 exec, exec, s[26:27]
                                        ; implicit-def: $vgpr10
.LBB4_2187:                             ;   in Loop: Header=BB4_1924 Depth=3
	s_andn2_saveexec_b64 s[26:27], s[30:31]
; %bb.2188:                             ;   in Loop: Header=BB4_1924 Depth=3
	v_or_b32_sdwa v27, v10, s68 dst_sel:DWORD dst_unused:UNUSED_PAD src0_sel:BYTE_3 src1_sel:DWORD
; %bb.2189:                             ;   in Loop: Header=BB4_1924 Depth=3
	s_or_b64 exec, exec, s[26:27]
	flat_load_ubyte v10, v[8:9] offset:640 glc slc
	v_mov_b32_e32 v11, 0
	s_waitcnt vmcnt(0) lgkmcnt(0)
	v_cmp_ne_u16_e32 vcc, 0, v10
	s_and_saveexec_b64 s[26:27], vcc
	s_cbranch_execz .LBB4_2195
; %bb.2190:                             ;   in Loop: Header=BB4_1924 Depth=3
	v_cmp_ne_u16_e32 vcc, s70, v10
	v_bfrev_b32_e32 v11, 1
	s_and_saveexec_b64 s[30:31], vcc
	s_cbranch_execz .LBB4_2194
; %bb.2191:                             ;   in Loop: Header=BB4_1924 Depth=3
	v_and_b32_e32 v2, 0xffff, v10
	v_and_b32_e32 v28, 0x7f, v2
	v_cmp_ne_u32_e32 vcc, s68, v28
	v_mov_b32_e32 v11, 0x7f800001
	s_and_saveexec_b64 s[34:35], vcc
	s_cbranch_execz .LBB4_2193
; %bb.2192:                             ;   in Loop: Header=BB4_1924 Depth=3
	v_and_b32_e32 v11, 7, v2
	v_ffbh_u32_e32 v23, v11
	v_min_u32_e32 v23, 32, v23
	v_lshrrev_b32_e32 v22, 3, v28
	v_cmp_gt_u32_e32 vcc, 8, v28
	v_subrev_u32_e32 v28, 28, v23
	v_lshlrev_b64 v[28:29], v28, v[2:3]
	v_sub_u32_e32 v2, 29, v23
	v_and_b32_e32 v23, 7, v28
	v_cndmask_b32_e32 v2, v22, v2, vcc
	v_cndmask_b32_e32 v11, v11, v23, vcc
	v_lshlrev_b32_e32 v10, 24, v10
	v_lshlrev_b32_e32 v11, 20, v11
	v_and_b32_e32 v10, 0x80000000, v10
	v_lshl_add_u32 v2, v2, 23, v5
	v_or3_b32 v11, v10, v2, v11
.LBB4_2193:                             ;   in Loop: Header=BB4_1924 Depth=3
	s_or_b64 exec, exec, s[34:35]
.LBB4_2194:                             ;   in Loop: Header=BB4_1924 Depth=3
	s_or_b64 exec, exec, s[30:31]
.LBB4_2195:                             ;   in Loop: Header=BB4_1924 Depth=3
	s_or_b64 exec, exec, s[26:27]
	v_mul_f32_e32 v10, s45, v11
	v_and_b32_e32 v2, 0x7f800000, v10
	v_cmp_ne_u64_e32 vcc, s[62:63], v[2:3]
                                        ; implicit-def: $vgpr28
	s_and_saveexec_b64 s[26:27], vcc
	s_xor_b64 s[30:31], exec, s[26:27]
	s_cbranch_execz .LBB4_2213
; %bb.2196:                             ;   in Loop: Header=BB4_1924 Depth=3
	v_and_b32_e32 v2, 0x7fffffff, v10
	v_cmp_gt_u64_e32 vcc, s[72:73], v[2:3]
	v_and_b32_sdwa v29, v10, s70 dst_sel:DWORD dst_unused:UNUSED_PAD src0_sel:BYTE_3 src1_sel:DWORD
                                        ; implicit-def: $vgpr28
	s_and_saveexec_b64 s[26:27], vcc
	s_xor_b64 s[34:35], exec, s[26:27]
	s_cbranch_execz .LBB4_2210
; %bb.2197:                             ;   in Loop: Header=BB4_1924 Depth=3
	v_cmp_ne_u32_e32 vcc, 0, v10
	v_mov_b32_e32 v28, 0
	s_and_saveexec_b64 s[36:37], vcc
	s_cbranch_execz .LBB4_2209
; %bb.2198:                             ;   in Loop: Header=BB4_1924 Depth=3
	v_bfe_u32 v28, v10, 23, 8
	v_and_b32_e32 v2, 0x7fffff, v10
	v_cmp_gt_u32_e64 s[26:27], s71, v28
	v_sub_u32_e32 v10, 0x79, v28
	v_cmp_eq_u32_e32 vcc, 0, v28
	v_cndmask_b32_e64 v10, 0, v10, s[26:27]
	v_mov_b32_e32 v22, 0x78
	v_cndmask_b32_e32 v31, v10, v22, vcc
	v_or_b32_e32 v11, 0x800000, v2
	v_add_u32_e32 v10, 20, v31
	v_cndmask_b32_e32 v2, v11, v2, vcc
	v_lshlrev_b64 v[10:11], v10, -1
	v_add_u32_e32 v22, 19, v31
	v_lshlrev_b64 v[34:35], v22, 1
	v_bfi_b32 v11, v11, 0, 0
	v_bfi_b32 v10, v10, 0, v2
	v_cmp_eq_u64_e64 s[26:27], v[10:11], v[34:35]
	v_lshrrev_b64 v[10:11], v31, v[2:3]
	v_mov_b32_e32 v41, v11
	v_mov_b32_e32 v40, v10
	s_and_saveexec_b64 s[38:39], s[26:27]
; %bb.2199:                             ;   in Loop: Header=BB4_1924 Depth=3
	v_bfe_u32 v2, v10, 20, 1
	v_add_co_u32_e64 v2, s[26:27], v10, v2
	v_add_co_u32_e64 v40, s[26:27], -1, v2
; %bb.2200:                             ;   in Loop: Header=BB4_1924 Depth=3
	s_or_b64 exec, exec, s[38:39]
	v_add_u32_e32 v2, 0xffffff81, v28
	v_mov_b32_e32 v11, 0xffffff82
	v_cndmask_b32_e32 v2, v2, v11, vcc
	v_lshrrev_b32_e32 v11, 23, v10
	v_add3_u32 v34, v31, v2, v11
	v_add_u32_e32 v28, 6, v34
	v_and_b32_e32 v2, 0xfffff, v40
	v_add_u32_e32 v2, v2, v10
	v_cmp_ne_u32_e32 vcc, 0, v28
                                        ; implicit-def: $vgpr10_vgpr11
                                        ; implicit-def: $vgpr31
	s_and_saveexec_b64 s[26:27], vcc
	s_xor_b64 s[26:27], exec, s[26:27]
; %bb.2201:                             ;   in Loop: Header=BB4_1924 Depth=3
	v_cmp_lt_u64_e32 vcc, s[74:75], v[2:3]
	v_add_u32_e32 v10, 7, v34
	v_cndmask_b32_e32 v31, v28, v10, vcc
	v_cndmask_b32_e64 v10, 0, 1, vcc
	v_lshrrev_b64 v[10:11], v10, v[2:3]
; %bb.2202:                             ;   in Loop: Header=BB4_1924 Depth=3
	s_andn2_saveexec_b64 s[26:27], s[26:27]
; %bb.2203:                             ;   in Loop: Header=BB4_1924 Depth=3
	v_mov_b32_e32 v11, v3
	v_bfe_u32 v31, v2, 23, 1
	v_mov_b32_e32 v10, v2
; %bb.2204:                             ;   in Loop: Header=BB4_1924 Depth=3
	s_or_b64 exec, exec, s[26:27]
	v_lshrrev_b64 v[10:11], 20, v[10:11]
	v_cmp_gt_i32_e32 vcc, 16, v31
	v_cndmask_b32_e32 v11, 0, v11, vcc
	v_cndmask_b32_e32 v10, 7, v10, vcc
	v_cmp_ne_u64_e32 vcc, 0, v[10:11]
	v_cmp_ne_u32_e64 s[26:27], 0, v31
	s_or_b64 s[26:27], s[26:27], vcc
                                        ; implicit-def: $vgpr28
	s_and_saveexec_b64 vcc, s[26:27]
	s_xor_b64 s[26:27], exec, vcc
; %bb.2205:                             ;   in Loop: Header=BB4_1924 Depth=3
	v_min_i32_e32 v2, 15, v31
	v_lshl_or_b32 v2, v2, 3, v29
	v_and_or_b32 v28, v10, 7, v2
                                        ; implicit-def: $vgpr29
; %bb.2206:                             ;   in Loop: Header=BB4_1924 Depth=3
	s_andn2_saveexec_b64 s[26:27], s[26:27]
; %bb.2207:                             ;   in Loop: Header=BB4_1924 Depth=3
	v_mov_b32_e32 v28, v29
; %bb.2208:                             ;   in Loop: Header=BB4_1924 Depth=3
	s_or_b64 exec, exec, s[26:27]
.LBB4_2209:                             ;   in Loop: Header=BB4_1924 Depth=3
	s_or_b64 exec, exec, s[36:37]
                                        ; implicit-def: $vgpr29
.LBB4_2210:                             ;   in Loop: Header=BB4_1924 Depth=3
	s_andn2_saveexec_b64 s[26:27], s[34:35]
; %bb.2211:                             ;   in Loop: Header=BB4_1924 Depth=3
	v_or_b32_e32 v28, 0x7e, v29
; %bb.2212:                             ;   in Loop: Header=BB4_1924 Depth=3
	s_or_b64 exec, exec, s[26:27]
                                        ; implicit-def: $vgpr10
.LBB4_2213:                             ;   in Loop: Header=BB4_1924 Depth=3
	s_andn2_saveexec_b64 s[26:27], s[30:31]
; %bb.2214:                             ;   in Loop: Header=BB4_1924 Depth=3
	v_or_b32_sdwa v28, v10, s68 dst_sel:DWORD dst_unused:UNUSED_PAD src0_sel:BYTE_3 src1_sel:DWORD
; %bb.2215:                             ;   in Loop: Header=BB4_1924 Depth=3
	s_or_b64 exec, exec, s[26:27]
	flat_load_ubyte v10, v[8:9] offset:704 glc slc
	v_mov_b32_e32 v11, 0
	s_waitcnt vmcnt(0) lgkmcnt(0)
	v_cmp_ne_u16_e32 vcc, 0, v10
	s_and_saveexec_b64 s[26:27], vcc
	s_cbranch_execz .LBB4_2221
; %bb.2216:                             ;   in Loop: Header=BB4_1924 Depth=3
	v_cmp_ne_u16_e32 vcc, s70, v10
	v_bfrev_b32_e32 v11, 1
	s_and_saveexec_b64 s[30:31], vcc
	s_cbranch_execz .LBB4_2220
; %bb.2217:                             ;   in Loop: Header=BB4_1924 Depth=3
	v_and_b32_e32 v2, 0xffff, v10
	v_and_b32_e32 v29, 0x7f, v2
	v_cmp_ne_u32_e32 vcc, s68, v29
	v_mov_b32_e32 v11, 0x7f800001
	s_and_saveexec_b64 s[34:35], vcc
	s_cbranch_execz .LBB4_2219
; %bb.2218:                             ;   in Loop: Header=BB4_1924 Depth=3
	v_and_b32_e32 v11, 7, v2
	v_ffbh_u32_e32 v23, v11
	v_min_u32_e32 v23, 32, v23
	v_lshrrev_b32_e32 v22, 3, v29
	v_cmp_gt_u32_e32 vcc, 8, v29
	v_subrev_u32_e32 v29, 28, v23
	v_lshlrev_b64 v[29:30], v29, v[2:3]
	v_sub_u32_e32 v2, 29, v23
	v_and_b32_e32 v23, 7, v29
	v_cndmask_b32_e32 v2, v22, v2, vcc
	v_cndmask_b32_e32 v11, v11, v23, vcc
	v_lshlrev_b32_e32 v10, 24, v10
	v_lshlrev_b32_e32 v11, 20, v11
	v_and_b32_e32 v10, 0x80000000, v10
	v_lshl_add_u32 v2, v2, 23, v5
	v_or3_b32 v11, v10, v2, v11
.LBB4_2219:                             ;   in Loop: Header=BB4_1924 Depth=3
	s_or_b64 exec, exec, s[34:35]
.LBB4_2220:                             ;   in Loop: Header=BB4_1924 Depth=3
	s_or_b64 exec, exec, s[30:31]
.LBB4_2221:                             ;   in Loop: Header=BB4_1924 Depth=3
	s_or_b64 exec, exec, s[26:27]
	v_mul_f32_e32 v10, s45, v11
	v_and_b32_e32 v2, 0x7f800000, v10
	v_cmp_ne_u64_e32 vcc, s[62:63], v[2:3]
                                        ; implicit-def: $vgpr29
	s_and_saveexec_b64 s[26:27], vcc
	s_xor_b64 s[30:31], exec, s[26:27]
	s_cbranch_execz .LBB4_2239
; %bb.2222:                             ;   in Loop: Header=BB4_1924 Depth=3
	v_and_b32_e32 v2, 0x7fffffff, v10
	v_cmp_gt_u64_e32 vcc, s[72:73], v[2:3]
	v_and_b32_sdwa v31, v10, s70 dst_sel:DWORD dst_unused:UNUSED_PAD src0_sel:BYTE_3 src1_sel:DWORD
                                        ; implicit-def: $vgpr29
	s_and_saveexec_b64 s[26:27], vcc
	s_xor_b64 s[34:35], exec, s[26:27]
	s_cbranch_execz .LBB4_2236
; %bb.2223:                             ;   in Loop: Header=BB4_1924 Depth=3
	v_cmp_ne_u32_e32 vcc, 0, v10
	v_mov_b32_e32 v29, 0
	s_and_saveexec_b64 s[36:37], vcc
	s_cbranch_execz .LBB4_2235
; %bb.2224:                             ;   in Loop: Header=BB4_1924 Depth=3
	v_bfe_u32 v29, v10, 23, 8
	v_and_b32_e32 v2, 0x7fffff, v10
	v_cmp_gt_u32_e64 s[26:27], s71, v29
	v_sub_u32_e32 v10, 0x79, v29
	v_cmp_eq_u32_e32 vcc, 0, v29
	v_cndmask_b32_e64 v10, 0, v10, s[26:27]
	v_mov_b32_e32 v22, 0x78
	v_cndmask_b32_e32 v34, v10, v22, vcc
	v_or_b32_e32 v11, 0x800000, v2
	v_add_u32_e32 v10, 20, v34
	v_cndmask_b32_e32 v2, v11, v2, vcc
	v_lshlrev_b64 v[10:11], v10, -1
	v_add_u32_e32 v22, 19, v34
	v_lshlrev_b64 v[35:36], v22, 1
	v_bfi_b32 v11, v11, 0, 0
	v_bfi_b32 v10, v10, 0, v2
	v_cmp_eq_u64_e64 s[26:27], v[10:11], v[35:36]
	v_lshrrev_b64 v[10:11], v34, v[2:3]
	v_mov_b32_e32 v41, v11
	v_mov_b32_e32 v40, v10
	s_and_saveexec_b64 s[38:39], s[26:27]
; %bb.2225:                             ;   in Loop: Header=BB4_1924 Depth=3
	v_bfe_u32 v2, v10, 20, 1
	v_add_co_u32_e64 v2, s[26:27], v10, v2
	v_add_co_u32_e64 v40, s[26:27], -1, v2
; %bb.2226:                             ;   in Loop: Header=BB4_1924 Depth=3
	s_or_b64 exec, exec, s[38:39]
	v_add_u32_e32 v2, 0xffffff81, v29
	v_mov_b32_e32 v11, 0xffffff82
	v_cndmask_b32_e32 v2, v2, v11, vcc
	v_lshrrev_b32_e32 v11, 23, v10
	v_add3_u32 v35, v34, v2, v11
	v_add_u32_e32 v29, 6, v35
	v_and_b32_e32 v2, 0xfffff, v40
	v_add_u32_e32 v2, v2, v10
	v_cmp_ne_u32_e32 vcc, 0, v29
                                        ; implicit-def: $vgpr10_vgpr11
                                        ; implicit-def: $vgpr34
	s_and_saveexec_b64 s[26:27], vcc
	s_xor_b64 s[26:27], exec, s[26:27]
; %bb.2227:                             ;   in Loop: Header=BB4_1924 Depth=3
	v_cmp_lt_u64_e32 vcc, s[74:75], v[2:3]
	v_add_u32_e32 v10, 7, v35
	v_cndmask_b32_e32 v34, v29, v10, vcc
	v_cndmask_b32_e64 v10, 0, 1, vcc
	v_lshrrev_b64 v[10:11], v10, v[2:3]
; %bb.2228:                             ;   in Loop: Header=BB4_1924 Depth=3
	s_andn2_saveexec_b64 s[26:27], s[26:27]
; %bb.2229:                             ;   in Loop: Header=BB4_1924 Depth=3
	v_mov_b32_e32 v11, v3
	v_bfe_u32 v34, v2, 23, 1
	v_mov_b32_e32 v10, v2
; %bb.2230:                             ;   in Loop: Header=BB4_1924 Depth=3
	s_or_b64 exec, exec, s[26:27]
	v_lshrrev_b64 v[10:11], 20, v[10:11]
	v_cmp_gt_i32_e32 vcc, 16, v34
	v_cndmask_b32_e32 v11, 0, v11, vcc
	v_cndmask_b32_e32 v10, 7, v10, vcc
	v_cmp_ne_u64_e32 vcc, 0, v[10:11]
	v_cmp_ne_u32_e64 s[26:27], 0, v34
	s_or_b64 s[26:27], s[26:27], vcc
                                        ; implicit-def: $vgpr29
	s_and_saveexec_b64 vcc, s[26:27]
	s_xor_b64 s[26:27], exec, vcc
; %bb.2231:                             ;   in Loop: Header=BB4_1924 Depth=3
	v_min_i32_e32 v2, 15, v34
	v_lshl_or_b32 v2, v2, 3, v31
	v_and_or_b32 v29, v10, 7, v2
                                        ; implicit-def: $vgpr31
; %bb.2232:                             ;   in Loop: Header=BB4_1924 Depth=3
	s_andn2_saveexec_b64 s[26:27], s[26:27]
; %bb.2233:                             ;   in Loop: Header=BB4_1924 Depth=3
	v_mov_b32_e32 v29, v31
; %bb.2234:                             ;   in Loop: Header=BB4_1924 Depth=3
	s_or_b64 exec, exec, s[26:27]
.LBB4_2235:                             ;   in Loop: Header=BB4_1924 Depth=3
	s_or_b64 exec, exec, s[36:37]
                                        ; implicit-def: $vgpr31
.LBB4_2236:                             ;   in Loop: Header=BB4_1924 Depth=3
	s_andn2_saveexec_b64 s[26:27], s[34:35]
; %bb.2237:                             ;   in Loop: Header=BB4_1924 Depth=3
	v_or_b32_e32 v29, 0x7e, v31
; %bb.2238:                             ;   in Loop: Header=BB4_1924 Depth=3
	s_or_b64 exec, exec, s[26:27]
                                        ; implicit-def: $vgpr10
.LBB4_2239:                             ;   in Loop: Header=BB4_1924 Depth=3
	s_andn2_saveexec_b64 s[26:27], s[30:31]
; %bb.2240:                             ;   in Loop: Header=BB4_1924 Depth=3
	v_or_b32_sdwa v29, v10, s68 dst_sel:DWORD dst_unused:UNUSED_PAD src0_sel:BYTE_3 src1_sel:DWORD
; %bb.2241:                             ;   in Loop: Header=BB4_1924 Depth=3
	s_or_b64 exec, exec, s[26:27]
	flat_load_ubyte v10, v[8:9] offset:768 glc slc
	v_mov_b32_e32 v11, 0
	s_waitcnt vmcnt(0) lgkmcnt(0)
	v_cmp_ne_u16_e32 vcc, 0, v10
	s_and_saveexec_b64 s[26:27], vcc
	s_cbranch_execz .LBB4_2247
; %bb.2242:                             ;   in Loop: Header=BB4_1924 Depth=3
	v_cmp_ne_u16_e32 vcc, s70, v10
	v_bfrev_b32_e32 v11, 1
	s_and_saveexec_b64 s[30:31], vcc
	s_cbranch_execz .LBB4_2246
; %bb.2243:                             ;   in Loop: Header=BB4_1924 Depth=3
	v_and_b32_e32 v2, 0xffff, v10
	v_and_b32_e32 v31, 0x7f, v2
	v_cmp_ne_u32_e32 vcc, s68, v31
	v_mov_b32_e32 v11, 0x7f800001
	s_and_saveexec_b64 s[34:35], vcc
	s_cbranch_execz .LBB4_2245
; %bb.2244:                             ;   in Loop: Header=BB4_1924 Depth=3
	v_and_b32_e32 v11, 7, v2
	v_ffbh_u32_e32 v23, v11
	v_min_u32_e32 v23, 32, v23
	v_subrev_u32_e32 v30, 28, v23
	v_lshrrev_b32_e32 v22, 3, v31
	v_cmp_gt_u32_e32 vcc, 8, v31
	v_lshlrev_b64 v[30:31], v30, v[2:3]
	v_sub_u32_e32 v2, 29, v23
	v_and_b32_e32 v23, 7, v30
	v_cndmask_b32_e32 v2, v22, v2, vcc
	v_cndmask_b32_e32 v11, v11, v23, vcc
	v_lshlrev_b32_e32 v10, 24, v10
	v_lshlrev_b32_e32 v11, 20, v11
	v_and_b32_e32 v10, 0x80000000, v10
	v_lshl_add_u32 v2, v2, 23, v5
	v_or3_b32 v11, v10, v2, v11
.LBB4_2245:                             ;   in Loop: Header=BB4_1924 Depth=3
	s_or_b64 exec, exec, s[34:35]
.LBB4_2246:                             ;   in Loop: Header=BB4_1924 Depth=3
	s_or_b64 exec, exec, s[30:31]
.LBB4_2247:                             ;   in Loop: Header=BB4_1924 Depth=3
	s_or_b64 exec, exec, s[26:27]
	v_mul_f32_e32 v10, s45, v11
	v_and_b32_e32 v2, 0x7f800000, v10
	v_cmp_ne_u64_e32 vcc, s[62:63], v[2:3]
                                        ; implicit-def: $vgpr31
	s_and_saveexec_b64 s[26:27], vcc
	s_xor_b64 s[30:31], exec, s[26:27]
	s_cbranch_execz .LBB4_2265
; %bb.2248:                             ;   in Loop: Header=BB4_1924 Depth=3
	v_and_b32_e32 v2, 0x7fffffff, v10
	v_cmp_gt_u64_e32 vcc, s[72:73], v[2:3]
	v_and_b32_sdwa v34, v10, s70 dst_sel:DWORD dst_unused:UNUSED_PAD src0_sel:BYTE_3 src1_sel:DWORD
                                        ; implicit-def: $vgpr31
	s_and_saveexec_b64 s[26:27], vcc
	s_xor_b64 s[34:35], exec, s[26:27]
	s_cbranch_execz .LBB4_2262
; %bb.2249:                             ;   in Loop: Header=BB4_1924 Depth=3
	v_cmp_ne_u32_e32 vcc, 0, v10
	v_mov_b32_e32 v31, 0
	s_and_saveexec_b64 s[36:37], vcc
	s_cbranch_execz .LBB4_2261
; %bb.2250:                             ;   in Loop: Header=BB4_1924 Depth=3
	v_bfe_u32 v31, v10, 23, 8
	v_and_b32_e32 v2, 0x7fffff, v10
	v_cmp_gt_u32_e64 s[26:27], s71, v31
	v_sub_u32_e32 v10, 0x79, v31
	v_cmp_eq_u32_e32 vcc, 0, v31
	v_cndmask_b32_e64 v10, 0, v10, s[26:27]
	v_mov_b32_e32 v22, 0x78
	v_cndmask_b32_e32 v35, v10, v22, vcc
	v_or_b32_e32 v11, 0x800000, v2
	v_add_u32_e32 v10, 20, v35
	v_cndmask_b32_e32 v2, v11, v2, vcc
	v_lshlrev_b64 v[10:11], v10, -1
	v_add_u32_e32 v22, 19, v35
	v_lshlrev_b64 v[36:37], v22, 1
	v_bfi_b32 v11, v11, 0, 0
	v_bfi_b32 v10, v10, 0, v2
	v_cmp_eq_u64_e64 s[26:27], v[10:11], v[36:37]
	v_lshrrev_b64 v[10:11], v35, v[2:3]
	v_mov_b32_e32 v41, v11
	v_mov_b32_e32 v40, v10
	s_and_saveexec_b64 s[38:39], s[26:27]
; %bb.2251:                             ;   in Loop: Header=BB4_1924 Depth=3
	v_bfe_u32 v2, v10, 20, 1
	v_add_co_u32_e64 v2, s[26:27], v10, v2
	v_add_co_u32_e64 v40, s[26:27], -1, v2
; %bb.2252:                             ;   in Loop: Header=BB4_1924 Depth=3
	s_or_b64 exec, exec, s[38:39]
	v_add_u32_e32 v2, 0xffffff81, v31
	v_mov_b32_e32 v11, 0xffffff82
	v_cndmask_b32_e32 v2, v2, v11, vcc
	v_lshrrev_b32_e32 v11, 23, v10
	v_add3_u32 v36, v35, v2, v11
	v_add_u32_e32 v31, 6, v36
	v_and_b32_e32 v2, 0xfffff, v40
	v_add_u32_e32 v2, v2, v10
	v_cmp_ne_u32_e32 vcc, 0, v31
                                        ; implicit-def: $vgpr10_vgpr11
                                        ; implicit-def: $vgpr35
	s_and_saveexec_b64 s[26:27], vcc
	s_xor_b64 s[26:27], exec, s[26:27]
; %bb.2253:                             ;   in Loop: Header=BB4_1924 Depth=3
	v_cmp_lt_u64_e32 vcc, s[74:75], v[2:3]
	v_add_u32_e32 v10, 7, v36
	v_cndmask_b32_e32 v35, v31, v10, vcc
	v_cndmask_b32_e64 v10, 0, 1, vcc
	v_lshrrev_b64 v[10:11], v10, v[2:3]
; %bb.2254:                             ;   in Loop: Header=BB4_1924 Depth=3
	s_andn2_saveexec_b64 s[26:27], s[26:27]
; %bb.2255:                             ;   in Loop: Header=BB4_1924 Depth=3
	v_mov_b32_e32 v11, v3
	v_bfe_u32 v35, v2, 23, 1
	v_mov_b32_e32 v10, v2
; %bb.2256:                             ;   in Loop: Header=BB4_1924 Depth=3
	s_or_b64 exec, exec, s[26:27]
	v_lshrrev_b64 v[10:11], 20, v[10:11]
	v_cmp_gt_i32_e32 vcc, 16, v35
	v_cndmask_b32_e32 v11, 0, v11, vcc
	v_cndmask_b32_e32 v10, 7, v10, vcc
	v_cmp_ne_u64_e32 vcc, 0, v[10:11]
	v_cmp_ne_u32_e64 s[26:27], 0, v35
	s_or_b64 s[26:27], s[26:27], vcc
                                        ; implicit-def: $vgpr31
	s_and_saveexec_b64 vcc, s[26:27]
	s_xor_b64 s[26:27], exec, vcc
; %bb.2257:                             ;   in Loop: Header=BB4_1924 Depth=3
	v_min_i32_e32 v2, 15, v35
	v_lshl_or_b32 v2, v2, 3, v34
	v_and_or_b32 v31, v10, 7, v2
                                        ; implicit-def: $vgpr34
; %bb.2258:                             ;   in Loop: Header=BB4_1924 Depth=3
	s_andn2_saveexec_b64 s[26:27], s[26:27]
; %bb.2259:                             ;   in Loop: Header=BB4_1924 Depth=3
	v_mov_b32_e32 v31, v34
; %bb.2260:                             ;   in Loop: Header=BB4_1924 Depth=3
	s_or_b64 exec, exec, s[26:27]
.LBB4_2261:                             ;   in Loop: Header=BB4_1924 Depth=3
	s_or_b64 exec, exec, s[36:37]
                                        ; implicit-def: $vgpr34
.LBB4_2262:                             ;   in Loop: Header=BB4_1924 Depth=3
	s_andn2_saveexec_b64 s[26:27], s[34:35]
; %bb.2263:                             ;   in Loop: Header=BB4_1924 Depth=3
	v_or_b32_e32 v31, 0x7e, v34
; %bb.2264:                             ;   in Loop: Header=BB4_1924 Depth=3
	s_or_b64 exec, exec, s[26:27]
                                        ; implicit-def: $vgpr10
.LBB4_2265:                             ;   in Loop: Header=BB4_1924 Depth=3
	s_andn2_saveexec_b64 s[26:27], s[30:31]
; %bb.2266:                             ;   in Loop: Header=BB4_1924 Depth=3
	v_or_b32_sdwa v31, v10, s68 dst_sel:DWORD dst_unused:UNUSED_PAD src0_sel:BYTE_3 src1_sel:DWORD
; %bb.2267:                             ;   in Loop: Header=BB4_1924 Depth=3
	s_or_b64 exec, exec, s[26:27]
	flat_load_ubyte v10, v[8:9] offset:832 glc slc
	v_mov_b32_e32 v11, 0
	s_waitcnt vmcnt(0) lgkmcnt(0)
	v_cmp_ne_u16_e32 vcc, 0, v10
	s_and_saveexec_b64 s[26:27], vcc
	s_cbranch_execz .LBB4_2273
; %bb.2268:                             ;   in Loop: Header=BB4_1924 Depth=3
	v_cmp_ne_u16_e32 vcc, s70, v10
	v_bfrev_b32_e32 v11, 1
	s_and_saveexec_b64 s[30:31], vcc
	s_cbranch_execz .LBB4_2272
; %bb.2269:                             ;   in Loop: Header=BB4_1924 Depth=3
	v_and_b32_e32 v2, 0xffff, v10
	v_and_b32_e32 v34, 0x7f, v2
	v_cmp_ne_u32_e32 vcc, s68, v34
	v_mov_b32_e32 v11, 0x7f800001
	s_and_saveexec_b64 s[34:35], vcc
	s_cbranch_execz .LBB4_2271
; %bb.2270:                             ;   in Loop: Header=BB4_1924 Depth=3
	v_and_b32_e32 v11, 7, v2
	v_ffbh_u32_e32 v23, v11
	v_min_u32_e32 v23, 32, v23
	v_subrev_u32_e32 v30, 28, v23
	v_lshrrev_b32_e32 v22, 3, v34
	v_cmp_gt_u32_e32 vcc, 8, v34
	v_lshlrev_b64 v[34:35], v30, v[2:3]
	v_sub_u32_e32 v2, 29, v23
	v_and_b32_e32 v23, 7, v34
	v_cndmask_b32_e32 v2, v22, v2, vcc
	v_cndmask_b32_e32 v11, v11, v23, vcc
	v_lshlrev_b32_e32 v10, 24, v10
	v_lshlrev_b32_e32 v11, 20, v11
	v_and_b32_e32 v10, 0x80000000, v10
	v_lshl_add_u32 v2, v2, 23, v5
	v_or3_b32 v11, v10, v2, v11
.LBB4_2271:                             ;   in Loop: Header=BB4_1924 Depth=3
	s_or_b64 exec, exec, s[34:35]
.LBB4_2272:                             ;   in Loop: Header=BB4_1924 Depth=3
	s_or_b64 exec, exec, s[30:31]
.LBB4_2273:                             ;   in Loop: Header=BB4_1924 Depth=3
	s_or_b64 exec, exec, s[26:27]
	v_mul_f32_e32 v10, s45, v11
	v_and_b32_e32 v2, 0x7f800000, v10
	v_cmp_ne_u64_e32 vcc, s[62:63], v[2:3]
                                        ; implicit-def: $vgpr34
	s_and_saveexec_b64 s[26:27], vcc
	s_xor_b64 s[30:31], exec, s[26:27]
	s_cbranch_execz .LBB4_2291
; %bb.2274:                             ;   in Loop: Header=BB4_1924 Depth=3
	v_and_b32_e32 v2, 0x7fffffff, v10
	v_cmp_gt_u64_e32 vcc, s[72:73], v[2:3]
	v_and_b32_sdwa v35, v10, s70 dst_sel:DWORD dst_unused:UNUSED_PAD src0_sel:BYTE_3 src1_sel:DWORD
                                        ; implicit-def: $vgpr34
	s_and_saveexec_b64 s[26:27], vcc
	s_xor_b64 s[34:35], exec, s[26:27]
	s_cbranch_execz .LBB4_2288
; %bb.2275:                             ;   in Loop: Header=BB4_1924 Depth=3
	v_cmp_ne_u32_e32 vcc, 0, v10
	v_mov_b32_e32 v34, 0
	s_and_saveexec_b64 s[36:37], vcc
	s_cbranch_execz .LBB4_2287
; %bb.2276:                             ;   in Loop: Header=BB4_1924 Depth=3
	v_bfe_u32 v34, v10, 23, 8
	v_and_b32_e32 v2, 0x7fffff, v10
	v_cmp_gt_u32_e64 s[26:27], s71, v34
	v_sub_u32_e32 v10, 0x79, v34
	v_cmp_eq_u32_e32 vcc, 0, v34
	v_cndmask_b32_e64 v10, 0, v10, s[26:27]
	v_mov_b32_e32 v22, 0x78
	v_cndmask_b32_e32 v36, v10, v22, vcc
	v_or_b32_e32 v11, 0x800000, v2
	v_add_u32_e32 v10, 20, v36
	v_cndmask_b32_e32 v2, v11, v2, vcc
	v_lshlrev_b64 v[10:11], v10, -1
	v_add_u32_e32 v22, 19, v36
	v_lshlrev_b64 v[37:38], v22, 1
	v_bfi_b32 v11, v11, 0, 0
	v_bfi_b32 v10, v10, 0, v2
	v_cmp_eq_u64_e64 s[26:27], v[10:11], v[37:38]
	v_lshrrev_b64 v[10:11], v36, v[2:3]
	v_mov_b32_e32 v41, v11
	v_mov_b32_e32 v40, v10
	s_and_saveexec_b64 s[38:39], s[26:27]
; %bb.2277:                             ;   in Loop: Header=BB4_1924 Depth=3
	v_bfe_u32 v2, v10, 20, 1
	v_add_co_u32_e64 v2, s[26:27], v10, v2
	v_add_co_u32_e64 v40, s[26:27], -1, v2
; %bb.2278:                             ;   in Loop: Header=BB4_1924 Depth=3
	s_or_b64 exec, exec, s[38:39]
	v_add_u32_e32 v2, 0xffffff81, v34
	v_mov_b32_e32 v11, 0xffffff82
	v_cndmask_b32_e32 v2, v2, v11, vcc
	v_lshrrev_b32_e32 v11, 23, v10
	v_add3_u32 v37, v36, v2, v11
	v_add_u32_e32 v34, 6, v37
	v_and_b32_e32 v2, 0xfffff, v40
	v_add_u32_e32 v2, v2, v10
	v_cmp_ne_u32_e32 vcc, 0, v34
                                        ; implicit-def: $vgpr10_vgpr11
                                        ; implicit-def: $vgpr36
	s_and_saveexec_b64 s[26:27], vcc
	s_xor_b64 s[26:27], exec, s[26:27]
; %bb.2279:                             ;   in Loop: Header=BB4_1924 Depth=3
	v_cmp_lt_u64_e32 vcc, s[74:75], v[2:3]
	v_add_u32_e32 v10, 7, v37
	v_cndmask_b32_e32 v36, v34, v10, vcc
	v_cndmask_b32_e64 v10, 0, 1, vcc
	v_lshrrev_b64 v[10:11], v10, v[2:3]
; %bb.2280:                             ;   in Loop: Header=BB4_1924 Depth=3
	s_andn2_saveexec_b64 s[26:27], s[26:27]
; %bb.2281:                             ;   in Loop: Header=BB4_1924 Depth=3
	v_mov_b32_e32 v11, v3
	v_bfe_u32 v36, v2, 23, 1
	v_mov_b32_e32 v10, v2
; %bb.2282:                             ;   in Loop: Header=BB4_1924 Depth=3
	s_or_b64 exec, exec, s[26:27]
	v_lshrrev_b64 v[10:11], 20, v[10:11]
	v_cmp_gt_i32_e32 vcc, 16, v36
	v_cndmask_b32_e32 v11, 0, v11, vcc
	v_cndmask_b32_e32 v10, 7, v10, vcc
	v_cmp_ne_u64_e32 vcc, 0, v[10:11]
	v_cmp_ne_u32_e64 s[26:27], 0, v36
	s_or_b64 s[26:27], s[26:27], vcc
                                        ; implicit-def: $vgpr34
	s_and_saveexec_b64 vcc, s[26:27]
	s_xor_b64 s[26:27], exec, vcc
; %bb.2283:                             ;   in Loop: Header=BB4_1924 Depth=3
	v_min_i32_e32 v2, 15, v36
	v_lshl_or_b32 v2, v2, 3, v35
	v_and_or_b32 v34, v10, 7, v2
                                        ; implicit-def: $vgpr35
; %bb.2284:                             ;   in Loop: Header=BB4_1924 Depth=3
	s_andn2_saveexec_b64 s[26:27], s[26:27]
; %bb.2285:                             ;   in Loop: Header=BB4_1924 Depth=3
	v_mov_b32_e32 v34, v35
; %bb.2286:                             ;   in Loop: Header=BB4_1924 Depth=3
	s_or_b64 exec, exec, s[26:27]
.LBB4_2287:                             ;   in Loop: Header=BB4_1924 Depth=3
	s_or_b64 exec, exec, s[36:37]
                                        ; implicit-def: $vgpr35
.LBB4_2288:                             ;   in Loop: Header=BB4_1924 Depth=3
	s_andn2_saveexec_b64 s[26:27], s[34:35]
; %bb.2289:                             ;   in Loop: Header=BB4_1924 Depth=3
	v_or_b32_e32 v34, 0x7e, v35
; %bb.2290:                             ;   in Loop: Header=BB4_1924 Depth=3
	s_or_b64 exec, exec, s[26:27]
                                        ; implicit-def: $vgpr10
.LBB4_2291:                             ;   in Loop: Header=BB4_1924 Depth=3
	s_andn2_saveexec_b64 s[26:27], s[30:31]
; %bb.2292:                             ;   in Loop: Header=BB4_1924 Depth=3
	v_or_b32_sdwa v34, v10, s68 dst_sel:DWORD dst_unused:UNUSED_PAD src0_sel:BYTE_3 src1_sel:DWORD
; %bb.2293:                             ;   in Loop: Header=BB4_1924 Depth=3
	s_or_b64 exec, exec, s[26:27]
	flat_load_ubyte v10, v[8:9] offset:896 glc slc
	v_mov_b32_e32 v11, 0
	s_waitcnt vmcnt(0) lgkmcnt(0)
	v_cmp_ne_u16_e32 vcc, 0, v10
	s_and_saveexec_b64 s[26:27], vcc
	s_cbranch_execz .LBB4_2299
; %bb.2294:                             ;   in Loop: Header=BB4_1924 Depth=3
	v_cmp_ne_u16_e32 vcc, s70, v10
	v_bfrev_b32_e32 v11, 1
	s_and_saveexec_b64 s[30:31], vcc
	s_cbranch_execz .LBB4_2298
; %bb.2295:                             ;   in Loop: Header=BB4_1924 Depth=3
	v_and_b32_e32 v2, 0xffff, v10
	v_and_b32_e32 v35, 0x7f, v2
	v_cmp_ne_u32_e32 vcc, s68, v35
	v_mov_b32_e32 v11, 0x7f800001
	s_and_saveexec_b64 s[34:35], vcc
	s_cbranch_execz .LBB4_2297
; %bb.2296:                             ;   in Loop: Header=BB4_1924 Depth=3
	v_and_b32_e32 v11, 7, v2
	v_ffbh_u32_e32 v23, v11
	v_min_u32_e32 v23, 32, v23
	v_subrev_u32_e32 v30, 28, v23
	v_lshrrev_b32_e32 v22, 3, v35
	v_cmp_gt_u32_e32 vcc, 8, v35
	v_lshlrev_b64 v[35:36], v30, v[2:3]
	v_sub_u32_e32 v2, 29, v23
	v_and_b32_e32 v23, 7, v35
	v_cndmask_b32_e32 v2, v22, v2, vcc
	v_cndmask_b32_e32 v11, v11, v23, vcc
	v_lshlrev_b32_e32 v10, 24, v10
	v_lshlrev_b32_e32 v11, 20, v11
	v_and_b32_e32 v10, 0x80000000, v10
	v_lshl_add_u32 v2, v2, 23, v5
	v_or3_b32 v11, v10, v2, v11
.LBB4_2297:                             ;   in Loop: Header=BB4_1924 Depth=3
	s_or_b64 exec, exec, s[34:35]
.LBB4_2298:                             ;   in Loop: Header=BB4_1924 Depth=3
	s_or_b64 exec, exec, s[30:31]
.LBB4_2299:                             ;   in Loop: Header=BB4_1924 Depth=3
	s_or_b64 exec, exec, s[26:27]
	v_mul_f32_e32 v10, s45, v11
	v_and_b32_e32 v2, 0x7f800000, v10
	v_cmp_ne_u64_e32 vcc, s[62:63], v[2:3]
                                        ; implicit-def: $vgpr11
	s_and_saveexec_b64 s[26:27], vcc
	s_xor_b64 s[30:31], exec, s[26:27]
	s_cbranch_execz .LBB4_2317
; %bb.2300:                             ;   in Loop: Header=BB4_1924 Depth=3
	v_and_b32_e32 v2, 0x7fffffff, v10
	v_cmp_gt_u64_e32 vcc, s[72:73], v[2:3]
	v_and_b32_sdwa v35, v10, s70 dst_sel:DWORD dst_unused:UNUSED_PAD src0_sel:BYTE_3 src1_sel:DWORD
                                        ; implicit-def: $vgpr11
	s_and_saveexec_b64 s[26:27], vcc
	s_xor_b64 s[34:35], exec, s[26:27]
	s_cbranch_execz .LBB4_2314
; %bb.2301:                             ;   in Loop: Header=BB4_1924 Depth=3
	v_cmp_ne_u32_e32 vcc, 0, v10
	v_mov_b32_e32 v11, 0
	s_and_saveexec_b64 s[36:37], vcc
	s_cbranch_execz .LBB4_2313
; %bb.2302:                             ;   in Loop: Header=BB4_1924 Depth=3
	v_bfe_u32 v36, v10, 23, 8
	v_and_b32_e32 v2, 0x7fffff, v10
	v_cmp_gt_u32_e64 s[26:27], s71, v36
	v_sub_u32_e32 v10, 0x79, v36
	v_cmp_eq_u32_e32 vcc, 0, v36
	v_cndmask_b32_e64 v10, 0, v10, s[26:27]
	v_mov_b32_e32 v22, 0x78
	v_cndmask_b32_e32 v37, v10, v22, vcc
	v_or_b32_e32 v11, 0x800000, v2
	v_add_u32_e32 v10, 20, v37
	v_cndmask_b32_e32 v2, v11, v2, vcc
	v_lshlrev_b64 v[10:11], v10, -1
	v_add_u32_e32 v22, 19, v37
	v_lshlrev_b64 v[38:39], v22, 1
	v_bfi_b32 v11, v11, 0, 0
	v_bfi_b32 v10, v10, 0, v2
	v_cmp_eq_u64_e64 s[26:27], v[10:11], v[38:39]
	v_lshrrev_b64 v[10:11], v37, v[2:3]
	v_mov_b32_e32 v41, v11
	v_mov_b32_e32 v40, v10
	s_and_saveexec_b64 s[38:39], s[26:27]
; %bb.2303:                             ;   in Loop: Header=BB4_1924 Depth=3
	v_bfe_u32 v2, v10, 20, 1
	v_add_co_u32_e64 v2, s[26:27], v10, v2
	v_add_co_u32_e64 v40, s[26:27], -1, v2
; %bb.2304:                             ;   in Loop: Header=BB4_1924 Depth=3
	s_or_b64 exec, exec, s[38:39]
	v_add_u32_e32 v2, 0xffffff81, v36
	v_mov_b32_e32 v11, 0xffffff82
	v_cndmask_b32_e32 v2, v2, v11, vcc
	v_lshrrev_b32_e32 v11, 23, v10
	v_add3_u32 v38, v37, v2, v11
	v_add_u32_e32 v37, 6, v38
	v_and_b32_e32 v2, 0xfffff, v40
	v_add_u32_e32 v2, v2, v10
	v_cmp_ne_u32_e32 vcc, 0, v37
                                        ; implicit-def: $vgpr10_vgpr11
                                        ; implicit-def: $vgpr36
	s_and_saveexec_b64 s[26:27], vcc
	s_xor_b64 s[26:27], exec, s[26:27]
; %bb.2305:                             ;   in Loop: Header=BB4_1924 Depth=3
	v_cmp_lt_u64_e32 vcc, s[74:75], v[2:3]
	v_add_u32_e32 v10, 7, v38
	v_cndmask_b32_e32 v36, v37, v10, vcc
	v_cndmask_b32_e64 v10, 0, 1, vcc
	v_lshrrev_b64 v[10:11], v10, v[2:3]
; %bb.2306:                             ;   in Loop: Header=BB4_1924 Depth=3
	s_andn2_saveexec_b64 s[26:27], s[26:27]
; %bb.2307:                             ;   in Loop: Header=BB4_1924 Depth=3
	v_mov_b32_e32 v11, v3
	v_bfe_u32 v36, v2, 23, 1
	v_mov_b32_e32 v10, v2
; %bb.2308:                             ;   in Loop: Header=BB4_1924 Depth=3
	s_or_b64 exec, exec, s[26:27]
	v_lshrrev_b64 v[10:11], 20, v[10:11]
	v_cmp_gt_i32_e32 vcc, 16, v36
	v_cndmask_b32_e32 v11, 0, v11, vcc
	v_cndmask_b32_e32 v10, 7, v10, vcc
	v_cmp_ne_u64_e32 vcc, 0, v[10:11]
	v_cmp_ne_u32_e64 s[26:27], 0, v36
	s_or_b64 s[26:27], s[26:27], vcc
                                        ; implicit-def: $vgpr11
	s_and_saveexec_b64 vcc, s[26:27]
	s_xor_b64 s[26:27], exec, vcc
; %bb.2309:                             ;   in Loop: Header=BB4_1924 Depth=3
	v_min_i32_e32 v2, 15, v36
	v_lshl_or_b32 v2, v2, 3, v35
	v_and_or_b32 v11, v10, 7, v2
                                        ; implicit-def: $vgpr35
; %bb.2310:                             ;   in Loop: Header=BB4_1924 Depth=3
	s_andn2_saveexec_b64 s[26:27], s[26:27]
; %bb.2311:                             ;   in Loop: Header=BB4_1924 Depth=3
	v_mov_b32_e32 v11, v35
; %bb.2312:                             ;   in Loop: Header=BB4_1924 Depth=3
	s_or_b64 exec, exec, s[26:27]
.LBB4_2313:                             ;   in Loop: Header=BB4_1924 Depth=3
	s_or_b64 exec, exec, s[36:37]
                                        ; implicit-def: $vgpr35
.LBB4_2314:                             ;   in Loop: Header=BB4_1924 Depth=3
	s_andn2_saveexec_b64 s[26:27], s[34:35]
; %bb.2315:                             ;   in Loop: Header=BB4_1924 Depth=3
	v_or_b32_e32 v11, 0x7e, v35
; %bb.2316:                             ;   in Loop: Header=BB4_1924 Depth=3
	s_or_b64 exec, exec, s[26:27]
                                        ; implicit-def: $vgpr10
.LBB4_2317:                             ;   in Loop: Header=BB4_1924 Depth=3
	s_andn2_saveexec_b64 s[26:27], s[30:31]
; %bb.2318:                             ;   in Loop: Header=BB4_1924 Depth=3
	v_or_b32_sdwa v11, v10, s68 dst_sel:DWORD dst_unused:UNUSED_PAD src0_sel:BYTE_3 src1_sel:DWORD
; %bb.2319:                             ;   in Loop: Header=BB4_1924 Depth=3
	s_or_b64 exec, exec, s[26:27]
	flat_load_ubyte v8, v[8:9] offset:960 glc slc
	v_mov_b32_e32 v9, 0
	s_waitcnt vmcnt(0) lgkmcnt(0)
	v_cmp_ne_u16_e32 vcc, 0, v8
	s_and_saveexec_b64 s[26:27], vcc
	s_cbranch_execz .LBB4_2325
; %bb.2320:                             ;   in Loop: Header=BB4_1924 Depth=3
	v_cmp_ne_u16_e32 vcc, s70, v8
	v_bfrev_b32_e32 v9, 1
	s_and_saveexec_b64 s[30:31], vcc
	s_cbranch_execz .LBB4_2324
; %bb.2321:                             ;   in Loop: Header=BB4_1924 Depth=3
	v_and_b32_e32 v2, 0xffff, v8
	v_and_b32_e32 v10, 0x7f, v2
	v_cmp_ne_u32_e32 vcc, s68, v10
	v_mov_b32_e32 v9, 0x7f800001
	s_and_saveexec_b64 s[34:35], vcc
	s_cbranch_execz .LBB4_2323
; %bb.2322:                             ;   in Loop: Header=BB4_1924 Depth=3
	v_and_b32_e32 v22, 7, v2
	v_ffbh_u32_e32 v9, v22
	v_min_u32_e32 v30, 32, v9
	v_subrev_u32_e32 v9, 28, v30
	v_lshrrev_b32_e32 v23, 3, v10
	v_cmp_gt_u32_e32 vcc, 8, v10
	v_lshlrev_b64 v[9:10], v9, v[2:3]
	v_sub_u32_e32 v2, 29, v30
	v_and_b32_e32 v9, 7, v9
	v_cndmask_b32_e32 v2, v23, v2, vcc
	v_cndmask_b32_e32 v9, v22, v9, vcc
	v_lshlrev_b32_e32 v8, 24, v8
	v_lshlrev_b32_e32 v9, 20, v9
	v_and_b32_e32 v8, 0x80000000, v8
	v_lshl_add_u32 v2, v2, 23, v5
	v_or3_b32 v9, v8, v2, v9
.LBB4_2323:                             ;   in Loop: Header=BB4_1924 Depth=3
	s_or_b64 exec, exec, s[34:35]
.LBB4_2324:                             ;   in Loop: Header=BB4_1924 Depth=3
	s_or_b64 exec, exec, s[30:31]
.LBB4_2325:                             ;   in Loop: Header=BB4_1924 Depth=3
	s_or_b64 exec, exec, s[26:27]
	v_mul_f32_e32 v8, s45, v9
	v_and_b32_e32 v2, 0x7f800000, v8
	v_cmp_ne_u64_e32 vcc, s[62:63], v[2:3]
                                        ; implicit-def: $vgpr2
	s_and_saveexec_b64 s[26:27], vcc
	s_xor_b64 s[30:31], exec, s[26:27]
	s_cbranch_execz .LBB4_2343
; %bb.2326:                             ;   in Loop: Header=BB4_1924 Depth=3
	v_and_b32_e32 v2, 0x7fffffff, v8
	v_cmp_gt_u64_e32 vcc, s[72:73], v[2:3]
	v_and_b32_sdwa v35, v8, s70 dst_sel:DWORD dst_unused:UNUSED_PAD src0_sel:BYTE_3 src1_sel:DWORD
                                        ; implicit-def: $vgpr2
	s_and_saveexec_b64 s[26:27], vcc
	s_xor_b64 s[34:35], exec, s[26:27]
	s_cbranch_execz .LBB4_2340
; %bb.2327:                             ;   in Loop: Header=BB4_1924 Depth=3
	v_cmp_ne_u32_e32 vcc, 0, v8
	v_mov_b32_e32 v2, 0
	s_and_saveexec_b64 s[36:37], vcc
	s_cbranch_execz .LBB4_2339
; %bb.2328:                             ;   in Loop: Header=BB4_1924 Depth=3
	v_bfe_u32 v36, v8, 23, 8
	v_and_b32_e32 v2, 0x7fffff, v8
	v_cmp_gt_u32_e64 s[26:27], s71, v36
	v_sub_u32_e32 v8, 0x79, v36
	v_cmp_eq_u32_e32 vcc, 0, v36
	v_cndmask_b32_e64 v8, 0, v8, s[26:27]
	v_mov_b32_e32 v10, 0x78
	v_cndmask_b32_e32 v37, v8, v10, vcc
	v_or_b32_e32 v9, 0x800000, v2
	v_add_u32_e32 v8, 20, v37
	v_cndmask_b32_e32 v2, v9, v2, vcc
	v_lshlrev_b64 v[8:9], v8, -1
	v_add_u32_e32 v10, 19, v37
	v_lshlrev_b64 v[38:39], v10, 1
	v_bfi_b32 v9, v9, 0, 0
	v_bfi_b32 v8, v8, 0, v2
	v_cmp_eq_u64_e64 s[26:27], v[8:9], v[38:39]
	v_lshrrev_b64 v[8:9], v37, v[2:3]
	v_mov_b32_e32 v10, v9
	v_mov_b32_e32 v9, v8
	s_and_saveexec_b64 s[38:39], s[26:27]
; %bb.2329:                             ;   in Loop: Header=BB4_1924 Depth=3
	v_bfe_u32 v2, v8, 20, 1
	v_add_co_u32_e64 v2, s[26:27], v8, v2
	v_add_co_u32_e64 v9, s[26:27], -1, v2
; %bb.2330:                             ;   in Loop: Header=BB4_1924 Depth=3
	s_or_b64 exec, exec, s[38:39]
	v_add_u32_e32 v2, 0xffffff81, v36
	v_mov_b32_e32 v10, 0xffffff82
	v_cndmask_b32_e32 v2, v2, v10, vcc
	v_lshrrev_b32_e32 v10, 23, v8
	v_add3_u32 v37, v37, v2, v10
	v_add_u32_e32 v36, 6, v37
	v_and_b32_e32 v2, 0xfffff, v9
	v_add_u32_e32 v2, v2, v8
	v_cmp_ne_u32_e32 vcc, 0, v36
                                        ; implicit-def: $vgpr8_vgpr9
                                        ; implicit-def: $vgpr10
	s_and_saveexec_b64 s[26:27], vcc
	s_xor_b64 s[26:27], exec, s[26:27]
; %bb.2331:                             ;   in Loop: Header=BB4_1924 Depth=3
	v_cmp_lt_u64_e32 vcc, s[74:75], v[2:3]
	v_add_u32_e32 v8, 7, v37
	v_cndmask_b32_e32 v10, v36, v8, vcc
	v_cndmask_b32_e64 v8, 0, 1, vcc
	v_lshrrev_b64 v[8:9], v8, v[2:3]
; %bb.2332:                             ;   in Loop: Header=BB4_1924 Depth=3
	s_andn2_saveexec_b64 s[26:27], s[26:27]
; %bb.2333:                             ;   in Loop: Header=BB4_1924 Depth=3
	v_mov_b32_e32 v9, v3
	v_bfe_u32 v10, v2, 23, 1
	v_mov_b32_e32 v8, v2
; %bb.2334:                             ;   in Loop: Header=BB4_1924 Depth=3
	s_or_b64 exec, exec, s[26:27]
	v_lshrrev_b64 v[8:9], 20, v[8:9]
	v_cmp_gt_i32_e32 vcc, 16, v10
	v_cndmask_b32_e32 v9, 0, v9, vcc
	v_cndmask_b32_e32 v8, 7, v8, vcc
	v_cmp_ne_u64_e32 vcc, 0, v[8:9]
	v_cmp_ne_u32_e64 s[26:27], 0, v10
	s_or_b64 s[26:27], s[26:27], vcc
                                        ; implicit-def: $vgpr2
	s_and_saveexec_b64 vcc, s[26:27]
	s_xor_b64 s[26:27], exec, vcc
; %bb.2335:                             ;   in Loop: Header=BB4_1924 Depth=3
	v_min_i32_e32 v2, 15, v10
	v_lshl_or_b32 v2, v2, 3, v35
	v_and_or_b32 v2, v8, 7, v2
                                        ; implicit-def: $vgpr35
; %bb.2336:                             ;   in Loop: Header=BB4_1924 Depth=3
	s_andn2_saveexec_b64 s[26:27], s[26:27]
; %bb.2337:                             ;   in Loop: Header=BB4_1924 Depth=3
	v_mov_b32_e32 v2, v35
; %bb.2338:                             ;   in Loop: Header=BB4_1924 Depth=3
	s_or_b64 exec, exec, s[26:27]
.LBB4_2339:                             ;   in Loop: Header=BB4_1924 Depth=3
	s_or_b64 exec, exec, s[36:37]
                                        ; implicit-def: $vgpr35
.LBB4_2340:                             ;   in Loop: Header=BB4_1924 Depth=3
	s_andn2_saveexec_b64 s[26:27], s[34:35]
; %bb.2341:                             ;   in Loop: Header=BB4_1924 Depth=3
	v_or_b32_e32 v2, 0x7e, v35
; %bb.2342:                             ;   in Loop: Header=BB4_1924 Depth=3
	s_or_b64 exec, exec, s[26:27]
                                        ; implicit-def: $vgpr8
.LBB4_2343:                             ;   in Loop: Header=BB4_1924 Depth=3
	s_andn2_saveexec_b64 s[26:27], s[30:31]
	s_cbranch_execz .LBB4_1923
; %bb.2344:                             ;   in Loop: Header=BB4_1924 Depth=3
	v_or_b32_sdwa v2, v8, s68 dst_sel:DWORD dst_unused:UNUSED_PAD src0_sel:BYTE_3 src1_sel:DWORD
	s_branch .LBB4_1923
.LBB4_2345:                             ;   in Loop: Header=BB4_57 Depth=2
	s_or_b64 exec, exec, s[94:95]
.LBB4_2346:                             ;   in Loop: Header=BB4_57 Depth=2
	s_or_b64 exec, exec, s[92:93]
	v_lshlrev_b32_e32 v2, 10, v12
	v_cmp_ne_u32_e32 vcc, v1, v2
	s_and_b64 exec, exec, vcc
	s_cbranch_execz .LBB4_2381
; %bb.2347:                             ;   in Loop: Header=BB4_57 Depth=2
	v_lshlrev_b32_e32 v6, 6, v6
	v_sub_u32_e32 v4, v4, v6
	v_lshlrev_b32_e32 v6, 6, v7
	v_sub_u32_e32 v4, v4, v6
	v_add_u32_e32 v2, v2, v4
	v_sub_u32_e32 v1, v1, v2
	v_cmp_lt_i32_e32 vcc, 0, v1
	s_and_b64 exec, exec, vcc
	s_cbranch_execz .LBB4_2381
; %bb.2348:                             ;   in Loop: Header=BB4_57 Depth=2
	v_add_u32_e32 v0, v2, v0
	s_trap 2
	ds_read_b64 v[8:9], v0
	v_ashrrev_i32_e32 v4, 31, v0
	s_mov_b64 s[92:93], 0
	s_branch .LBB4_2350
.LBB4_2349:                             ;   in Loop: Header=BB4_2350 Depth=3
	s_or_b64 exec, exec, s[26:27]
	flat_store_byte v[10:11], v2 glc slc
	buffer_load_dword v2, off, s[0:3], s33 offset:104 ; 4-byte Folded Reload
	s_waitcnt vmcnt(0)
	v_sub_u32_e32 v1, v1, v2
	v_cmp_gt_i32_e32 vcc, 1, v1
	s_or_b64 s[92:93], vcc, s[92:93]
	v_add_co_u32_e32 v0, vcc, v0, v2
	v_addc_co_u32_e32 v4, vcc, 0, v4, vcc
	s_andn2_b64 exec, exec, s[92:93]
	s_cbranch_execz .LBB4_2381
.LBB4_2350:                             ;   Parent Loop BB4_47 Depth=1
                                        ;     Parent Loop BB4_57 Depth=2
                                        ; =>    This Inner Loop Header: Depth=3
	s_trap 2
	ds_read_b64 v[10:11], v0
	s_waitcnt lgkmcnt(0)
	v_cmp_eq_u32_sdwa s[94:95], v10, v3 src0_sel:BYTE_0 src1_sel:DWORD
	v_readfirstlane_b32 s26, v10
	v_readfirstlane_b32 s27, v11
	s_and_b64 vcc, exec, s[94:95]
	s_cbranch_vccnz .LBB4_2354
; %bb.2351:                             ;   in Loop: Header=BB4_2350 Depth=3
	v_cmp_eq_u32_sdwa s[94:95], v10, s70 src0_sel:BYTE_0 src1_sel:DWORD
	s_brev_b32 s45, 1
	s_and_b64 vcc, exec, s[94:95]
	s_cbranch_vccnz .LBB4_2355
; %bb.2352:                             ;   in Loop: Header=BB4_2350 Depth=3
	s_and_b32 s47, s26, 0x7f
	s_cmpk_eq_i32 s47, 0x7f
	s_mov_b32 s45, 0x7f800001
	s_cbranch_scc1 .LBB4_2355
; %bb.2353:                             ;   in Loop: Header=BB4_2350 Depth=3
	s_and_b32 s45, s26, 7
	s_flbit_i32_b32 s45, s45
	s_min_u32 s45, s45, 32
	s_lshr_b32 s94, s47, 3
	s_sub_i32 s95, s45, 28
	s_sub_i32 s45, 29, s45
	s_cmp_lt_u32 s47, 8
	s_cselect_b32 s45, s45, s94
	s_cselect_b32 s47, s95, 0
	s_lshl_b64 s[94:95], s[26:27], s47
	s_lshl_b32 s26, s26, 24
	s_lshl_b32 s45, s45, 23
	;; [unrolled: 1-line block ×3, first 2 shown]
	s_and_b32 s26, s26, 0x80000000
	s_add_i32 s45, s45, 0x3c000000
	s_and_b32 s27, s27, 0x700000
	s_or_b32 s26, s26, s45
	s_or_b32 s45, s26, s27
	s_branch .LBB4_2355
.LBB4_2354:                             ;   in Loop: Header=BB4_2350 Depth=3
	s_mov_b32 s45, 0
.LBB4_2355:                             ;   in Loop: Header=BB4_2350 Depth=3
	v_add_co_u32_e32 v10, vcc, v8, v0
	v_addc_co_u32_e32 v11, vcc, v9, v4, vcc
	flat_load_ubyte v6, v[10:11] glc slc
	v_mov_b32_e32 v7, 0
	s_waitcnt vmcnt(0) lgkmcnt(0)
	v_cmp_ne_u16_e32 vcc, 0, v6
	s_and_saveexec_b64 s[26:27], vcc
	s_cbranch_execz .LBB4_2361
; %bb.2356:                             ;   in Loop: Header=BB4_2350 Depth=3
	v_cmp_ne_u16_e32 vcc, s70, v6
	v_bfrev_b32_e32 v7, 1
	s_and_saveexec_b64 s[94:95], vcc
	s_cbranch_execz .LBB4_2360
; %bb.2357:                             ;   in Loop: Header=BB4_2350 Depth=3
	v_and_b32_e32 v2, 0xffff, v6
	v_and_b32_e32 v12, 0x7f, v2
	v_cmp_ne_u32_e32 vcc, s68, v12
	v_mov_b32_e32 v7, 0x7f800001
	s_and_saveexec_b64 s[30:31], vcc
	s_cbranch_execz .LBB4_2359
; %bb.2358:                             ;   in Loop: Header=BB4_2350 Depth=3
	v_and_b32_e32 v7, 7, v2
	v_lshrrev_b32_e32 v14, 3, v12
	v_cmp_gt_u32_e32 vcc, 8, v12
	v_ffbh_u32_e32 v12, v7
	v_min_u32_e32 v15, 32, v12
	v_subrev_u32_e32 v12, 28, v15
	v_lshlrev_b64 v[12:13], v12, v[2:3]
	v_sub_u32_e32 v2, 29, v15
	v_and_b32_e32 v12, 7, v12
	v_cndmask_b32_e32 v2, v14, v2, vcc
	v_cndmask_b32_e32 v7, v7, v12, vcc
	v_lshlrev_b32_e32 v6, 24, v6
	v_lshlrev_b32_e32 v7, 20, v7
	v_and_b32_e32 v6, 0x80000000, v6
	v_lshl_add_u32 v2, v2, 23, v5
	v_or3_b32 v7, v6, v2, v7
.LBB4_2359:                             ;   in Loop: Header=BB4_2350 Depth=3
	s_or_b64 exec, exec, s[30:31]
.LBB4_2360:                             ;   in Loop: Header=BB4_2350 Depth=3
	s_or_b64 exec, exec, s[94:95]
.LBB4_2361:                             ;   in Loop: Header=BB4_2350 Depth=3
	s_or_b64 exec, exec, s[26:27]
	v_mul_f32_e32 v7, s45, v7
	v_and_b32_e32 v2, 0x7f800000, v7
	v_cmp_ne_u64_e32 vcc, s[62:63], v[2:3]
                                        ; implicit-def: $vgpr2
	s_and_saveexec_b64 s[26:27], vcc
	s_xor_b64 s[94:95], exec, s[26:27]
	s_cbranch_execz .LBB4_2379
; %bb.2362:                             ;   in Loop: Header=BB4_2350 Depth=3
	v_and_b32_e32 v2, 0x7fffffff, v7
	v_cmp_gt_u64_e32 vcc, s[72:73], v[2:3]
	v_and_b32_sdwa v6, v7, s70 dst_sel:DWORD dst_unused:UNUSED_PAD src0_sel:BYTE_3 src1_sel:DWORD
                                        ; implicit-def: $vgpr2
	s_and_saveexec_b64 s[26:27], vcc
	s_xor_b64 s[30:31], exec, s[26:27]
	s_cbranch_execz .LBB4_2376
; %bb.2363:                             ;   in Loop: Header=BB4_2350 Depth=3
	v_cmp_ne_u32_e32 vcc, 0, v7
	v_mov_b32_e32 v2, 0
	s_and_saveexec_b64 s[34:35], vcc
	s_cbranch_execz .LBB4_2375
; %bb.2364:                             ;   in Loop: Header=BB4_2350 Depth=3
	v_and_b32_e32 v2, 0x7fffff, v7
	v_bfe_u32 v7, v7, 23, 8
	v_cmp_gt_u32_e64 s[26:27], s71, v7
	v_sub_u32_e32 v12, 0x79, v7
	v_cmp_eq_u32_e32 vcc, 0, v7
	v_cndmask_b32_e64 v12, 0, v12, s[26:27]
	v_mov_b32_e32 v14, 0x78
	v_or_b32_e32 v13, 0x800000, v2
	v_cndmask_b32_e32 v12, v12, v14, vcc
	v_cndmask_b32_e32 v2, v13, v2, vcc
	v_add_u32_e32 v13, 20, v12
	v_lshlrev_b64 v[13:14], v13, -1
	v_add_u32_e32 v15, 19, v12
	v_lshlrev_b64 v[15:16], v15, 1
	v_lshrrev_b64 v[52:53], v12, v[2:3]
	v_bfi_b32 v14, v14, 0, 0
	v_bfi_b32 v13, v13, 0, v2
	v_cmp_eq_u64_e64 s[26:27], v[13:14], v[15:16]
	v_mov_b32_e32 v54, v53
	v_mov_b32_e32 v53, v52
	s_and_saveexec_b64 s[36:37], s[26:27]
; %bb.2365:                             ;   in Loop: Header=BB4_2350 Depth=3
	v_bfe_u32 v2, v52, 20, 1
	v_add_co_u32_e64 v2, s[26:27], v52, v2
	v_add_co_u32_e64 v53, s[26:27], -1, v2
; %bb.2366:                             ;   in Loop: Header=BB4_2350 Depth=3
	s_or_b64 exec, exec, s[36:37]
	v_add_u32_e32 v2, 0xffffff81, v7
	v_mov_b32_e32 v7, 0xffffff82
	v_cndmask_b32_e32 v2, v2, v7, vcc
	v_lshrrev_b32_e32 v7, 23, v52
	v_add3_u32 v13, v12, v2, v7
	v_add_u32_e32 v12, 6, v13
	v_and_b32_e32 v2, 0xfffff, v53
	v_add_u32_e32 v2, v2, v52
	v_cmp_ne_u32_e32 vcc, 0, v12
                                        ; implicit-def: $vgpr52_vgpr53
                                        ; implicit-def: $vgpr7
	s_and_saveexec_b64 s[26:27], vcc
	s_xor_b64 s[26:27], exec, s[26:27]
; %bb.2367:                             ;   in Loop: Header=BB4_2350 Depth=3
	v_cmp_lt_u64_e32 vcc, s[74:75], v[2:3]
	v_add_u32_e32 v7, 7, v13
	v_cndmask_b32_e32 v7, v12, v7, vcc
	v_cndmask_b32_e64 v12, 0, 1, vcc
	v_lshrrev_b64 v[52:53], v12, v[2:3]
; %bb.2368:                             ;   in Loop: Header=BB4_2350 Depth=3
	s_andn2_saveexec_b64 s[26:27], s[26:27]
; %bb.2369:                             ;   in Loop: Header=BB4_2350 Depth=3
	v_mov_b32_e32 v53, v3
	v_bfe_u32 v7, v2, 23, 1
	v_mov_b32_e32 v52, v2
; %bb.2370:                             ;   in Loop: Header=BB4_2350 Depth=3
	s_or_b64 exec, exec, s[26:27]
	v_lshrrev_b64 v[12:13], 20, v[52:53]
	v_cmp_gt_i32_e32 vcc, 16, v7
	v_cndmask_b32_e32 v53, 0, v13, vcc
	v_cndmask_b32_e32 v52, 7, v12, vcc
	v_cmp_ne_u64_e32 vcc, 0, v[52:53]
	v_cmp_ne_u32_e64 s[26:27], 0, v7
	s_or_b64 s[26:27], s[26:27], vcc
                                        ; implicit-def: $vgpr2
	s_and_saveexec_b64 vcc, s[26:27]
	s_xor_b64 s[26:27], exec, vcc
; %bb.2371:                             ;   in Loop: Header=BB4_2350 Depth=3
	v_min_i32_e32 v2, 15, v7
	v_lshl_or_b32 v2, v2, 3, v6
	v_and_or_b32 v2, v52, 7, v2
                                        ; implicit-def: $vgpr6
; %bb.2372:                             ;   in Loop: Header=BB4_2350 Depth=3
	s_andn2_saveexec_b64 s[26:27], s[26:27]
; %bb.2373:                             ;   in Loop: Header=BB4_2350 Depth=3
	v_mov_b32_e32 v2, v6
; %bb.2374:                             ;   in Loop: Header=BB4_2350 Depth=3
	s_or_b64 exec, exec, s[26:27]
.LBB4_2375:                             ;   in Loop: Header=BB4_2350 Depth=3
	s_or_b64 exec, exec, s[34:35]
                                        ; implicit-def: $vgpr6
.LBB4_2376:                             ;   in Loop: Header=BB4_2350 Depth=3
	s_andn2_saveexec_b64 s[26:27], s[30:31]
; %bb.2377:                             ;   in Loop: Header=BB4_2350 Depth=3
	v_or_b32_e32 v2, 0x7e, v6
; %bb.2378:                             ;   in Loop: Header=BB4_2350 Depth=3
	s_or_b64 exec, exec, s[26:27]
                                        ; implicit-def: $vgpr7
.LBB4_2379:                             ;   in Loop: Header=BB4_2350 Depth=3
	s_andn2_saveexec_b64 s[26:27], s[94:95]
	s_cbranch_execz .LBB4_2349
; %bb.2380:                             ;   in Loop: Header=BB4_2350 Depth=3
	v_or_b32_sdwa v2, v7, s68 dst_sel:DWORD dst_unused:UNUSED_PAD src0_sel:BYTE_3 src1_sel:DWORD
	s_branch .LBB4_2349
.LBB4_2381:                             ;   in Loop: Header=BB4_57 Depth=2
	s_or_b64 exec, exec, s[28:29]
	buffer_load_dword v0, off, s[0:3], s33 offset:364 ; 4-byte Folded Reload
	buffer_load_dword v16, off, s[0:3], s33 offset:368 ; 4-byte Folded Reload
	s_waitcnt vmcnt(0)
	v_cmp_lt_i32_e64 s[26:27], 0, v0
	s_and_saveexec_b64 s[28:29], s[10:11]
	s_cbranch_execz .LBB4_128
.LBB4_2382:                             ;   in Loop: Header=BB4_57 Depth=2
	s_and_saveexec_b64 s[92:93], s[58:59]
	s_xor_b64 s[92:93], exec, s[92:93]
	s_cbranch_execz .LBB4_2397
; %bb.2383:                             ;   in Loop: Header=BB4_57 Depth=2
	s_and_saveexec_b64 s[94:95], s[16:17]
	s_cbranch_execz .LBB4_2396
; %bb.2384:                             ;   in Loop: Header=BB4_57 Depth=2
	s_mov_b64 s[34:35], exec
	v_mbcnt_lo_u32_b32 v0, s34, 0
	v_mbcnt_hi_u32_b32 v0, s35, v0
	v_cmp_eq_u32_e32 vcc, 0, v0
	s_waitcnt vmcnt(0) lgkmcnt(0)
	buffer_wbinvl1_vol
	s_and_saveexec_b64 s[30:31], vcc
	s_cbranch_execz .LBB4_2386
; %bb.2385:                             ;   in Loop: Header=BB4_57 Depth=2
	s_bcnt1_i32_b64 s45, s[34:35]
	v_mov_b32_e32 v0, s45
	v_mov_b32_e32 v1, v3
	ds_add_u64 v0, v[0:1]
	s_trap 2
.LBB4_2386:                             ;   in Loop: Header=BB4_57 Depth=2
	s_or_b64 exec, exec, s[30:31]
	s_trap 2
	ds_read_b64 v[0:1], v0
	s_waitcnt lgkmcnt(0)
	buffer_load_dword v6, off, s[0:3], s33 offset:72 ; 4-byte Folded Reload
	buffer_load_dword v7, off, s[0:3], s33 offset:76 ; 4-byte Folded Reload
	;; [unrolled: 1-line block ×3, first 2 shown]
	s_waitcnt vmcnt(0)
	v_add_co_u32_e32 v6, vcc, v6, v2
	v_addc_co_u32_e32 v7, vcc, 0, v7, vcc
	buffer_store_dword v6, off, s[0:3], s33 offset:72 ; 4-byte Folded Spill
	s_nop 0
	buffer_store_dword v7, off, s[0:3], s33 offset:76 ; 4-byte Folded Spill
	v_cmp_lt_u64_e32 vcc, v[0:1], v[6:7]
	s_and_saveexec_b64 s[30:31], vcc
	s_cbranch_execz .LBB4_2395
; %bb.2387:                             ;   in Loop: Header=BB4_57 Depth=2
	s_mov_b32 s45, 0
	s_mov_b64 s[34:35], 0
                                        ; implicit-def: $sgpr36_sgpr37
                                        ; implicit-def: $sgpr38_sgpr39
	s_branch .LBB4_2389
.LBB4_2388:                             ;   in Loop: Header=BB4_2389 Depth=3
	s_or_b64 exec, exec, s[50:51]
	s_and_b64 vcc, exec, vcc
	s_or_b64 s[34:35], vcc, s[34:35]
	s_andn2_b64 vcc, s[36:37], exec
	s_and_b64 s[36:37], s[38:39], exec
	s_or_b64 s[36:37], vcc, s[36:37]
	s_andn2_b64 exec, exec, s[34:35]
	s_cbranch_execz .LBB4_2393
.LBB4_2389:                             ;   Parent Loop BB4_47 Depth=1
                                        ;     Parent Loop BB4_57 Depth=2
                                        ; =>    This Inner Loop Header: Depth=3
	s_add_i32 s45, s45, 1
	s_cmpk_lg_i32 s45, 0x2710
	s_cselect_b64 s[48:49], -1, 0
	s_and_b64 vcc, exec, s[48:49]
	s_cbranch_vccz .LBB4_2391
; %bb.2390:                             ;   in Loop: Header=BB4_2389 Depth=3
	s_mov_b64 vcc, -1
	s_or_b64 s[38:39], s[38:39], exec
	s_and_saveexec_b64 s[50:51], s[48:49]
	s_cbranch_execz .LBB4_2388
	s_branch .LBB4_2392
.LBB4_2391:                             ;   in Loop: Header=BB4_2389 Depth=3
	s_trap 2
	ds_read_b64 v[0:1], v0
	s_andn2_b64 s[48:49], s[48:49], exec
	s_mov_b32 s45, 0
	s_waitcnt vmcnt(0) lgkmcnt(0)
	flat_load_dword v0, v[0:1] glc
	s_waitcnt vmcnt(0) lgkmcnt(0)
	buffer_wbinvl1_vol
	v_cmp_eq_u32_e32 vcc, 0, v0
	s_and_b64 vcc, vcc, exec
	s_or_b64 s[48:49], s[48:49], vcc
	s_mov_b64 vcc, -1
	s_or_b64 s[38:39], s[38:39], exec
	s_and_saveexec_b64 s[50:51], s[48:49]
	s_cbranch_execz .LBB4_2388
.LBB4_2392:                             ;   in Loop: Header=BB4_2389 Depth=3
	s_sleep 1
	s_trap 2
	ds_read_b64 v[0:1], v0
	s_waitcnt lgkmcnt(0)
	buffer_load_dword v6, off, s[0:3], s33 offset:72 ; 4-byte Folded Reload
	buffer_load_dword v7, off, s[0:3], s33 offset:76 ; 4-byte Folded Reload
	s_andn2_b64 s[38:39], s[38:39], exec
	s_waitcnt vmcnt(0)
	v_cmp_ge_u64_e32 vcc, v[0:1], v[6:7]
	s_orn2_b64 vcc, vcc, exec
	s_branch .LBB4_2388
.LBB4_2393:                             ;   in Loop: Header=BB4_57 Depth=2
	s_or_b64 exec, exec, s[34:35]
	s_and_saveexec_b64 vcc, s[36:37]
	s_xor_b64 vcc, exec, vcc
	s_cbranch_execz .LBB4_2395
; %bb.2394:                             ;   in Loop: Header=BB4_57 Depth=2
	v_mov_b32_e32 v0, 1
	ds_write_b32 v0, v0
	s_trap 2
.LBB4_2395:                             ;   in Loop: Header=BB4_57 Depth=2
	s_or_b64 exec, exec, s[30:31]
	;;#ASMSTART
	s_wakeup
	;;#ASMEND
.LBB4_2396:                             ;   in Loop: Header=BB4_57 Depth=2
	s_or_b64 exec, exec, s[94:95]
.LBB4_2397:                             ;   in Loop: Header=BB4_57 Depth=2
	s_andn2_saveexec_b64 s[92:93], s[92:93]
	s_cbranch_execz .LBB4_2399
; %bb.2398:                             ;   in Loop: Header=BB4_57 Depth=2
	s_waitcnt vmcnt(0) lgkmcnt(0)
	buffer_wbinvl1_vol
	s_barrier
.LBB4_2399:                             ;   in Loop: Header=BB4_57 Depth=2
	s_or_b64 exec, exec, s[92:93]
	s_or_b64 exec, exec, s[28:29]
                                        ; implicit-def: $vgpr0
	s_and_saveexec_b64 s[28:29], s[24:25]
	s_xor_b64 s[28:29], exec, s[28:29]
	s_cbranch_execnz .LBB4_129
.LBB4_2400:                             ;   in Loop: Header=BB4_57 Depth=2
	s_andn2_saveexec_b64 s[26:27], s[28:29]
	s_cbranch_execz .LBB4_132
.LBB4_2401:                             ;   in Loop: Header=BB4_57 Depth=2
	s_and_saveexec_b64 s[28:29], s[58:59]
	s_xor_b64 s[28:29], exec, s[28:29]
	s_cbranch_execz .LBB4_2416
; %bb.2402:                             ;   in Loop: Header=BB4_57 Depth=2
	s_and_saveexec_b64 s[92:93], s[16:17]
	s_cbranch_execz .LBB4_2415
; %bb.2403:                             ;   in Loop: Header=BB4_57 Depth=2
	s_mov_b64 s[30:31], exec
	v_mbcnt_lo_u32_b32 v0, s30, 0
	v_mbcnt_hi_u32_b32 v0, s31, v0
	v_cmp_eq_u32_e32 vcc, 0, v0
	;;#ASMSTART
	s_waitcnt lgkmcnt(0) vmcnt(0)
	;;#ASMEND
	s_and_saveexec_b64 s[94:95], vcc
	s_cbranch_execz .LBB4_2405
; %bb.2404:                             ;   in Loop: Header=BB4_57 Depth=2
	s_bcnt1_i32_b64 s45, s[30:31]
	v_mov_b32_e32 v0, s45
	v_mov_b32_e32 v1, v3
	s_waitcnt lgkmcnt(0)
	ds_add_u64 v0, v[0:1]
	s_trap 2
.LBB4_2405:                             ;   in Loop: Header=BB4_57 Depth=2
	s_or_b64 exec, exec, s[94:95]
	s_trap 2
	ds_read_b64 v[0:1], v0
	s_waitcnt lgkmcnt(0)
	buffer_load_dword v6, off, s[0:3], s33 offset:72 ; 4-byte Folded Reload
	buffer_load_dword v7, off, s[0:3], s33 offset:76 ; 4-byte Folded Reload
	;; [unrolled: 1-line block ×3, first 2 shown]
	s_waitcnt vmcnt(0)
	v_add_co_u32_e32 v6, vcc, v6, v2
	v_addc_co_u32_e32 v7, vcc, 0, v7, vcc
	buffer_store_dword v6, off, s[0:3], s33 offset:72 ; 4-byte Folded Spill
	s_nop 0
	buffer_store_dword v7, off, s[0:3], s33 offset:76 ; 4-byte Folded Spill
	v_cmp_lt_u64_e32 vcc, v[0:1], v[6:7]
	s_and_saveexec_b64 s[94:95], vcc
	s_cbranch_execz .LBB4_2414
; %bb.2406:                             ;   in Loop: Header=BB4_57 Depth=2
	s_mov_b32 s45, 0
	s_mov_b64 s[30:31], 0
                                        ; implicit-def: $sgpr34_sgpr35
                                        ; implicit-def: $sgpr36_sgpr37
	s_branch .LBB4_2408
.LBB4_2407:                             ;   in Loop: Header=BB4_2408 Depth=3
	s_or_b64 exec, exec, s[48:49]
	s_and_b64 vcc, exec, vcc
	s_or_b64 s[30:31], vcc, s[30:31]
	s_andn2_b64 vcc, s[34:35], exec
	s_and_b64 s[34:35], s[36:37], exec
	s_or_b64 s[34:35], vcc, s[34:35]
	s_andn2_b64 exec, exec, s[30:31]
	s_cbranch_execz .LBB4_2412
.LBB4_2408:                             ;   Parent Loop BB4_47 Depth=1
                                        ;     Parent Loop BB4_57 Depth=2
                                        ; =>    This Inner Loop Header: Depth=3
	s_add_i32 s45, s45, 1
	s_cmpk_lg_i32 s45, 0x2710
	s_cselect_b64 s[38:39], -1, 0
	s_and_b64 vcc, exec, s[38:39]
	s_cbranch_vccz .LBB4_2410
; %bb.2409:                             ;   in Loop: Header=BB4_2408 Depth=3
	s_mov_b64 vcc, -1
	s_or_b64 s[36:37], s[36:37], exec
	s_and_saveexec_b64 s[48:49], s[38:39]
	s_cbranch_execz .LBB4_2407
	s_branch .LBB4_2411
.LBB4_2410:                             ;   in Loop: Header=BB4_2408 Depth=3
	s_trap 2
	ds_read_b64 v[0:1], v0
	s_andn2_b64 s[38:39], s[38:39], exec
	s_mov_b32 s45, 0
	s_waitcnt vmcnt(0) lgkmcnt(0)
	flat_load_dword v0, v[0:1] glc
	s_waitcnt vmcnt(0) lgkmcnt(0)
	buffer_wbinvl1_vol
	v_cmp_eq_u32_e32 vcc, 0, v0
	s_and_b64 vcc, vcc, exec
	s_or_b64 s[38:39], s[38:39], vcc
	s_mov_b64 vcc, -1
	s_or_b64 s[36:37], s[36:37], exec
	s_and_saveexec_b64 s[48:49], s[38:39]
	s_cbranch_execz .LBB4_2407
.LBB4_2411:                             ;   in Loop: Header=BB4_2408 Depth=3
	s_sleep 1
	s_trap 2
	ds_read_b64 v[0:1], v0
	s_waitcnt lgkmcnt(0)
	buffer_load_dword v6, off, s[0:3], s33 offset:72 ; 4-byte Folded Reload
	buffer_load_dword v7, off, s[0:3], s33 offset:76 ; 4-byte Folded Reload
	s_andn2_b64 s[36:37], s[36:37], exec
	s_waitcnt vmcnt(0)
	v_cmp_ge_u64_e32 vcc, v[0:1], v[6:7]
	s_orn2_b64 vcc, vcc, exec
	s_branch .LBB4_2407
.LBB4_2412:                             ;   in Loop: Header=BB4_57 Depth=2
	s_or_b64 exec, exec, s[30:31]
	s_and_saveexec_b64 vcc, s[34:35]
	s_xor_b64 vcc, exec, vcc
	s_cbranch_execz .LBB4_2414
; %bb.2413:                             ;   in Loop: Header=BB4_57 Depth=2
	v_mov_b32_e32 v0, 1
	ds_write_b32 v0, v0
	s_trap 2
.LBB4_2414:                             ;   in Loop: Header=BB4_57 Depth=2
	s_or_b64 exec, exec, s[94:95]
	;;#ASMSTART
	s_wakeup
	;;#ASMEND
.LBB4_2415:                             ;   in Loop: Header=BB4_57 Depth=2
	s_or_b64 exec, exec, s[92:93]
.LBB4_2416:                             ;   in Loop: Header=BB4_57 Depth=2
	s_andn2_saveexec_b64 s[28:29], s[28:29]
	s_cbranch_execz .LBB4_2418
; %bb.2417:                             ;   in Loop: Header=BB4_57 Depth=2
	;;#ASMSTART
	s_waitcnt lgkmcnt(0) vmcnt(0)
	;;#ASMEND
	s_waitcnt vmcnt(0) lgkmcnt(0)
	s_barrier
.LBB4_2418:                             ;   in Loop: Header=BB4_57 Depth=2
	s_or_b64 exec, exec, s[28:29]
	v_and_b32_e32 v0, 16, v19
	s_or_b64 exec, exec, s[26:27]
	v_cmp_ne_u32_e32 vcc, 0, v0
	s_and_saveexec_b64 s[26:27], vcc
	s_cbranch_execz .LBB4_56
.LBB4_2419:                             ;   in Loop: Header=BB4_57 Depth=2
	s_and_saveexec_b64 s[28:29], s[14:15]
	s_cbranch_execz .LBB4_55
; %bb.2420:                             ;   in Loop: Header=BB4_57 Depth=2
	buffer_load_dword v0, off, s[0:3], s33 offset:136 ; 4-byte Folded Reload
	buffer_load_dword v1, off, s[0:3], s33 offset:140 ; 4-byte Folded Reload
	v_mov_b32_e32 v2, 1
	s_waitcnt vmcnt(0)
	flat_store_dword v[0:1], v2
	s_branch .LBB4_55
.LBB4_2421:                             ;   in Loop: Header=BB4_47 Depth=1
	s_or_b64 exec, exec, s[42:43]
.LBB4_2422:                             ;   in Loop: Header=BB4_47 Depth=1
	s_or_b64 exec, exec, s[40:41]
	v_cmp_gt_i32_e32 vcc, 2, v0
	s_and_saveexec_b64 s[28:29], vcc
	s_cbranch_execz .LBB4_2494
; %bb.2423:                             ;   in Loop: Header=BB4_47 Depth=1
	v_cmp_eq_u32_e64 s[42:43], 0, v0
	s_mov_b64 s[40:41], 0
	s_branch .LBB4_2426
.LBB4_2424:                             ;   in Loop: Header=BB4_2426 Depth=2
	s_or_b64 exec, exec, s[42:43]
	buffer_load_dword v6, off, s[0:3], s33 offset:80 ; 4-byte Folded Reload
	buffer_load_dword v7, off, s[0:3], s33 offset:84 ; 4-byte Folded Reload
	;; [unrolled: 1-line block ×4, first 2 shown]
	s_waitcnt vmcnt(0)
	v_add_co_u32_e32 v6, vcc, 2, v6
	v_addc_co_u32_e32 v7, vcc, 0, v7, vcc
	buffer_store_dword v6, off, s[0:3], s33 offset:80 ; 4-byte Folded Spill
	s_nop 0
	buffer_store_dword v7, off, s[0:3], s33 offset:84 ; 4-byte Folded Spill
	flat_store_dwordx2 v[0:1], v[6:7]
.LBB4_2425:                             ;   in Loop: Header=BB4_2426 Depth=2
	s_or_b64 exec, exec, s[26:27]
	v_add_u32_e32 v50, v33, v50
	s_mov_b64 s[42:43], 0
	s_andn2_b64 exec, exec, s[40:41]
	s_cbranch_execz .LBB4_2493
.LBB4_2426:                             ;   Parent Loop BB4_47 Depth=1
                                        ; =>  This Loop Header: Depth=2
                                        ;       Child Loop BB4_2432 Depth 3
                                        ;       Child Loop BB4_2456 Depth 3
	;; [unrolled: 1-line block ×3, first 2 shown]
	v_sub_u32_e32 v0, v16, v50
	v_min_i32_e32 v33, v33, v0
	v_and_b32_e32 v0, 8, v19
	v_cmp_ne_u32_e32 vcc, 0, v0
	s_and_saveexec_b64 s[90:91], vcc
	s_cbranch_execz .LBB4_2448
; %bb.2427:                             ;   in Loop: Header=BB4_2426 Depth=2
	buffer_load_dword v0, off, s[0:3], s33 offset:56 ; 4-byte Folded Reload
	buffer_load_dword v1, off, s[0:3], s33 offset:60 ; 4-byte Folded Reload
	;; [unrolled: 1-line block ×4, first 2 shown]
	s_waitcnt vmcnt(0)
	v_add_co_u32_e32 v0, vcc, 8, v0
	v_addc_co_u32_e32 v1, vcc, 0, v1, vcc
	v_add_co_u32_e32 v8, vcc, 2, v6
	v_addc_co_u32_e32 v9, vcc, 0, v7, vcc
	v_cmp_lt_u64_e32 vcc, v[0:1], v[8:9]
	s_and_saveexec_b64 s[92:93], vcc
	s_cbranch_execz .LBB4_2439
; %bb.2428:                             ;   in Loop: Header=BB4_2426 Depth=2
	v_and_b32_e32 v0, 64, v19
	s_mov_b32 s44, 0
	v_cmp_eq_u32_e32 vcc, 0, v0
	s_mov_b64 s[94:95], 0
                                        ; implicit-def: $sgpr30_sgpr31
                                        ; implicit-def: $sgpr34_sgpr35
                                        ; implicit-def: $sgpr36_sgpr37
	s_branch .LBB4_2432
.LBB4_2429:                             ;   in Loop: Header=BB4_2432 Depth=3
	buffer_load_dword v1, off, s[0:3], s33 offset:56 ; 4-byte Folded Reload
	buffer_load_dword v2, off, s[0:3], s33 offset:60 ; 4-byte Folded Reload
	s_or_b64 s[50:51], s[50:51], exec
	s_waitcnt vmcnt(1)
	v_add_co_u32_e64 v1, s[26:27], 8, v1
	s_waitcnt vmcnt(0)
	v_addc_co_u32_e64 v2, s[26:27], 0, v2, s[26:27]
	v_cmp_ge_u64_e64 s[26:27], v[1:2], v[8:9]
	s_orn2_b64 s[48:49], s[26:27], exec
.LBB4_2430:                             ;   in Loop: Header=BB4_2432 Depth=3
	s_or_b64 exec, exec, s[54:55]
	s_andn2_b64 s[26:27], s[36:37], exec
	s_and_b64 s[36:37], s[50:51], exec
	s_or_b64 s[36:37], s[26:27], s[36:37]
	s_andn2_b64 s[26:27], s[34:35], exec
	s_and_b64 s[34:35], s[48:49], exec
	s_or_b64 s[34:35], s[26:27], s[34:35]
.LBB4_2431:                             ;   in Loop: Header=BB4_2432 Depth=3
	s_or_b64 exec, exec, s[38:39]
	s_and_b64 s[26:27], exec, s[34:35]
	s_or_b64 s[94:95], s[26:27], s[94:95]
	s_andn2_b64 s[26:27], s[30:31], exec
	s_and_b64 s[30:31], s[36:37], exec
	s_or_b64 s[30:31], s[26:27], s[30:31]
	s_andn2_b64 exec, exec, s[94:95]
	s_cbranch_execz .LBB4_2436
.LBB4_2432:                             ;   Parent Loop BB4_47 Depth=1
                                        ;     Parent Loop BB4_2426 Depth=2
                                        ; =>    This Inner Loop Header: Depth=3
	s_sleep 1
	buffer_load_dword v0, off, s[0:3], s33 offset:64 ; 4-byte Folded Reload
	buffer_load_dword v1, off, s[0:3], s33 offset:68 ; 4-byte Folded Reload
	s_or_b64 s[36:37], s[36:37], exec
	s_or_b64 s[34:35], s[34:35], exec
	s_waitcnt vmcnt(0)
	flat_load_dwordx2 v[0:1], v[0:1] glc
	s_waitcnt vmcnt(0) lgkmcnt(0)
	buffer_store_dword v0, off, s[0:3], s33 offset:56 ; 4-byte Folded Spill
	s_nop 0
	buffer_store_dword v1, off, s[0:3], s33 offset:60 ; 4-byte Folded Spill
                                        ; implicit-def: $vgpr0
	s_and_saveexec_b64 s[38:39], vcc
	s_cbranch_execz .LBB4_2431
; %bb.2433:                             ;   in Loop: Header=BB4_2432 Depth=3
	s_cmpk_lt_i32 s44, 0x270f
	s_cselect_b64 s[52:53], -1, 0
	s_cmpk_gt_i32 s44, 0x270e
	s_mov_b64 s[48:49], -1
	s_cbranch_scc0 .LBB4_2435
; %bb.2434:                             ;   in Loop: Header=BB4_2432 Depth=3
	s_trap 2
	ds_read_b64 v[0:1], v0
	s_andn2_b64 s[52:53], s[52:53], exec
	s_mov_b32 s44, 0
	s_mov_b64 s[50:51], 0
	s_waitcnt vmcnt(0) lgkmcnt(0)
	flat_load_dword v0, v[0:1] glc
	s_waitcnt vmcnt(0) lgkmcnt(0)
	buffer_wbinvl1_vol
	v_cmp_eq_u32_e64 s[26:27], 0, v0
	s_and_b64 s[26:27], s[26:27], exec
	s_or_b64 s[52:53], s[52:53], s[26:27]
	s_and_saveexec_b64 s[54:55], s[52:53]
	s_cbranch_execz .LBB4_2430
	s_branch .LBB4_2429
.LBB4_2435:                             ;   in Loop: Header=BB4_2432 Depth=3
	s_add_i32 s44, s44, 1
	s_mov_b64 s[50:51], -1
                                        ; implicit-def: $vgpr0
	s_and_saveexec_b64 s[54:55], s[52:53]
	s_cbranch_execz .LBB4_2430
	s_branch .LBB4_2429
.LBB4_2436:                             ;   in Loop: Header=BB4_2426 Depth=2
	s_or_b64 exec, exec, s[94:95]
	s_xor_b64 s[26:27], s[30:31], -1
	s_and_saveexec_b64 s[44:45], s[26:27]
	s_xor_b64 s[26:27], exec, s[44:45]
	s_cbranch_execz .LBB4_2438
; %bb.2437:                             ;   in Loop: Header=BB4_2426 Depth=2
	v_or_b32_e32 v19, 64, v19
	ds_write_b32 v0, v0
	s_trap 2
.LBB4_2438:                             ;   in Loop: Header=BB4_2426 Depth=2
	s_or_b64 exec, exec, s[26:27]
.LBB4_2439:                             ;   in Loop: Header=BB4_2426 Depth=2
	s_or_b64 exec, exec, s[92:93]
	v_and_b32_e32 v0, 0x100, v19
	;;#ASMSTART
	s_wakeup
	;;#ASMEND
	v_cmp_ne_u32_e32 vcc, 0, v0
	buffer_load_dword v0, off, s[0:3], s33 offset:80 ; 4-byte Folded Reload
	buffer_load_dword v1, off, s[0:3], s33 offset:84 ; 4-byte Folded Reload
	s_mov_b64 s[26:27], -1
                                        ; implicit-def: $vgpr10_vgpr11
	s_waitcnt vmcnt(0)
	v_and_b32_e32 v0, 7, v0
	s_and_saveexec_b64 s[92:93], vcc
	s_cbranch_execz .LBB4_2443
; %bb.2440:                             ;   in Loop: Header=BB4_2426 Depth=2
	buffer_load_dword v10, off, s[0:3], s33 offset:120 ; 4-byte Folded Reload
	buffer_load_dword v11, off, s[0:3], s33 offset:124 ; 4-byte Folded Reload
	;; [unrolled: 1-line block ×4, first 2 shown]
	v_ashrrev_i32_e32 v34, 31, v33
	s_waitcnt vmcnt(0)
	v_mad_u64_u32 v[14:15], s[26:27], v0, 24, v[10:11]
                                        ; implicit-def: $vgpr10_vgpr11
	flat_load_dword v1, v[14:15]
	s_nop 0
	flat_store_dwordx2 v[14:15], v[33:34] offset:8
	s_waitcnt vmcnt(0) lgkmcnt(0)
	v_cmp_ne_u32_e32 vcc, 1, v1
	v_cmp_eq_u32_e64 s[26:27], 1, v1
	s_and_saveexec_b64 s[94:95], s[26:27]
	s_cbranch_execz .LBB4_2442
; %bb.2441:                             ;   in Loop: Header=BB4_2426 Depth=2
	flat_load_dword v10, v[14:15] offset:4 glc
	s_waitcnt vmcnt(0) lgkmcnt(0)
	v_ashrrev_i32_e32 v11, 31, v10
.LBB4_2442:                             ;   in Loop: Header=BB4_2426 Depth=2
	s_or_b64 exec, exec, s[94:95]
	s_orn2_b64 s[26:27], vcc, exec
.LBB4_2443:                             ;   in Loop: Header=BB4_2426 Depth=2
	s_or_b64 exec, exec, s[92:93]
	s_and_saveexec_b64 s[92:93], s[26:27]
	s_cbranch_execz .LBB4_2445
; %bb.2444:                             ;   in Loop: Header=BB4_2426 Depth=2
	buffer_load_dword v1, off, s[0:3], s33 offset:152 ; 4-byte Folded Reload
	s_waitcnt vmcnt(0)
	v_mad_i64_i32 v[10:11], s[26:27], v0, v1, 0
.LBB4_2445:                             ;   in Loop: Header=BB4_2426 Depth=2
	s_or_b64 exec, exec, s[92:93]
	buffer_load_dword v0, off, s[0:3], s33 offset:112 ; 4-byte Folded Reload
	buffer_load_dword v1, off, s[0:3], s33 offset:116 ; 4-byte Folded Reload
	s_waitcnt vmcnt(0)
	v_add_co_u32_e32 v0, vcc, v0, v10
	v_addc_co_u32_e32 v1, vcc, v1, v11, vcc
	ds_write_b64 v0, v[0:1] offset:784
	v_and_b32_e32 v0, 0x2000, v19
	v_cmp_ne_u32_e32 vcc, 0, v0
	s_and_saveexec_b64 s[26:27], vcc
	s_cbranch_execz .LBB4_2447
; %bb.2446:                             ;   in Loop: Header=BB4_2426 Depth=2
	ds_read_b64 v[0:1], v0 offset:872
	s_waitcnt lgkmcnt(0)
	v_add_co_u32_e32 v0, vcc, 1, v0
	v_addc_co_u32_e32 v1, vcc, 0, v1, vcc
	ds_write_b64 v0, v[0:1] offset:872
.LBB4_2447:                             ;   in Loop: Header=BB4_2426 Depth=2
	s_or_b64 exec, exec, s[26:27]
	buffer_store_dword v8, off, s[0:3], s33 offset:80 ; 4-byte Folded Spill
	s_nop 0
	buffer_store_dword v9, off, s[0:3], s33 offset:84 ; 4-byte Folded Spill
.LBB4_2448:                             ;   in Loop: Header=BB4_2426 Depth=2
	s_or_b64 exec, exec, s[90:91]
	s_xor_b64 s[26:27], s[42:43], -1
	s_and_b64 s[26:27], exec, s[26:27]
	s_or_b64 s[40:41], s[26:27], s[40:41]
	s_and_saveexec_b64 s[26:27], s[10:11]
	s_cbranch_execz .LBB4_2467
; %bb.2449:                             ;   in Loop: Header=BB4_2426 Depth=2
	s_and_saveexec_b64 s[42:43], s[58:59]
	s_xor_b64 s[42:43], exec, s[42:43]
	s_cbranch_execz .LBB4_2464
; %bb.2450:                             ;   in Loop: Header=BB4_2426 Depth=2
	s_and_saveexec_b64 s[90:91], s[16:17]
	s_cbranch_execz .LBB4_2463
; %bb.2451:                             ;   in Loop: Header=BB4_2426 Depth=2
	s_mov_b64 s[94:95], exec
	v_mbcnt_lo_u32_b32 v0, s94, 0
	v_mbcnt_hi_u32_b32 v0, s95, v0
	v_cmp_eq_u32_e32 vcc, 0, v0
	s_waitcnt vmcnt(0) lgkmcnt(0)
	buffer_wbinvl1_vol
	s_and_saveexec_b64 s[92:93], vcc
	s_cbranch_execz .LBB4_2453
; %bb.2452:                             ;   in Loop: Header=BB4_2426 Depth=2
	s_bcnt1_i32_b64 s44, s[94:95]
	v_mov_b32_e32 v0, s44
	v_mov_b32_e32 v1, v3
	ds_add_u64 v0, v[0:1]
	s_trap 2
.LBB4_2453:                             ;   in Loop: Header=BB4_2426 Depth=2
	s_or_b64 exec, exec, s[92:93]
	s_trap 2
	ds_read_b64 v[0:1], v0
	s_waitcnt lgkmcnt(0)
	buffer_load_dword v6, off, s[0:3], s33 offset:72 ; 4-byte Folded Reload
	buffer_load_dword v7, off, s[0:3], s33 offset:76 ; 4-byte Folded Reload
	buffer_load_dword v2, off, s[0:3], s33 offset:88 ; 4-byte Folded Reload
	s_waitcnt vmcnt(0)
	v_add_co_u32_e32 v6, vcc, v6, v2
	v_addc_co_u32_e32 v7, vcc, 0, v7, vcc
	buffer_store_dword v6, off, s[0:3], s33 offset:72 ; 4-byte Folded Spill
	s_nop 0
	buffer_store_dword v7, off, s[0:3], s33 offset:76 ; 4-byte Folded Spill
	v_cmp_lt_u64_e32 vcc, v[0:1], v[6:7]
	s_and_saveexec_b64 s[92:93], vcc
	s_cbranch_execz .LBB4_2462
; %bb.2454:                             ;   in Loop: Header=BB4_2426 Depth=2
	s_mov_b32 s44, 0
	s_mov_b64 s[94:95], 0
                                        ; implicit-def: $sgpr30_sgpr31
                                        ; implicit-def: $sgpr34_sgpr35
	s_branch .LBB4_2456
.LBB4_2455:                             ;   in Loop: Header=BB4_2456 Depth=3
	s_or_b64 exec, exec, s[38:39]
	s_and_b64 vcc, exec, vcc
	s_or_b64 s[94:95], vcc, s[94:95]
	s_andn2_b64 vcc, s[30:31], exec
	s_and_b64 s[30:31], s[34:35], exec
	s_or_b64 s[30:31], vcc, s[30:31]
	s_andn2_b64 exec, exec, s[94:95]
	s_cbranch_execz .LBB4_2460
.LBB4_2456:                             ;   Parent Loop BB4_47 Depth=1
                                        ;     Parent Loop BB4_2426 Depth=2
                                        ; =>    This Inner Loop Header: Depth=3
	s_add_i32 s44, s44, 1
	s_cmpk_lg_i32 s44, 0x2710
	s_cselect_b64 s[36:37], -1, 0
	s_and_b64 vcc, exec, s[36:37]
	s_cbranch_vccz .LBB4_2458
; %bb.2457:                             ;   in Loop: Header=BB4_2456 Depth=3
	s_mov_b64 vcc, -1
	s_or_b64 s[34:35], s[34:35], exec
	s_and_saveexec_b64 s[38:39], s[36:37]
	s_cbranch_execz .LBB4_2455
	s_branch .LBB4_2459
.LBB4_2458:                             ;   in Loop: Header=BB4_2456 Depth=3
	s_trap 2
	ds_read_b64 v[0:1], v0
	s_andn2_b64 s[36:37], s[36:37], exec
	s_mov_b32 s44, 0
	s_waitcnt vmcnt(0) lgkmcnt(0)
	flat_load_dword v0, v[0:1] glc
	s_waitcnt vmcnt(0) lgkmcnt(0)
	buffer_wbinvl1_vol
	v_cmp_eq_u32_e32 vcc, 0, v0
	s_and_b64 vcc, vcc, exec
	s_or_b64 s[36:37], s[36:37], vcc
	s_mov_b64 vcc, -1
	s_or_b64 s[34:35], s[34:35], exec
	s_and_saveexec_b64 s[38:39], s[36:37]
	s_cbranch_execz .LBB4_2455
.LBB4_2459:                             ;   in Loop: Header=BB4_2456 Depth=3
	s_sleep 1
	s_trap 2
	ds_read_b64 v[0:1], v0
	s_waitcnt lgkmcnt(0)
	buffer_load_dword v6, off, s[0:3], s33 offset:72 ; 4-byte Folded Reload
	buffer_load_dword v7, off, s[0:3], s33 offset:76 ; 4-byte Folded Reload
	s_andn2_b64 s[34:35], s[34:35], exec
	s_waitcnt vmcnt(0)
	v_cmp_ge_u64_e32 vcc, v[0:1], v[6:7]
	s_orn2_b64 vcc, vcc, exec
	s_branch .LBB4_2455
.LBB4_2460:                             ;   in Loop: Header=BB4_2426 Depth=2
	s_or_b64 exec, exec, s[94:95]
	s_and_saveexec_b64 s[44:45], s[30:31]
	s_xor_b64 s[44:45], exec, s[44:45]
	s_cbranch_execz .LBB4_2462
; %bb.2461:                             ;   in Loop: Header=BB4_2426 Depth=2
	v_mov_b32_e32 v0, 1
	ds_write_b32 v0, v0
	s_trap 2
.LBB4_2462:                             ;   in Loop: Header=BB4_2426 Depth=2
	s_or_b64 exec, exec, s[92:93]
	;;#ASMSTART
	s_wakeup
	;;#ASMEND
.LBB4_2463:                             ;   in Loop: Header=BB4_2426 Depth=2
	s_or_b64 exec, exec, s[90:91]
.LBB4_2464:                             ;   in Loop: Header=BB4_2426 Depth=2
	s_andn2_saveexec_b64 s[42:43], s[42:43]
	s_cbranch_execz .LBB4_2466
; %bb.2465:                             ;   in Loop: Header=BB4_2426 Depth=2
	s_waitcnt vmcnt(0) lgkmcnt(0)
	buffer_wbinvl1_vol
	s_barrier
.LBB4_2466:                             ;   in Loop: Header=BB4_2426 Depth=2
	s_or_b64 exec, exec, s[42:43]
.LBB4_2467:                             ;   in Loop: Header=BB4_2426 Depth=2
	s_or_b64 exec, exec, s[26:27]
                                        ; implicit-def: $vgpr0
	s_and_saveexec_b64 s[26:27], s[24:25]
	s_xor_b64 s[26:27], exec, s[26:27]
	s_cbranch_execz .LBB4_2472
; %bb.2468:                             ;   in Loop: Header=BB4_2426 Depth=2
	s_trap 2
	ds_read_b32 v0, v0
	v_cmp_lt_i32_e32 vcc, 0, v33
	v_and_b32_e32 v1, 16, v19
	s_waitcnt lgkmcnt(0)
	v_readfirstlane_b32 s42, v0
	s_cmp_eq_u32 s42, 0
	s_cselect_b64 s[42:43], -1, 0
	s_and_b64 s[42:43], vcc, s[42:43]
	v_cmp_ne_u32_e32 vcc, 0, v1
	v_and_b32_e32 v0, 16, v19
	s_and_b64 s[44:45], vcc, s[42:43]
	s_and_saveexec_b64 s[42:43], s[44:45]
	s_cbranch_execz .LBB4_2470
; %bb.2469:                             ;   in Loop: Header=BB4_2426 Depth=2
	v_mov_b32_e32 v0, 1
	s_waitcnt vmcnt(0)
	buffer_wbinvl1_vol
.LBB4_2470:                             ;   in Loop: Header=BB4_2426 Depth=2
	s_or_b64 exec, exec, s[42:43]
	s_andn2_saveexec_b64 s[26:27], s[26:27]
	s_cbranch_execnz .LBB4_2473
.LBB4_2471:                             ;   in Loop: Header=BB4_2426 Depth=2
	s_or_b64 exec, exec, s[26:27]
	v_cmp_ne_u32_e32 vcc, 0, v0
	s_and_saveexec_b64 s[26:27], vcc
	s_cbranch_execz .LBB4_2425
	s_branch .LBB4_2491
.LBB4_2472:                             ;   in Loop: Header=BB4_2426 Depth=2
	s_andn2_saveexec_b64 s[26:27], s[26:27]
	s_cbranch_execz .LBB4_2471
.LBB4_2473:                             ;   in Loop: Header=BB4_2426 Depth=2
	s_and_saveexec_b64 s[42:43], s[58:59]
	s_xor_b64 s[42:43], exec, s[42:43]
	s_cbranch_execz .LBB4_2488
; %bb.2474:                             ;   in Loop: Header=BB4_2426 Depth=2
	s_and_saveexec_b64 s[90:91], s[16:17]
	s_cbranch_execz .LBB4_2487
; %bb.2475:                             ;   in Loop: Header=BB4_2426 Depth=2
	s_mov_b64 s[94:95], exec
	v_mbcnt_lo_u32_b32 v0, s94, 0
	v_mbcnt_hi_u32_b32 v0, s95, v0
	v_cmp_eq_u32_e32 vcc, 0, v0
	;;#ASMSTART
	s_waitcnt lgkmcnt(0) vmcnt(0)
	;;#ASMEND
	s_and_saveexec_b64 s[92:93], vcc
	s_cbranch_execz .LBB4_2477
; %bb.2476:                             ;   in Loop: Header=BB4_2426 Depth=2
	s_bcnt1_i32_b64 s44, s[94:95]
	v_mov_b32_e32 v0, s44
	v_mov_b32_e32 v1, v3
	s_waitcnt lgkmcnt(0)
	ds_add_u64 v0, v[0:1]
	s_trap 2
.LBB4_2477:                             ;   in Loop: Header=BB4_2426 Depth=2
	s_or_b64 exec, exec, s[92:93]
	s_trap 2
	ds_read_b64 v[0:1], v0
	s_waitcnt lgkmcnt(0)
	buffer_load_dword v6, off, s[0:3], s33 offset:72 ; 4-byte Folded Reload
	buffer_load_dword v7, off, s[0:3], s33 offset:76 ; 4-byte Folded Reload
	;; [unrolled: 1-line block ×3, first 2 shown]
	s_waitcnt vmcnt(0)
	v_add_co_u32_e32 v6, vcc, v6, v2
	v_addc_co_u32_e32 v7, vcc, 0, v7, vcc
	buffer_store_dword v6, off, s[0:3], s33 offset:72 ; 4-byte Folded Spill
	s_nop 0
	buffer_store_dword v7, off, s[0:3], s33 offset:76 ; 4-byte Folded Spill
	v_cmp_lt_u64_e32 vcc, v[0:1], v[6:7]
	s_and_saveexec_b64 s[92:93], vcc
	s_cbranch_execz .LBB4_2486
; %bb.2478:                             ;   in Loop: Header=BB4_2426 Depth=2
	s_mov_b32 s44, 0
	s_mov_b64 s[94:95], 0
                                        ; implicit-def: $sgpr30_sgpr31
                                        ; implicit-def: $sgpr34_sgpr35
	s_branch .LBB4_2480
.LBB4_2479:                             ;   in Loop: Header=BB4_2480 Depth=3
	s_or_b64 exec, exec, s[38:39]
	s_and_b64 vcc, exec, vcc
	s_or_b64 s[94:95], vcc, s[94:95]
	s_andn2_b64 vcc, s[30:31], exec
	s_and_b64 s[30:31], s[34:35], exec
	s_or_b64 s[30:31], vcc, s[30:31]
	s_andn2_b64 exec, exec, s[94:95]
	s_cbranch_execz .LBB4_2484
.LBB4_2480:                             ;   Parent Loop BB4_47 Depth=1
                                        ;     Parent Loop BB4_2426 Depth=2
                                        ; =>    This Inner Loop Header: Depth=3
	s_add_i32 s44, s44, 1
	s_cmpk_lg_i32 s44, 0x2710
	s_cselect_b64 s[36:37], -1, 0
	s_and_b64 vcc, exec, s[36:37]
	s_cbranch_vccz .LBB4_2482
; %bb.2481:                             ;   in Loop: Header=BB4_2480 Depth=3
	s_mov_b64 vcc, -1
	s_or_b64 s[34:35], s[34:35], exec
	s_and_saveexec_b64 s[38:39], s[36:37]
	s_cbranch_execz .LBB4_2479
	s_branch .LBB4_2483
.LBB4_2482:                             ;   in Loop: Header=BB4_2480 Depth=3
	s_trap 2
	ds_read_b64 v[0:1], v0
	s_andn2_b64 s[36:37], s[36:37], exec
	s_mov_b32 s44, 0
	s_waitcnt vmcnt(0) lgkmcnt(0)
	flat_load_dword v0, v[0:1] glc
	s_waitcnt vmcnt(0) lgkmcnt(0)
	buffer_wbinvl1_vol
	v_cmp_eq_u32_e32 vcc, 0, v0
	s_and_b64 vcc, vcc, exec
	s_or_b64 s[36:37], s[36:37], vcc
	s_mov_b64 vcc, -1
	s_or_b64 s[34:35], s[34:35], exec
	s_and_saveexec_b64 s[38:39], s[36:37]
	s_cbranch_execz .LBB4_2479
.LBB4_2483:                             ;   in Loop: Header=BB4_2480 Depth=3
	s_sleep 1
	s_trap 2
	ds_read_b64 v[0:1], v0
	s_waitcnt lgkmcnt(0)
	buffer_load_dword v6, off, s[0:3], s33 offset:72 ; 4-byte Folded Reload
	buffer_load_dword v7, off, s[0:3], s33 offset:76 ; 4-byte Folded Reload
	s_andn2_b64 s[34:35], s[34:35], exec
	s_waitcnt vmcnt(0)
	v_cmp_ge_u64_e32 vcc, v[0:1], v[6:7]
	s_orn2_b64 vcc, vcc, exec
	s_branch .LBB4_2479
.LBB4_2484:                             ;   in Loop: Header=BB4_2426 Depth=2
	s_or_b64 exec, exec, s[94:95]
	s_and_saveexec_b64 s[44:45], s[30:31]
	s_xor_b64 s[44:45], exec, s[44:45]
	s_cbranch_execz .LBB4_2486
; %bb.2485:                             ;   in Loop: Header=BB4_2426 Depth=2
	v_mov_b32_e32 v0, 1
	ds_write_b32 v0, v0
	s_trap 2
.LBB4_2486:                             ;   in Loop: Header=BB4_2426 Depth=2
	s_or_b64 exec, exec, s[92:93]
	;;#ASMSTART
	s_wakeup
	;;#ASMEND
.LBB4_2487:                             ;   in Loop: Header=BB4_2426 Depth=2
	s_or_b64 exec, exec, s[90:91]
.LBB4_2488:                             ;   in Loop: Header=BB4_2426 Depth=2
	s_andn2_saveexec_b64 s[42:43], s[42:43]
	s_cbranch_execz .LBB4_2490
; %bb.2489:                             ;   in Loop: Header=BB4_2426 Depth=2
	;;#ASMSTART
	s_waitcnt lgkmcnt(0) vmcnt(0)
	;;#ASMEND
	s_waitcnt vmcnt(0) lgkmcnt(0)
	s_barrier
.LBB4_2490:                             ;   in Loop: Header=BB4_2426 Depth=2
	s_or_b64 exec, exec, s[42:43]
	v_and_b32_e32 v0, 16, v19
	s_or_b64 exec, exec, s[26:27]
	v_cmp_ne_u32_e32 vcc, 0, v0
	s_and_saveexec_b64 s[26:27], vcc
	s_cbranch_execz .LBB4_2425
.LBB4_2491:                             ;   in Loop: Header=BB4_2426 Depth=2
	s_and_saveexec_b64 s[42:43], s[14:15]
	s_cbranch_execz .LBB4_2424
; %bb.2492:                             ;   in Loop: Header=BB4_2426 Depth=2
	buffer_load_dword v0, off, s[0:3], s33 offset:136 ; 4-byte Folded Reload
	buffer_load_dword v1, off, s[0:3], s33 offset:140 ; 4-byte Folded Reload
	v_mov_b32_e32 v2, 1
	s_waitcnt vmcnt(0)
	flat_store_dword v[0:1], v2
	s_branch .LBB4_2424
.LBB4_2493:                             ;   in Loop: Header=BB4_47 Depth=1
	s_or_b64 exec, exec, s[40:41]
.LBB4_2494:                             ;   in Loop: Header=BB4_47 Depth=1
	s_or_b64 exec, exec, s[28:29]
	v_cndmask_b32_e64 v0, 0, 1, s[76:77]
	v_cmp_ne_u32_e64 s[26:27], 1, v0
	s_andn2_b64 vcc, exec, s[76:77]
	s_cbranch_vccnz .LBB4_6129
; %bb.2495:                             ;   in Loop: Header=BB4_47 Depth=1
	s_mov_b32 s47, 2
	s_branch .LBB4_2498
.LBB4_2496:                             ;   in Loop: Header=BB4_2498 Depth=2
	s_or_b64 exec, exec, s[42:43]
.LBB4_2497:                             ;   in Loop: Header=BB4_2498 Depth=2
	s_or_b64 exec, exec, s[40:41]
	s_add_i32 s47, s47, 1
	s_cmp_eq_u32 s47, s66
	s_cbranch_scc1 .LBB4_6129
.LBB4_2498:                             ;   Parent Loop BB4_47 Depth=1
                                        ; =>  This Loop Header: Depth=2
                                        ;       Child Loop BB4_2501 Depth 3
                                        ;         Child Loop BB4_2509 Depth 4
                                        ;         Child Loop BB4_2537 Depth 4
	;; [unrolled: 1-line block ×9, first 2 shown]
                                        ;       Child Loop BB4_6057 Depth 3
                                        ;         Child Loop BB4_6063 Depth 4
                                        ;         Child Loop BB4_6091 Depth 4
	;; [unrolled: 1-line block ×3, first 2 shown]
	buffer_load_dword v6, off, s[0:3], s33 offset:348 ; 4-byte Folded Reload
	buffer_load_dword v7, off, s[0:3], s33 offset:352 ; 4-byte Folded Reload
	s_sub_i32 s28, s84, s47
	s_cmp_ge_i32 s28, s66
	s_cselect_b32 s29, s66, 0
	s_sub_i32 s28, s28, s29
	s_ashr_i32 s40, s28, 31
	s_waitcnt vmcnt(0)
	v_mul_lo_u32 v1, v6, s40
	v_mul_lo_u32 v0, v7, s28
	v_mad_u64_u32 v[8:9], s[28:29], v6, s28, 0
	v_add3_u32 v9, v9, v1, v0
	buffer_load_dword v0, off, s[0:3], s33 offset:340 ; 4-byte Folded Reload
	buffer_load_dword v1, off, s[0:3], s33 offset:344 ; 4-byte Folded Reload
	s_waitcnt vmcnt(0)
	v_sub_co_u32_e32 v0, vcc, v0, v8
	buffer_store_dword v8, off, s[0:3], s33 offset:204 ; 4-byte Folded Spill
	s_nop 0
	buffer_store_dword v9, off, s[0:3], s33 offset:208 ; 4-byte Folded Spill
	v_subb_co_u32_e32 v1, vcc, v1, v9, vcc
	v_cmp_lt_i64_e32 vcc, v[6:7], v[0:1]
	v_cndmask_b32_e32 v0, v0, v6, vcc
	v_max_i32_e32 v1, 0, v0
	buffer_store_dword v1, off, s[0:3], s33 offset:96 ; 4-byte Folded Spill
	v_add_u32_e32 v1, 31, v1
	v_lshrrev_b32_e32 v1, 1, v1
	v_and_b32_e32 v1, 0x3ffffff0, v1
	v_cmp_lt_i32_e32 vcc, 0, v0
	v_max_i32_e32 v52, s87, v1
	s_and_b64 s[28:29], s[88:89], vcc
	v_mov_b32_e32 v1, 0
	v_mov_b32_e32 v0, 0
	s_and_saveexec_b64 s[42:43], s[28:29]
	s_cbranch_execz .LBB4_6054
; %bb.2499:                             ;   in Loop: Header=BB4_2498 Depth=2
	s_mov_b32 s44, 1
	s_mov_b64 s[92:93], -1
	v_mov_b32_e32 v0, 0
	s_mov_b64 s[90:91], 0
	s_branch .LBB4_2501
.LBB4_2500:                             ;   in Loop: Header=BB4_2501 Depth=3
	s_or_b64 exec, exec, s[28:29]
	buffer_load_dword v1, off, s[0:3], s33 offset:96 ; 4-byte Folded Reload
	v_add_u32_e32 v0, v52, v0
	s_xor_b64 s[28:29], s[92:93], -1
	s_mov_b64 s[92:93], 0
	s_waitcnt vmcnt(0)
	v_cmp_ge_i32_e32 vcc, v0, v1
	s_or_b64 s[28:29], s[28:29], vcc
	s_and_b64 s[28:29], exec, s[28:29]
	s_or_b64 s[90:91], s[28:29], s[90:91]
	v_mov_b32_e32 v1, s44
	s_mov_b32 s44, 2
	s_andn2_b64 exec, exec, s[90:91]
	s_cbranch_execz .LBB4_6053
.LBB4_2501:                             ;   Parent Loop BB4_47 Depth=1
                                        ;     Parent Loop BB4_2498 Depth=2
                                        ; =>    This Loop Header: Depth=3
                                        ;         Child Loop BB4_2509 Depth 4
                                        ;         Child Loop BB4_2537 Depth 4
                                        ;         Child Loop BB4_2556 Depth 4
                                        ;         Child Loop BB4_2583 Depth 4
                                        ;         Child Loop BB4_4196 Depth 4
                                        ;         Child Loop BB4_5010 Depth 4
                                        ;         Child Loop BB4_5948 Depth 4
                                        ;         Child Loop BB4_6019 Depth 4
                                        ;         Child Loop BB4_6038 Depth 4
	s_and_saveexec_b64 s[28:29], s[4:5]
	s_cbranch_execz .LBB4_2503
; %bb.2502:                             ;   in Loop: Header=BB4_2501 Depth=3
	s_trap 2
	buffer_load_dword v4, off, s[0:3], s33 offset:196 ; 4-byte Folded Reload
	ds_read_b64 v[1:2], v0
	s_waitcnt vmcnt(0) lgkmcnt(0)
	v_add_co_u32_e32 v1, vcc, v1, v4
	buffer_load_dword v4, off, s[0:3], s33 offset:200 ; 4-byte Folded Reload
	buffer_load_dword v6, off, s[0:3], s33 offset:204 ; 4-byte Folded Reload
	;; [unrolled: 1-line block ×3, first 2 shown]
	s_waitcnt vmcnt(2)
	v_addc_co_u32_e32 v2, vcc, v2, v4, vcc
	s_waitcnt vmcnt(1)
	v_add_co_u32_e32 v1, vcc, v1, v6
	s_waitcnt vmcnt(0)
	v_addc_co_u32_e32 v2, vcc, v2, v7, vcc
	v_ashrrev_i32_e32 v4, 31, v0
	v_add_co_u32_e32 v1, vcc, v1, v0
	v_addc_co_u32_e32 v2, vcc, v2, v4, vcc
	ds_write_b64 v0, v[1:2]
	v_mov_b32_e32 v1, v3
	v_mov_b32_e32 v2, v3
	ds_write_b64 v0, v[1:2]
.LBB4_2503:                             ;   in Loop: Header=BB4_2501 Depth=3
	s_or_b64 exec, exec, s[28:29]
	buffer_load_dword v1, off, s[0:3], s33 offset:96 ; 4-byte Folded Reload
	s_waitcnt vmcnt(0)
	v_sub_u32_e32 v1, v1, v0
	v_min_i32_e32 v52, v52, v1
	v_and_b32_e32 v1, 12, v19
	v_cmp_ne_u32_e32 vcc, 0, v1
	s_and_saveexec_b64 s[40:41], vcc
	s_cbranch_execz .LBB4_2529
; %bb.2504:                             ;   in Loop: Header=BB4_2501 Depth=3
	buffer_load_dword v6, off, s[0:3], s33 offset:56 ; 4-byte Folded Reload
	buffer_load_dword v7, off, s[0:3], s33 offset:60 ; 4-byte Folded Reload
	;; [unrolled: 1-line block ×4, first 2 shown]
	v_and_b32_e32 v1, 8, v19
	s_waitcnt vmcnt(0)
	v_add_co_u32_e32 v6, vcc, v6, v1
	v_addc_co_u32_e32 v7, vcc, 0, v7, vcc
	v_add_co_u32_e32 v8, vcc, 2, v8
	v_addc_co_u32_e32 v9, vcc, 0, v9, vcc
	v_cmp_lt_u64_e32 vcc, v[6:7], v[8:9]
	s_and_saveexec_b64 s[94:95], vcc
	s_cbranch_execz .LBB4_2516
; %bb.2505:                             ;   in Loop: Header=BB4_2501 Depth=3
	v_and_b32_e32 v2, 64, v19
	s_mov_b32 s45, 0
	v_cmp_eq_u32_e32 vcc, 0, v2
	s_mov_b64 s[30:31], 0
                                        ; implicit-def: $sgpr34_sgpr35
                                        ; implicit-def: $sgpr36_sgpr37
                                        ; implicit-def: $sgpr38_sgpr39
	s_branch .LBB4_2509
.LBB4_2506:                             ;   in Loop: Header=BB4_2509 Depth=4
	buffer_load_dword v6, off, s[0:3], s33 offset:56 ; 4-byte Folded Reload
	buffer_load_dword v7, off, s[0:3], s33 offset:60 ; 4-byte Folded Reload
	s_or_b64 s[52:53], s[52:53], exec
	s_waitcnt vmcnt(1)
	v_add_co_u32_e64 v6, s[28:29], v6, v1
	s_waitcnt vmcnt(0)
	v_addc_co_u32_e64 v7, s[28:29], 0, v7, s[28:29]
	v_cmp_ge_u64_e64 s[28:29], v[6:7], v[8:9]
	s_orn2_b64 s[50:51], s[28:29], exec
.LBB4_2507:                             ;   in Loop: Header=BB4_2509 Depth=4
	s_or_b64 exec, exec, s[64:65]
	s_andn2_b64 s[28:29], s[38:39], exec
	s_and_b64 s[38:39], s[52:53], exec
	s_or_b64 s[38:39], s[28:29], s[38:39]
	s_andn2_b64 s[28:29], s[36:37], exec
	s_and_b64 s[36:37], s[50:51], exec
	s_or_b64 s[36:37], s[28:29], s[36:37]
.LBB4_2508:                             ;   in Loop: Header=BB4_2509 Depth=4
	s_or_b64 exec, exec, s[48:49]
	s_and_b64 s[28:29], exec, s[36:37]
	s_or_b64 s[30:31], s[28:29], s[30:31]
	s_andn2_b64 s[28:29], s[34:35], exec
	s_and_b64 s[34:35], s[38:39], exec
	s_or_b64 s[34:35], s[28:29], s[34:35]
	s_andn2_b64 exec, exec, s[30:31]
	s_cbranch_execz .LBB4_2513
.LBB4_2509:                             ;   Parent Loop BB4_47 Depth=1
                                        ;     Parent Loop BB4_2498 Depth=2
                                        ;       Parent Loop BB4_2501 Depth=3
                                        ; =>      This Inner Loop Header: Depth=4
	s_sleep 1
	buffer_load_dword v6, off, s[0:3], s33 offset:64 ; 4-byte Folded Reload
	buffer_load_dword v7, off, s[0:3], s33 offset:68 ; 4-byte Folded Reload
	s_or_b64 s[38:39], s[38:39], exec
	s_or_b64 s[36:37], s[36:37], exec
                                        ; implicit-def: $vgpr2
	s_waitcnt vmcnt(0)
	flat_load_dwordx2 v[6:7], v[6:7] glc
	s_waitcnt vmcnt(0) lgkmcnt(0)
	buffer_store_dword v6, off, s[0:3], s33 offset:56 ; 4-byte Folded Spill
	s_nop 0
	buffer_store_dword v7, off, s[0:3], s33 offset:60 ; 4-byte Folded Spill
	s_and_saveexec_b64 s[48:49], vcc
	s_cbranch_execz .LBB4_2508
; %bb.2510:                             ;   in Loop: Header=BB4_2509 Depth=4
	s_cmpk_lt_i32 s45, 0x270f
	s_cselect_b64 s[54:55], -1, 0
	s_cmpk_gt_i32 s45, 0x270e
	s_mov_b64 s[50:51], -1
	s_cbranch_scc0 .LBB4_2512
; %bb.2511:                             ;   in Loop: Header=BB4_2509 Depth=4
	s_trap 2
	ds_read_b64 v[6:7], v0
	s_andn2_b64 s[54:55], s[54:55], exec
	s_mov_b32 s45, 0
	s_mov_b64 s[52:53], 0
	s_waitcnt vmcnt(0) lgkmcnt(0)
	flat_load_dword v2, v[6:7] glc
	s_waitcnt vmcnt(0) lgkmcnt(0)
	buffer_wbinvl1_vol
	v_cmp_eq_u32_e64 s[28:29], 0, v2
	s_and_b64 s[28:29], s[28:29], exec
	s_or_b64 s[54:55], s[54:55], s[28:29]
	s_and_saveexec_b64 s[64:65], s[54:55]
	s_cbranch_execz .LBB4_2507
	s_branch .LBB4_2506
.LBB4_2512:                             ;   in Loop: Header=BB4_2509 Depth=4
	s_add_i32 s45, s45, 1
	s_mov_b64 s[52:53], -1
                                        ; implicit-def: $vgpr2
	s_and_saveexec_b64 s[64:65], s[54:55]
	s_cbranch_execz .LBB4_2507
	s_branch .LBB4_2506
.LBB4_2513:                             ;   in Loop: Header=BB4_2501 Depth=3
	s_or_b64 exec, exec, s[30:31]
	s_xor_b64 s[28:29], s[34:35], -1
	s_and_saveexec_b64 vcc, s[28:29]
	s_xor_b64 s[28:29], exec, vcc
	s_cbranch_execz .LBB4_2515
; %bb.2514:                             ;   in Loop: Header=BB4_2501 Depth=3
	v_or_b32_e32 v19, 64, v19
	ds_write_b32 v0, v2
	s_trap 2
.LBB4_2515:                             ;   in Loop: Header=BB4_2501 Depth=3
	s_or_b64 exec, exec, s[28:29]
.LBB4_2516:                             ;   in Loop: Header=BB4_2501 Depth=3
	s_or_b64 exec, exec, s[94:95]
	v_and_b32_e32 v2, 0x108, v19
	v_cmp_ne_u32_e32 vcc, s81, v2
	;;#ASMSTART
	s_wakeup
	;;#ASMEND
                                        ; implicit-def: $vgpr10_vgpr11
	s_and_saveexec_b64 s[28:29], vcc
	s_xor_b64 s[28:29], exec, s[28:29]
	s_cbranch_execz .LBB4_2518
; %bb.2517:                             ;   in Loop: Header=BB4_2501 Depth=3
	buffer_load_dword v6, off, s[0:3], s33 offset:80 ; 4-byte Folded Reload
	buffer_load_dword v7, off, s[0:3], s33 offset:84 ; 4-byte Folded Reload
	v_mov_b32_e32 v11, v3
	s_waitcnt vmcnt(0)
	v_and_b32_e32 v10, 7, v6
                                        ; implicit-def: $vgpr6_vgpr7
                                        ; kill: killed $vgpr6_vgpr7
.LBB4_2518:                             ;   in Loop: Header=BB4_2501 Depth=3
	s_andn2_saveexec_b64 s[28:29], s[28:29]
	s_cbranch_execz .LBB4_2520
; %bb.2519:                             ;   in Loop: Header=BB4_2501 Depth=3
	buffer_load_dword v6, off, s[0:3], s33 offset:80 ; 4-byte Folded Reload
	buffer_load_dword v7, off, s[0:3], s33 offset:84 ; 4-byte Folded Reload
	;; [unrolled: 1-line block ×6, first 2 shown]
	v_ashrrev_i32_e32 v53, 31, v52
	s_waitcnt vmcnt(0)
	v_and_b32_e32 v10, 7, v6
	v_mad_u64_u32 v[6:7], s[94:95], v10, 24, v[11:12]
	v_mov_b32_e32 v11, v3
	flat_store_dwordx2 v[6:7], v[52:53] offset:8
.LBB4_2520:                             ;   in Loop: Header=BB4_2501 Depth=3
	s_or_b64 exec, exec, s[28:29]
	v_and_b32_e32 v2, 0x100, v19
	v_cmp_ne_u32_e32 vcc, 0, v2
	s_mov_b64 s[28:29], -1
                                        ; implicit-def: $vgpr12_vgpr13
	s_and_saveexec_b64 s[94:95], vcc
	s_cbranch_execz .LBB4_2524
; %bb.2521:                             ;   in Loop: Header=BB4_2501 Depth=3
	buffer_load_dword v12, off, s[0:3], s33 offset:120 ; 4-byte Folded Reload
	buffer_load_dword v13, off, s[0:3], s33 offset:124 ; 4-byte Folded Reload
	;; [unrolled: 1-line block ×4, first 2 shown]
	s_waitcnt vmcnt(0)
	v_mad_u64_u32 v[14:15], s[28:29], v10, 24, v[12:13]
                                        ; implicit-def: $vgpr12_vgpr13
	v_mov_b32_e32 v2, v15
	v_mad_u64_u32 v[6:7], s[28:29], v11, 24, v[2:3]
	v_mov_b32_e32 v15, v6
	flat_load_dword v2, v[14:15]
	s_waitcnt vmcnt(0) lgkmcnt(0)
	v_cmp_ne_u32_e32 vcc, 1, v2
	v_cmp_eq_u32_e64 s[28:29], 1, v2
	s_and_saveexec_b64 s[30:31], s[28:29]
	s_cbranch_execz .LBB4_2523
; %bb.2522:                             ;   in Loop: Header=BB4_2501 Depth=3
	flat_load_dword v12, v[14:15] offset:4 glc
	s_waitcnt vmcnt(0) lgkmcnt(0)
	v_ashrrev_i32_e32 v13, 31, v12
.LBB4_2523:                             ;   in Loop: Header=BB4_2501 Depth=3
	s_or_b64 exec, exec, s[30:31]
	s_orn2_b64 s[28:29], vcc, exec
.LBB4_2524:                             ;   in Loop: Header=BB4_2501 Depth=3
	s_or_b64 exec, exec, s[94:95]
	s_and_saveexec_b64 s[94:95], s[28:29]
	s_cbranch_execz .LBB4_2526
; %bb.2525:                             ;   in Loop: Header=BB4_2501 Depth=3
	buffer_load_dword v6, off, s[0:3], s33 offset:152 ; 4-byte Folded Reload
	buffer_load_dword v4, off, s[0:3], s33 offset:172 ; 4-byte Folded Reload
	s_waitcnt vmcnt(0)
	v_mul_lo_u32 v2, v11, v6
	v_mul_lo_u32 v4, v10, v4
	v_mad_u64_u32 v[12:13], s[28:29], v10, v6, 0
	v_add3_u32 v13, v13, v4, v2
.LBB4_2526:                             ;   in Loop: Header=BB4_2501 Depth=3
	s_or_b64 exec, exec, s[94:95]
	v_cmp_eq_u32_e32 vcc, 0, v1
	v_mov_b32_e32 v1, 0xc8
	v_mov_b32_e32 v2, 0x90
	v_cndmask_b32_e32 v4, v1, v2, vcc
	buffer_load_dword v1, off, s[0:3], s33 offset:112 ; 4-byte Folded Reload
	buffer_load_dword v2, off, s[0:3], s33 offset:116 ; 4-byte Folded Reload
	v_add_u32_e32 v4, v0, v4
	s_waitcnt vmcnt(0)
	v_add_co_u32_e32 v1, vcc, v1, v12
	v_addc_co_u32_e32 v2, vcc, v2, v13, vcc
	ds_write_b64 v4, v[1:2] offset:584
	v_and_b32_e32 v1, 0x2000, v19
	v_cmp_ne_u32_e32 vcc, 0, v1
	s_and_saveexec_b64 s[28:29], vcc
	s_cbranch_execz .LBB4_2528
; %bb.2527:                             ;   in Loop: Header=BB4_2501 Depth=3
	ds_read_b64 v[1:2], v0 offset:872
	s_waitcnt lgkmcnt(0)
	v_add_co_u32_e32 v1, vcc, 1, v1
	v_addc_co_u32_e32 v2, vcc, 0, v2, vcc
	ds_write_b64 v0, v[1:2] offset:872
.LBB4_2528:                             ;   in Loop: Header=BB4_2501 Depth=3
	s_or_b64 exec, exec, s[28:29]
	buffer_store_dword v8, off, s[0:3], s33 offset:80 ; 4-byte Folded Spill
	s_nop 0
	buffer_store_dword v9, off, s[0:3], s33 offset:84 ; 4-byte Folded Spill
.LBB4_2529:                             ;   in Loop: Header=BB4_2501 Depth=3
	s_or_b64 exec, exec, s[40:41]
	s_and_saveexec_b64 s[28:29], s[10:11]
	s_cbranch_execz .LBB4_2548
; %bb.2530:                             ;   in Loop: Header=BB4_2501 Depth=3
	s_and_saveexec_b64 s[40:41], s[58:59]
	s_xor_b64 s[40:41], exec, s[40:41]
	s_cbranch_execz .LBB4_2545
; %bb.2531:                             ;   in Loop: Header=BB4_2501 Depth=3
	s_and_saveexec_b64 s[94:95], s[16:17]
	s_cbranch_execz .LBB4_2544
; %bb.2532:                             ;   in Loop: Header=BB4_2501 Depth=3
	s_mov_b64 s[34:35], exec
	v_mbcnt_lo_u32_b32 v1, s34, 0
	v_mbcnt_hi_u32_b32 v1, s35, v1
	v_cmp_eq_u32_e32 vcc, 0, v1
	s_waitcnt vmcnt(0) lgkmcnt(0)
	buffer_wbinvl1_vol
	s_and_saveexec_b64 s[30:31], vcc
	s_cbranch_execz .LBB4_2534
; %bb.2533:                             ;   in Loop: Header=BB4_2501 Depth=3
	s_bcnt1_i32_b64 s45, s[34:35]
	v_mov_b32_e32 v1, s45
	v_mov_b32_e32 v2, v3
	ds_add_u64 v0, v[1:2]
	s_trap 2
.LBB4_2534:                             ;   in Loop: Header=BB4_2501 Depth=3
	s_or_b64 exec, exec, s[30:31]
	s_trap 2
	ds_read_b64 v[1:2], v0
	s_waitcnt lgkmcnt(0)
	buffer_load_dword v6, off, s[0:3], s33 offset:72 ; 4-byte Folded Reload
	buffer_load_dword v7, off, s[0:3], s33 offset:76 ; 4-byte Folded Reload
	;; [unrolled: 1-line block ×3, first 2 shown]
	s_waitcnt vmcnt(0)
	v_add_co_u32_e32 v6, vcc, v6, v4
	v_addc_co_u32_e32 v7, vcc, 0, v7, vcc
	buffer_store_dword v6, off, s[0:3], s33 offset:72 ; 4-byte Folded Spill
	s_nop 0
	buffer_store_dword v7, off, s[0:3], s33 offset:76 ; 4-byte Folded Spill
	v_cmp_lt_u64_e32 vcc, v[1:2], v[6:7]
	s_and_saveexec_b64 s[30:31], vcc
	s_cbranch_execz .LBB4_2543
; %bb.2535:                             ;   in Loop: Header=BB4_2501 Depth=3
	s_mov_b32 s45, 0
	s_mov_b64 s[34:35], 0
                                        ; implicit-def: $sgpr36_sgpr37
                                        ; implicit-def: $sgpr38_sgpr39
	s_branch .LBB4_2537
.LBB4_2536:                             ;   in Loop: Header=BB4_2537 Depth=4
	s_or_b64 exec, exec, s[50:51]
	s_and_b64 vcc, exec, vcc
	s_or_b64 s[34:35], vcc, s[34:35]
	s_andn2_b64 vcc, s[36:37], exec
	s_and_b64 s[36:37], s[38:39], exec
	s_or_b64 s[36:37], vcc, s[36:37]
	s_andn2_b64 exec, exec, s[34:35]
	s_cbranch_execz .LBB4_2541
.LBB4_2537:                             ;   Parent Loop BB4_47 Depth=1
                                        ;     Parent Loop BB4_2498 Depth=2
                                        ;       Parent Loop BB4_2501 Depth=3
                                        ; =>      This Inner Loop Header: Depth=4
	s_add_i32 s45, s45, 1
	s_cmpk_lg_i32 s45, 0x2710
	s_cselect_b64 s[48:49], -1, 0
	s_and_b64 vcc, exec, s[48:49]
	s_cbranch_vccz .LBB4_2539
; %bb.2538:                             ;   in Loop: Header=BB4_2537 Depth=4
	s_mov_b64 vcc, -1
	s_or_b64 s[38:39], s[38:39], exec
	s_and_saveexec_b64 s[50:51], s[48:49]
	s_cbranch_execz .LBB4_2536
	s_branch .LBB4_2540
.LBB4_2539:                             ;   in Loop: Header=BB4_2537 Depth=4
	s_trap 2
	ds_read_b64 v[1:2], v0
	s_andn2_b64 s[48:49], s[48:49], exec
	s_mov_b32 s45, 0
	s_waitcnt vmcnt(0) lgkmcnt(0)
	flat_load_dword v1, v[1:2] glc
	s_waitcnt vmcnt(0) lgkmcnt(0)
	buffer_wbinvl1_vol
	v_cmp_eq_u32_e32 vcc, 0, v1
	s_and_b64 vcc, vcc, exec
	s_or_b64 s[48:49], s[48:49], vcc
	s_mov_b64 vcc, -1
	s_or_b64 s[38:39], s[38:39], exec
	s_and_saveexec_b64 s[50:51], s[48:49]
	s_cbranch_execz .LBB4_2536
.LBB4_2540:                             ;   in Loop: Header=BB4_2537 Depth=4
	s_sleep 1
	s_trap 2
	ds_read_b64 v[1:2], v0
	s_waitcnt lgkmcnt(0)
	buffer_load_dword v6, off, s[0:3], s33 offset:72 ; 4-byte Folded Reload
	buffer_load_dword v7, off, s[0:3], s33 offset:76 ; 4-byte Folded Reload
	s_andn2_b64 s[38:39], s[38:39], exec
	s_waitcnt vmcnt(0)
	v_cmp_ge_u64_e32 vcc, v[1:2], v[6:7]
	s_orn2_b64 vcc, vcc, exec
	s_branch .LBB4_2536
.LBB4_2541:                             ;   in Loop: Header=BB4_2501 Depth=3
	s_or_b64 exec, exec, s[34:35]
	s_and_saveexec_b64 vcc, s[36:37]
	s_xor_b64 vcc, exec, vcc
	s_cbranch_execz .LBB4_2543
; %bb.2542:                             ;   in Loop: Header=BB4_2501 Depth=3
	v_mov_b32_e32 v1, 1
	ds_write_b32 v0, v1
	s_trap 2
.LBB4_2543:                             ;   in Loop: Header=BB4_2501 Depth=3
	s_or_b64 exec, exec, s[30:31]
	;;#ASMSTART
	s_wakeup
	;;#ASMEND
.LBB4_2544:                             ;   in Loop: Header=BB4_2501 Depth=3
	s_or_b64 exec, exec, s[94:95]
.LBB4_2545:                             ;   in Loop: Header=BB4_2501 Depth=3
	s_andn2_saveexec_b64 s[40:41], s[40:41]
	s_cbranch_execz .LBB4_2547
; %bb.2546:                             ;   in Loop: Header=BB4_2501 Depth=3
	s_waitcnt vmcnt(0) lgkmcnt(0)
	buffer_wbinvl1_vol
	s_barrier
.LBB4_2547:                             ;   in Loop: Header=BB4_2501 Depth=3
	s_or_b64 exec, exec, s[40:41]
.LBB4_2548:                             ;   in Loop: Header=BB4_2501 Depth=3
	s_or_b64 exec, exec, s[28:29]
	s_trap 2
	ds_read_b32 v1, v0
	v_and_b32_e32 v2, 0x4000, v19
	v_cmp_ne_u32_e32 vcc, 0, v2
	s_xor_b64 s[28:29], s[6:7], -1
	s_and_b64 s[40:41], s[28:29], vcc
	s_and_saveexec_b64 s[28:29], s[40:41]
	s_cbranch_execz .LBB4_2567
; %bb.2549:                             ;   in Loop: Header=BB4_2501 Depth=3
	s_and_saveexec_b64 s[40:41], s[58:59]
	s_xor_b64 s[40:41], exec, s[40:41]
	s_cbranch_execz .LBB4_2564
; %bb.2550:                             ;   in Loop: Header=BB4_2501 Depth=3
	s_and_saveexec_b64 s[94:95], s[16:17]
	s_cbranch_execz .LBB4_2563
; %bb.2551:                             ;   in Loop: Header=BB4_2501 Depth=3
	s_mov_b64 s[34:35], exec
	v_mbcnt_lo_u32_b32 v2, s34, 0
	v_mbcnt_hi_u32_b32 v2, s35, v2
	v_cmp_eq_u32_e32 vcc, 0, v2
	s_waitcnt vmcnt(0) lgkmcnt(0)
	buffer_wbinvl1_vol
	s_and_saveexec_b64 s[30:31], vcc
	s_cbranch_execz .LBB4_2553
; %bb.2552:                             ;   in Loop: Header=BB4_2501 Depth=3
	s_bcnt1_i32_b64 s45, s[34:35]
	v_mov_b32_e32 v6, s45
	v_mov_b32_e32 v7, v3
	ds_add_u64 v0, v[6:7]
	s_trap 2
.LBB4_2553:                             ;   in Loop: Header=BB4_2501 Depth=3
	s_or_b64 exec, exec, s[30:31]
	s_trap 2
	ds_read_b64 v[6:7], v0
	s_waitcnt lgkmcnt(0)
	buffer_load_dword v8, off, s[0:3], s33 offset:72 ; 4-byte Folded Reload
	buffer_load_dword v9, off, s[0:3], s33 offset:76 ; 4-byte Folded Reload
	;; [unrolled: 1-line block ×3, first 2 shown]
	s_waitcnt vmcnt(0)
	v_add_co_u32_e32 v8, vcc, v8, v2
	v_addc_co_u32_e32 v9, vcc, 0, v9, vcc
	buffer_store_dword v8, off, s[0:3], s33 offset:72 ; 4-byte Folded Spill
	s_nop 0
	buffer_store_dword v9, off, s[0:3], s33 offset:76 ; 4-byte Folded Spill
	v_cmp_lt_u64_e32 vcc, v[6:7], v[8:9]
	s_and_saveexec_b64 s[30:31], vcc
	s_cbranch_execz .LBB4_2562
; %bb.2554:                             ;   in Loop: Header=BB4_2501 Depth=3
	s_mov_b32 s45, 0
	s_mov_b64 s[34:35], 0
                                        ; implicit-def: $sgpr36_sgpr37
                                        ; implicit-def: $sgpr38_sgpr39
	s_branch .LBB4_2556
.LBB4_2555:                             ;   in Loop: Header=BB4_2556 Depth=4
	s_or_b64 exec, exec, s[50:51]
	s_and_b64 vcc, exec, vcc
	s_or_b64 s[34:35], vcc, s[34:35]
	s_andn2_b64 vcc, s[36:37], exec
	s_and_b64 s[36:37], s[38:39], exec
	s_or_b64 s[36:37], vcc, s[36:37]
	s_andn2_b64 exec, exec, s[34:35]
	s_cbranch_execz .LBB4_2560
.LBB4_2556:                             ;   Parent Loop BB4_47 Depth=1
                                        ;     Parent Loop BB4_2498 Depth=2
                                        ;       Parent Loop BB4_2501 Depth=3
                                        ; =>      This Inner Loop Header: Depth=4
	s_add_i32 s45, s45, 1
	s_cmpk_lg_i32 s45, 0x2710
	s_cselect_b64 s[48:49], -1, 0
	s_and_b64 vcc, exec, s[48:49]
	s_cbranch_vccz .LBB4_2558
; %bb.2557:                             ;   in Loop: Header=BB4_2556 Depth=4
	s_mov_b64 vcc, -1
	s_or_b64 s[38:39], s[38:39], exec
	s_and_saveexec_b64 s[50:51], s[48:49]
	s_cbranch_execz .LBB4_2555
	s_branch .LBB4_2559
.LBB4_2558:                             ;   in Loop: Header=BB4_2556 Depth=4
	s_trap 2
	ds_read_b64 v[6:7], v0
	s_andn2_b64 s[48:49], s[48:49], exec
	s_mov_b32 s45, 0
	s_waitcnt vmcnt(0) lgkmcnt(0)
	flat_load_dword v2, v[6:7] glc
	s_waitcnt vmcnt(0) lgkmcnt(0)
	buffer_wbinvl1_vol
	v_cmp_eq_u32_e32 vcc, 0, v2
	s_and_b64 vcc, vcc, exec
	s_or_b64 s[48:49], s[48:49], vcc
	s_mov_b64 vcc, -1
	s_or_b64 s[38:39], s[38:39], exec
	s_and_saveexec_b64 s[50:51], s[48:49]
	s_cbranch_execz .LBB4_2555
.LBB4_2559:                             ;   in Loop: Header=BB4_2556 Depth=4
	s_sleep 1
	s_trap 2
	ds_read_b64 v[6:7], v0
	s_waitcnt lgkmcnt(0)
	buffer_load_dword v8, off, s[0:3], s33 offset:72 ; 4-byte Folded Reload
	buffer_load_dword v9, off, s[0:3], s33 offset:76 ; 4-byte Folded Reload
	s_andn2_b64 s[38:39], s[38:39], exec
	s_waitcnt vmcnt(0)
	v_cmp_ge_u64_e32 vcc, v[6:7], v[8:9]
	s_orn2_b64 vcc, vcc, exec
	s_branch .LBB4_2555
.LBB4_2560:                             ;   in Loop: Header=BB4_2501 Depth=3
	s_or_b64 exec, exec, s[34:35]
	s_and_saveexec_b64 vcc, s[36:37]
	s_xor_b64 vcc, exec, vcc
	s_cbranch_execz .LBB4_2562
; %bb.2561:                             ;   in Loop: Header=BB4_2501 Depth=3
	v_mov_b32_e32 v2, 1
	ds_write_b32 v0, v2
	s_trap 2
.LBB4_2562:                             ;   in Loop: Header=BB4_2501 Depth=3
	s_or_b64 exec, exec, s[30:31]
	;;#ASMSTART
	s_wakeup
	;;#ASMEND
.LBB4_2563:                             ;   in Loop: Header=BB4_2501 Depth=3
	s_or_b64 exec, exec, s[94:95]
.LBB4_2564:                             ;   in Loop: Header=BB4_2501 Depth=3
	s_andn2_saveexec_b64 s[40:41], s[40:41]
	s_cbranch_execz .LBB4_2566
; %bb.2565:                             ;   in Loop: Header=BB4_2501 Depth=3
	s_waitcnt vmcnt(0) lgkmcnt(0)
	buffer_wbinvl1_vol
	s_barrier
.LBB4_2566:                             ;   in Loop: Header=BB4_2501 Depth=3
	s_or_b64 exec, exec, s[40:41]
.LBB4_2567:                             ;   in Loop: Header=BB4_2501 Depth=3
	s_or_b64 exec, exec, s[28:29]
	s_trap 2
	ds_read_b64 v[13:14], v0
	s_waitcnt lgkmcnt(0)
	v_cmp_eq_u64_e32 vcc, 0, v[13:14]
	s_cbranch_vccnz .LBB4_2575
; %bb.2568:                             ;   in Loop: Header=BB4_2501 Depth=3
	s_trap 2
	ds_read_b64 v[21:22], v0
	s_waitcnt lgkmcnt(0)
	v_cmp_eq_u64_e32 vcc, 0, v[21:22]
	s_cbranch_vccnz .LBB4_2575
; %bb.2569:                             ;   in Loop: Header=BB4_2501 Depth=3
	s_mov_b64 s[40:41], -1
	s_and_saveexec_b64 s[28:29], s[22:23]
	s_cbranch_execz .LBB4_2571
; %bb.2570:                             ;   in Loop: Header=BB4_2501 Depth=3
	ds_read_b32 v2, v0 offset:720
	s_waitcnt lgkmcnt(0)
	v_and_b32_e32 v2, 15, v2
	v_cmp_eq_u32_e32 vcc, 0, v2
	s_orn2_b64 s[40:41], vcc, exec
.LBB4_2571:                             ;   in Loop: Header=BB4_2501 Depth=3
	s_or_b64 exec, exec, s[28:29]
	s_and_saveexec_b64 s[28:29], s[20:21]
	s_cbranch_execz .LBB4_2573
; %bb.2572:                             ;   in Loop: Header=BB4_2501 Depth=3
	ds_read_b32 v2, v0 offset:784
	s_waitcnt lgkmcnt(0)
	v_and_b32_e32 v2, 15, v2
	v_cmp_eq_u32_e32 vcc, 0, v2
	s_and_b64 s[94:95], s[40:41], vcc
	s_andn2_b64 s[40:41], s[40:41], exec
	s_and_b64 s[94:95], s[94:95], exec
	s_or_b64 s[40:41], s[40:41], s[94:95]
.LBB4_2573:                             ;   in Loop: Header=BB4_2501 Depth=3
	s_or_b64 exec, exec, s[28:29]
	buffer_load_dword v7, off, s[0:3], s33 offset:176 ; 4-byte Folded Reload
	s_xor_b64 s[40:41], s[40:41], -1
	v_cmp_eq_u32_e32 vcc, 0, v1
	v_cndmask_b32_e64 v1, 0, 1, s[40:41]
	v_cndmask_b32_e32 v6, 0, v52, vcc
	s_mov_b64 s[28:29], -1
	v_cmp_ne_u32_e32 vcc, 0, v1
	v_mov_b32_e32 v1, 0
	buffer_store_dword v6, off, s[0:3], s33 offset:148 ; 4-byte Folded Spill
	s_cbranch_vccz .LBB4_2580
; %bb.2574:                             ;   in Loop: Header=BB4_2501 Depth=3
	s_and_saveexec_b64 s[40:41], s[28:29]
	s_cbranch_execnz .LBB4_5007
	s_branch .LBB4_6011
.LBB4_2575:                             ;   in Loop: Header=BB4_2501 Depth=3
	s_mov_b64 s[28:29], 0
	s_and_saveexec_b64 s[40:41], s[10:11]
	s_cbranch_execnz .LBB4_6012
.LBB4_2576:                             ;   in Loop: Header=BB4_2501 Depth=3
	s_or_b64 exec, exec, s[40:41]
                                        ; implicit-def: $vgpr1
	s_and_saveexec_b64 s[40:41], s[24:25]
	s_xor_b64 s[40:41], exec, s[40:41]
	s_cbranch_execz .LBB4_6030
.LBB4_2577:                             ;   in Loop: Header=BB4_2501 Depth=3
	v_and_b32_e32 v2, 16, v19
	v_cmp_ne_u32_e32 vcc, 0, v2
	v_and_b32_e32 v1, 16, v19
	s_and_b64 s[94:95], vcc, s[28:29]
	s_and_saveexec_b64 s[28:29], s[94:95]
	s_cbranch_execz .LBB4_2579
; %bb.2578:                             ;   in Loop: Header=BB4_2501 Depth=3
	v_mov_b32_e32 v1, 1
	s_waitcnt vmcnt(0) lgkmcnt(0)
	buffer_wbinvl1_vol
.LBB4_2579:                             ;   in Loop: Header=BB4_2501 Depth=3
	s_or_b64 exec, exec, s[28:29]
	s_andn2_saveexec_b64 s[28:29], s[40:41]
	s_cbranch_execz .LBB4_6049
	s_branch .LBB4_6031
.LBB4_2580:                             ;   in Loop: Header=BB4_2501 Depth=3
	buffer_load_dword v2, off, s[0:3], s33 offset:148 ; 4-byte Folded Reload
	s_waitcnt vmcnt(0)
	v_ashrrev_i32_e32 v1, 31, v2
	v_lshrrev_b32_e32 v1, 21, v1
	v_add_u32_e32 v1, v2, v1
	v_ashrrev_i32_e32 v2, 11, v1
	buffer_load_dword v1, off, s[0:3], s33 offset:212 ; 4-byte Folded Reload
	s_waitcnt vmcnt(0)
	v_sub_u32_e32 v51, v2, v1
	v_cmp_lt_i32_e32 vcc, 0, v51
	s_and_saveexec_b64 s[40:41], vcc
	s_cbranch_execz .LBB4_4192
; %bb.2581:                             ;   in Loop: Header=BB4_2501 Depth=3
	buffer_store_dword v2, off, s[0:3], s33 offset:236 ; 4-byte Folded Spill
	s_trap 2
	buffer_load_dword v4, off, s[0:3], s33 offset:356 ; 4-byte Folded Reload
	ds_read_b64 v[1:2], v0
	s_waitcnt lgkmcnt(0)
	v_readfirstlane_b32 s28, v1
	s_and_b32 s29, s28, 7
	s_flbit_i32_b32 s29, s29
	s_min_u32 s29, s29, 32
	s_and_b32 s45, s28, 0x7f
	s_bfe_u32 s94, s28, 0x40003
	s_sub_i32 s95, s29, 28
	s_sub_i32 s29, 29, s29
	s_cmp_lt_u32 s45, 8
	s_cselect_b32 s95, s95, 0
	s_cselect_b32 s29, s29, s94
	s_lshl_b32 s94, s28, 24
	s_lshl_b32 s29, s29, 23
	s_and_b32 s94, s94, 0x80000000
	s_add_i32 s29, s29, 0x3c000000
	s_or_b32 s29, s94, s29
	s_cmpk_lg_i32 s45, 0x7f
	s_waitcnt vmcnt(0)
	v_add_co_u32_e32 v44, vcc, v13, v4
	buffer_store_dword v13, off, s[0:3], s33 offset:228 ; 4-byte Folded Spill
	s_nop 0
	buffer_store_dword v14, off, s[0:3], s33 offset:232 ; 4-byte Folded Spill
	v_addc_co_u32_e32 v45, vcc, 0, v14, vcc
	v_add_co_u32_e32 v46, vcc, v1, v4
	v_addc_co_u32_e32 v47, vcc, 0, v2, vcc
	v_add_co_u32_e32 v56, vcc, v21, v4
	buffer_store_dword v21, off, s[0:3], s33 offset:220 ; 4-byte Folded Spill
	s_nop 0
	buffer_store_dword v22, off, s[0:3], s33 offset:224 ; 4-byte Folded Spill
	v_lshlrev_b64 v[1:2], s95, v[1:2]
	v_mov_b32_e32 v2, 0x7f800001
	v_lshlrev_b32_e32 v1, 20, v1
	v_and_b32_e32 v1, 0x700000, v1
	v_or_b32_e32 v1, s29, v1
	s_mov_b64 s[94:95], 0
	v_addc_co_u32_e32 v57, vcc, 0, v22, vcc
	s_cselect_b64 vcc, -1, 0
	v_cndmask_b32_e32 v1, v2, v1, vcc
	s_and_b32 s45, s28, 0xff
	buffer_store_dword v1, off, s[0:3], s33 offset:144 ; 4-byte Folded Spill
	s_branch .LBB4_2583
.LBB4_2582:                             ;   in Loop: Header=BB4_2583 Depth=4
	s_or_b64 exec, exec, s[28:29]
	v_lshl_or_b32 v8, v61, 8, v53
	v_lshlrev_b32_e32 v9, 16, v60
	v_lshlrev_b32_e32 v10, 24, v30
	v_or3_b32 v8, v8, v9, v10
	v_lshl_or_b32 v1, v7, 8, v1
	v_lshlrev_b32_e32 v7, 16, v26
	v_lshlrev_b32_e32 v9, 24, v34
	v_or3_b32 v7, v1, v7, v9
	;; [unrolled: 4-line block ×3, first 2 shown]
	v_lshlrev_b32_e32 v1, 24, v15
	v_lshlrev_b32_e32 v10, 16, v49
	v_lshl_or_b32 v11, v48, 8, v37
	v_or3_b32 v10, v11, v10, v1
	v_lshl_or_b32 v1, v38, 8, v20
	v_lshlrev_b32_e32 v11, 16, v14
	v_lshlrev_b32_e32 v13, 24, v39
	v_or3_b32 v14, v1, v11, v13
	v_lshl_or_b32 v1, v35, 8, v17
	v_lshlrev_b32_e32 v11, 16, v54
	v_lshlrev_b32_e32 v13, 24, v55
	;; [unrolled: 4-line block ×3, first 2 shown]
	v_or3_b32 v15, v1, v4, v11
	v_lshlrev_b32_e32 v1, 24, v2
	v_lshlrev_b32_e32 v2, 16, v12
	v_lshl_or_b32 v4, v18, 8, v6
	v_or3_b32 v16, v4, v2, v1
	global_store_dwordx4 v[56:57], v[7:10], off glc slc
	global_store_dwordx4 v[56:57], v[13:16], off offset:1024 glc slc
	buffer_load_dword v2, off, s[0:3], s33 offset:108 ; 4-byte Folded Reload
	buffer_load_dword v1, off, s[0:3], s33 offset:88 ; 4-byte Folded Reload
	s_waitcnt vmcnt(1)
	v_add_co_u32_e32 v44, vcc, v44, v2
	v_addc_co_u32_e32 v45, vcc, 0, v45, vcc
	v_add_co_u32_e32 v46, vcc, v46, v2
	v_addc_co_u32_e32 v47, vcc, 0, v47, vcc
	s_waitcnt vmcnt(0)
	v_sub_u32_e32 v51, v51, v1
	v_cmp_gt_i32_e32 vcc, 1, v51
	s_or_b64 s[94:95], vcc, s[94:95]
	v_add_co_u32_e32 v56, vcc, v56, v2
	v_addc_co_u32_e32 v57, vcc, 0, v57, vcc
	s_andn2_b64 exec, exec, s[94:95]
	s_cbranch_execz .LBB4_4191
.LBB4_2583:                             ;   Parent Loop BB4_47 Depth=1
                                        ;     Parent Loop BB4_2498 Depth=2
                                        ;       Parent Loop BB4_2501 Depth=3
                                        ; =>      This Inner Loop Header: Depth=4
	s_cmpk_lt_i32 s45, 0x80
	s_cbranch_scc1 .LBB4_2587
; %bb.2584:                             ;   in Loop: Header=BB4_2583 Depth=4
	s_and_b32 vcc_lo, 0xffff, s45
	s_mov_b64 s[28:29], -1
	s_cmpk_eq_i32 vcc_lo, 0x80
	s_cbranch_scc0 .LBB4_2586
; %bb.2585:                             ;   in Loop: Header=BB4_2583 Depth=4
	s_mov_b64 s[28:29], 0
.LBB4_2586:                             ;   in Loop: Header=BB4_2583 Depth=4
	s_brev_b32 s30, 1
	s_branch .LBB4_2589
.LBB4_2587:                             ;   in Loop: Header=BB4_2583 Depth=4
	s_mov_b64 s[28:29], 0
	s_brev_b32 s30, 1
	s_cbranch_execz .LBB4_2589
; %bb.2588:                             ;   in Loop: Header=BB4_2583 Depth=4
	s_and_b32 s28, 0xffff, s45
	s_cmp_lg_u32 s28, 0
	s_mov_b32 s30, 0
	s_cselect_b64 s[28:29], -1, 0
.LBB4_2589:                             ;   in Loop: Header=BB4_2583 Depth=4
	s_andn2_b64 vcc, exec, s[28:29]
	v_mov_b32_e32 v7, s30
	s_cbranch_vccnz .LBB4_2591
; %bb.2590:                             ;   in Loop: Header=BB4_2583 Depth=4
	buffer_load_dword v7, off, s[0:3], s33 offset:144 ; 4-byte Folded Reload
.LBB4_2591:                             ;   in Loop: Header=BB4_2583 Depth=4
	global_load_dwordx4 v[8:11], v[44:45], off glc slc
	v_mov_b32_e32 v1, 0
	s_waitcnt vmcnt(0)
	v_cmp_ne_u16_sdwa vcc, v8, v3 src0_sel:BYTE_0 src1_sel:DWORD
	s_and_saveexec_b64 s[28:29], vcc
	s_cbranch_execz .LBB4_2597
; %bb.2592:                             ;   in Loop: Header=BB4_2583 Depth=4
	v_cmp_ne_u16_sdwa vcc, v8, s70 src0_sel:BYTE_0 src1_sel:DWORD
	v_bfrev_b32_e32 v1, 1
	s_and_saveexec_b64 s[30:31], vcc
	s_cbranch_execz .LBB4_2596
; %bb.2593:                             ;   in Loop: Header=BB4_2583 Depth=4
	v_and_b32_e32 v2, 0x7f, v8
	v_cmp_ne_u32_e32 vcc, s68, v2
	v_mov_b32_e32 v1, 0x7f800001
	s_and_saveexec_b64 s[34:35], vcc
	s_cbranch_execz .LBB4_2595
; %bb.2594:                             ;   in Loop: Header=BB4_2583 Depth=4
	v_and_b32_e32 v1, 7, v8
	v_ffbh_u32_e32 v1, v1
	v_min_u32_e32 v1, 32, v1
	v_lshrrev_b32_e32 v4, 3, v2
	v_cmp_gt_u32_e32 vcc, 8, v2
	v_subrev_u32_e32 v2, 28, v1
	v_sub_u32_e32 v1, 29, v1
	v_cndmask_b32_e32 v4, v4, v1, vcc
	v_cndmask_b32_e32 v1, 0, v2, vcc
	v_lshlrev_b64 v[1:2], v1, v[8:9]
	v_lshlrev_b32_e32 v2, 24, v8
	v_lshlrev_b32_e32 v1, 20, v1
	v_and_b32_e32 v1, 0x700000, v1
	v_and_b32_e32 v2, 0x80000000, v2
	v_lshl_add_u32 v4, v4, 23, v5
	v_or3_b32 v1, v2, v4, v1
.LBB4_2595:                             ;   in Loop: Header=BB4_2583 Depth=4
	s_or_b64 exec, exec, s[34:35]
.LBB4_2596:                             ;   in Loop: Header=BB4_2583 Depth=4
	s_or_b64 exec, exec, s[30:31]
.LBB4_2597:                             ;   in Loop: Header=BB4_2583 Depth=4
	s_or_b64 exec, exec, s[28:29]
	v_mul_f32_e32 v6, v7, v1
	v_and_b32_e32 v2, 0x7f800000, v6
	v_cmp_ne_u64_e32 vcc, s[62:63], v[2:3]
                                        ; implicit-def: $vgpr1
	s_and_saveexec_b64 s[28:29], vcc
	s_xor_b64 s[30:31], exec, s[28:29]
	s_cbranch_execz .LBB4_2611
; %bb.2598:                             ;   in Loop: Header=BB4_2583 Depth=4
	v_and_b32_e32 v2, 0x7fffffff, v6
	v_cmp_gt_u64_e32 vcc, s[72:73], v[2:3]
	v_and_b32_sdwa v4, v6, s70 dst_sel:DWORD dst_unused:UNUSED_PAD src0_sel:BYTE_3 src1_sel:DWORD
                                        ; implicit-def: $vgpr1
	s_and_saveexec_b64 s[28:29], vcc
	s_xor_b64 s[34:35], exec, s[28:29]
	s_cbranch_execz .LBB4_2608
; %bb.2599:                             ;   in Loop: Header=BB4_2583 Depth=4
	v_mov_b32_e32 v1, 0
	v_cmp_ne_u32_e32 vcc, 0, v6
	s_and_saveexec_b64 s[36:37], vcc
	s_cbranch_execz .LBB4_2607
; %bb.2600:                             ;   in Loop: Header=BB4_2583 Depth=4
	v_bfe_u32 v1, v6, 23, 8
	v_and_b32_e32 v2, 0x7fffff, v6
	v_cmp_gt_u32_e64 s[28:29], s71, v1
	v_sub_u32_e32 v6, 0x79, v1
	v_cmp_eq_u32_e32 vcc, 0, v1
	v_cndmask_b32_e64 v6, 0, v6, s[28:29]
	v_mov_b32_e32 v13, 0x78
	v_or_b32_e32 v12, 0x800000, v2
	v_cndmask_b32_e32 v6, v6, v13, vcc
	v_cndmask_b32_e32 v2, v12, v2, vcc
	v_add_u32_e32 v12, 20, v6
	v_lshlrev_b64 v[12:13], v12, -1
	v_add_u32_e32 v14, 19, v6
	v_lshlrev_b64 v[14:15], v14, 1
	v_bfi_b32 v13, v13, 0, 0
	v_bfi_b32 v12, v12, 0, v2
	v_cmp_eq_u64_e64 s[28:29], v[12:13], v[14:15]
	v_lshrrev_b64 v[12:13], v6, v[2:3]
	v_mov_b32_e32 v14, v13
	v_mov_b32_e32 v13, v12
	s_and_saveexec_b64 s[38:39], s[28:29]
; %bb.2601:                             ;   in Loop: Header=BB4_2583 Depth=4
	v_bfe_u32 v2, v12, 20, 1
	v_add_co_u32_e64 v2, s[28:29], v12, v2
	v_add_co_u32_e64 v13, s[28:29], -1, v2
; %bb.2602:                             ;   in Loop: Header=BB4_2583 Depth=4
	s_or_b64 exec, exec, s[38:39]
	v_add_u32_e32 v1, 0xffffff81, v1
	v_mov_b32_e32 v2, 0xffffff82
	v_cndmask_b32_e32 v1, v1, v2, vcc
	v_lshrrev_b32_e32 v2, 23, v12
	v_add3_u32 v14, v6, v1, v2
	v_add_u32_e32 v6, 6, v14
	v_and_b32_e32 v1, 0xfffff, v13
	v_add_u32_e32 v2, v1, v12
	v_cmp_ne_u32_e32 vcc, 0, v6
                                        ; implicit-def: $vgpr12_vgpr13
                                        ; implicit-def: $vgpr1
	s_and_saveexec_b64 s[28:29], vcc
	s_xor_b64 s[28:29], exec, s[28:29]
; %bb.2603:                             ;   in Loop: Header=BB4_2583 Depth=4
	v_cmp_lt_u64_e32 vcc, s[74:75], v[2:3]
	v_add_u32_e32 v1, 7, v14
	v_cndmask_b32_e32 v1, v6, v1, vcc
	v_cndmask_b32_e64 v6, 0, 1, vcc
	v_lshrrev_b64 v[12:13], v6, v[2:3]
; %bb.2604:                             ;   in Loop: Header=BB4_2583 Depth=4
	s_andn2_saveexec_b64 s[28:29], s[28:29]
; %bb.2605:                             ;   in Loop: Header=BB4_2583 Depth=4
	v_mov_b32_e32 v13, v3
	v_bfe_u32 v1, v2, 23, 1
	v_mov_b32_e32 v12, v2
; %bb.2606:                             ;   in Loop: Header=BB4_2583 Depth=4
	s_or_b64 exec, exec, s[28:29]
	v_lshrrev_b64 v[12:13], 20, v[12:13]
	v_cmp_gt_i32_e32 vcc, 16, v1
	v_cndmask_b32_e32 v13, 0, v13, vcc
	v_cndmask_b32_e32 v12, 7, v12, vcc
	v_cmp_eq_u32_e32 vcc, 0, v1
	v_min_i32_e32 v1, 15, v1
	v_cmp_eq_u64_e64 s[28:29], 0, v[12:13]
	v_lshlrev_b32_e32 v1, 3, v1
	v_and_b32_e32 v1, 0xf8, v1
	v_and_or_b32 v1, v12, 7, v1
	s_and_b64 s[28:29], vcc, s[28:29]
	v_cndmask_b32_e64 v1, v1, 0, s[28:29]
	v_or_b32_e32 v1, v1, v4
.LBB4_2607:                             ;   in Loop: Header=BB4_2583 Depth=4
	s_or_b64 exec, exec, s[36:37]
                                        ; implicit-def: $vgpr4
.LBB4_2608:                             ;   in Loop: Header=BB4_2583 Depth=4
	s_andn2_saveexec_b64 s[28:29], s[34:35]
; %bb.2609:                             ;   in Loop: Header=BB4_2583 Depth=4
	v_or_b32_e32 v1, 0x7e, v4
; %bb.2610:                             ;   in Loop: Header=BB4_2583 Depth=4
	s_or_b64 exec, exec, s[28:29]
                                        ; implicit-def: $vgpr6
.LBB4_2611:                             ;   in Loop: Header=BB4_2583 Depth=4
	s_andn2_saveexec_b64 s[28:29], s[30:31]
; %bb.2612:                             ;   in Loop: Header=BB4_2583 Depth=4
	v_or_b32_sdwa v1, v6, s68 dst_sel:DWORD dst_unused:UNUSED_PAD src0_sel:BYTE_3 src1_sel:DWORD
; %bb.2613:                             ;   in Loop: Header=BB4_2583 Depth=4
	s_or_b64 exec, exec, s[28:29]
	v_lshrrev_b16_e32 v2, 8, v8
	v_cmp_ne_u16_e32 vcc, 0, v2
	v_mov_b32_e32 v4, 0
	s_and_saveexec_b64 s[28:29], vcc
	s_cbranch_execz .LBB4_2619
; %bb.2614:                             ;   in Loop: Header=BB4_2583 Depth=4
	v_cmp_ne_u16_e32 vcc, s70, v2
	v_bfrev_b32_e32 v4, 1
	s_and_saveexec_b64 s[30:31], vcc
	s_cbranch_execz .LBB4_2618
; %bb.2615:                             ;   in Loop: Header=BB4_2583 Depth=4
	v_and_b32_e32 v6, 0x7f, v2
	v_cmp_ne_u32_e32 vcc, s68, v6
	v_mov_b32_e32 v4, 0x7f800001
	s_and_saveexec_b64 s[34:35], vcc
	s_cbranch_execz .LBB4_2617
; %bb.2616:                             ;   in Loop: Header=BB4_2583 Depth=4
	v_and_b32_e32 v4, 7, v2
	v_lshrrev_b32_e32 v14, 3, v6
	v_cmp_gt_u32_e32 vcc, 8, v6
	v_ffbh_u32_e32 v6, v4
	v_min_u32_e32 v6, 32, v6
	v_subrev_u32_e32 v12, 28, v6
	v_lshlrev_b64 v[12:13], v12, v[2:3]
	v_sub_u32_e32 v2, 29, v6
	v_and_b32_e32 v6, 7, v12
	v_cndmask_b32_e32 v2, v14, v2, vcc
	v_cndmask_b32_e32 v4, v4, v6, vcc
	v_lshlrev_b32_e32 v6, 16, v8
	v_lshlrev_b32_e32 v4, 20, v4
	v_and_b32_e32 v6, 0x80000000, v6
	v_lshl_add_u32 v2, v2, 23, v5
	v_or3_b32 v4, v6, v2, v4
.LBB4_2617:                             ;   in Loop: Header=BB4_2583 Depth=4
	s_or_b64 exec, exec, s[34:35]
.LBB4_2618:                             ;   in Loop: Header=BB4_2583 Depth=4
	s_or_b64 exec, exec, s[30:31]
.LBB4_2619:                             ;   in Loop: Header=BB4_2583 Depth=4
	s_or_b64 exec, exec, s[28:29]
	v_mul_f32_e32 v6, v7, v4
	v_and_b32_e32 v2, 0x7f800000, v6
	v_cmp_ne_u64_e32 vcc, s[62:63], v[2:3]
                                        ; implicit-def: $vgpr26
	s_and_saveexec_b64 s[28:29], vcc
	s_xor_b64 s[30:31], exec, s[28:29]
	s_cbranch_execz .LBB4_2633
; %bb.2620:                             ;   in Loop: Header=BB4_2583 Depth=4
	v_and_b32_e32 v2, 0x7fffffff, v6
	v_cmp_gt_u64_e32 vcc, s[72:73], v[2:3]
	v_and_b32_sdwa v4, v6, s70 dst_sel:DWORD dst_unused:UNUSED_PAD src0_sel:BYTE_3 src1_sel:DWORD
                                        ; implicit-def: $vgpr26
	s_and_saveexec_b64 s[28:29], vcc
	s_xor_b64 s[34:35], exec, s[28:29]
	s_cbranch_execz .LBB4_2630
; %bb.2621:                             ;   in Loop: Header=BB4_2583 Depth=4
	v_mov_b32_e32 v26, 0
	v_cmp_ne_u32_e32 vcc, 0, v6
	s_and_saveexec_b64 s[36:37], vcc
	s_cbranch_execz .LBB4_2629
; %bb.2622:                             ;   in Loop: Header=BB4_2583 Depth=4
	v_and_b32_e32 v2, 0x7fffff, v6
	v_bfe_u32 v6, v6, 23, 8
	v_cmp_gt_u32_e64 s[28:29], s71, v6
	v_sub_u32_e32 v12, 0x79, v6
	v_cmp_eq_u32_e32 vcc, 0, v6
	v_cndmask_b32_e64 v12, 0, v12, s[28:29]
	v_mov_b32_e32 v14, 0x78
	v_cndmask_b32_e32 v15, v12, v14, vcc
	v_or_b32_e32 v13, 0x800000, v2
	v_add_u32_e32 v12, 20, v15
	v_cndmask_b32_e32 v2, v13, v2, vcc
	v_lshlrev_b64 v[12:13], v12, -1
	v_add_u32_e32 v14, 19, v15
	v_lshlrev_b64 v[16:17], v14, 1
	v_bfi_b32 v13, v13, 0, 0
	v_bfi_b32 v12, v12, 0, v2
	v_cmp_eq_u64_e64 s[28:29], v[12:13], v[16:17]
	v_lshrrev_b64 v[12:13], v15, v[2:3]
	v_mov_b32_e32 v14, v13
	v_mov_b32_e32 v13, v12
	s_and_saveexec_b64 s[38:39], s[28:29]
; %bb.2623:                             ;   in Loop: Header=BB4_2583 Depth=4
	v_bfe_u32 v2, v12, 20, 1
	v_add_co_u32_e64 v2, s[28:29], v12, v2
	v_add_co_u32_e64 v13, s[28:29], -1, v2
; %bb.2624:                             ;   in Loop: Header=BB4_2583 Depth=4
	s_or_b64 exec, exec, s[38:39]
	v_add_u32_e32 v2, 0xffffff81, v6
	v_mov_b32_e32 v6, 0xffffff82
	v_cndmask_b32_e32 v2, v2, v6, vcc
	v_lshrrev_b32_e32 v6, 23, v12
	v_add3_u32 v15, v15, v2, v6
	v_add_u32_e32 v14, 6, v15
	v_and_b32_e32 v2, 0xfffff, v13
	v_add_u32_e32 v2, v2, v12
	v_cmp_ne_u32_e32 vcc, 0, v14
                                        ; implicit-def: $vgpr12_vgpr13
                                        ; implicit-def: $vgpr6
	s_and_saveexec_b64 s[28:29], vcc
	s_xor_b64 s[28:29], exec, s[28:29]
; %bb.2625:                             ;   in Loop: Header=BB4_2583 Depth=4
	v_cmp_lt_u64_e32 vcc, s[74:75], v[2:3]
	v_add_u32_e32 v6, 7, v15
	v_cndmask_b32_e64 v12, 0, 1, vcc
	v_cndmask_b32_e32 v6, v14, v6, vcc
	v_lshrrev_b64 v[12:13], v12, v[2:3]
; %bb.2626:                             ;   in Loop: Header=BB4_2583 Depth=4
	s_andn2_saveexec_b64 s[28:29], s[28:29]
; %bb.2627:                             ;   in Loop: Header=BB4_2583 Depth=4
	v_mov_b32_e32 v13, v3
	v_bfe_u32 v6, v2, 23, 1
	v_mov_b32_e32 v12, v2
; %bb.2628:                             ;   in Loop: Header=BB4_2583 Depth=4
	s_or_b64 exec, exec, s[28:29]
	v_lshrrev_b64 v[12:13], 20, v[12:13]
	v_cmp_gt_i32_e32 vcc, 16, v6
	v_cndmask_b32_e32 v13, 0, v13, vcc
	v_cndmask_b32_e32 v12, 7, v12, vcc
	v_min_i32_e32 v2, 15, v6
	v_cmp_eq_u64_e64 s[28:29], 0, v[12:13]
	v_lshlrev_b32_e32 v2, 3, v2
	v_cmp_eq_u32_e32 vcc, 0, v6
	v_and_b32_e32 v2, 0xf8, v2
	v_and_or_b32 v2, v12, 7, v2
	s_and_b64 s[28:29], vcc, s[28:29]
	v_cndmask_b32_e64 v2, v2, 0, s[28:29]
	v_or_b32_e32 v26, v2, v4
.LBB4_2629:                             ;   in Loop: Header=BB4_2583 Depth=4
	s_or_b64 exec, exec, s[36:37]
                                        ; implicit-def: $vgpr4
.LBB4_2630:                             ;   in Loop: Header=BB4_2583 Depth=4
	s_andn2_saveexec_b64 s[28:29], s[34:35]
; %bb.2631:                             ;   in Loop: Header=BB4_2583 Depth=4
	v_or_b32_e32 v26, 0x7e, v4
; %bb.2632:                             ;   in Loop: Header=BB4_2583 Depth=4
	s_or_b64 exec, exec, s[28:29]
                                        ; implicit-def: $vgpr6
.LBB4_2633:                             ;   in Loop: Header=BB4_2583 Depth=4
	s_andn2_saveexec_b64 s[28:29], s[30:31]
; %bb.2634:                             ;   in Loop: Header=BB4_2583 Depth=4
	v_or_b32_sdwa v26, v6, s68 dst_sel:DWORD dst_unused:UNUSED_PAD src0_sel:BYTE_3 src1_sel:DWORD
; %bb.2635:                             ;   in Loop: Header=BB4_2583 Depth=4
	s_or_b64 exec, exec, s[28:29]
	v_lshrrev_b32_e32 v2, 16, v8
	v_cmp_ne_u16_sdwa vcc, v2, v3 src0_sel:BYTE_0 src1_sel:DWORD
	v_mov_b32_e32 v4, 0
	s_and_saveexec_b64 s[28:29], vcc
	s_cbranch_execz .LBB4_2641
; %bb.2636:                             ;   in Loop: Header=BB4_2583 Depth=4
	v_cmp_ne_u16_sdwa vcc, v2, s70 src0_sel:BYTE_0 src1_sel:DWORD
	v_bfrev_b32_e32 v4, 1
	s_and_saveexec_b64 s[30:31], vcc
	s_cbranch_execz .LBB4_2640
; %bb.2637:                             ;   in Loop: Header=BB4_2583 Depth=4
	v_bfe_u32 v6, v8, 16, 7
	v_cmp_ne_u32_e32 vcc, s68, v6
	v_mov_b32_e32 v4, 0x7f800001
	s_and_saveexec_b64 s[34:35], vcc
	s_cbranch_execz .LBB4_2639
; %bb.2638:                             ;   in Loop: Header=BB4_2583 Depth=4
	v_and_b32_e32 v4, 7, v2
	v_lshrrev_b32_e32 v14, 3, v6
	v_cmp_gt_u32_e32 vcc, 8, v6
	v_ffbh_u32_e32 v6, v4
	v_min_u32_e32 v6, 32, v6
	v_subrev_u32_e32 v12, 28, v6
	v_lshlrev_b64 v[12:13], v12, v[2:3]
	v_sub_u32_e32 v6, 29, v6
	v_and_b32_e32 v12, 7, v12
	v_cndmask_b32_e32 v6, v14, v6, vcc
	v_cndmask_b32_e32 v4, v4, v12, vcc
	v_lshlrev_b32_e32 v2, 24, v2
	v_lshlrev_b32_e32 v4, 20, v4
	v_and_b32_e32 v2, 0x80000000, v2
	v_lshl_add_u32 v6, v6, 23, v5
	v_or3_b32 v4, v2, v6, v4
.LBB4_2639:                             ;   in Loop: Header=BB4_2583 Depth=4
	s_or_b64 exec, exec, s[34:35]
.LBB4_2640:                             ;   in Loop: Header=BB4_2583 Depth=4
	s_or_b64 exec, exec, s[30:31]
.LBB4_2641:                             ;   in Loop: Header=BB4_2583 Depth=4
	s_or_b64 exec, exec, s[28:29]
	v_mul_f32_e32 v6, v7, v4
	v_and_b32_e32 v2, 0x7f800000, v6
	v_cmp_ne_u64_e32 vcc, s[62:63], v[2:3]
                                        ; implicit-def: $vgpr30
	s_and_saveexec_b64 s[28:29], vcc
	s_xor_b64 s[30:31], exec, s[28:29]
	s_cbranch_execz .LBB4_2655
; %bb.2642:                             ;   in Loop: Header=BB4_2583 Depth=4
	v_and_b32_e32 v2, 0x7fffffff, v6
	v_cmp_gt_u64_e32 vcc, s[72:73], v[2:3]
	v_and_b32_sdwa v4, v6, s70 dst_sel:DWORD dst_unused:UNUSED_PAD src0_sel:BYTE_3 src1_sel:DWORD
                                        ; implicit-def: $vgpr30
	s_and_saveexec_b64 s[28:29], vcc
	s_xor_b64 s[34:35], exec, s[28:29]
	s_cbranch_execz .LBB4_2652
; %bb.2643:                             ;   in Loop: Header=BB4_2583 Depth=4
	v_mov_b32_e32 v30, 0
	v_cmp_ne_u32_e32 vcc, 0, v6
	s_and_saveexec_b64 s[36:37], vcc
	s_cbranch_execz .LBB4_2651
; %bb.2644:                             ;   in Loop: Header=BB4_2583 Depth=4
	v_and_b32_e32 v2, 0x7fffff, v6
	v_bfe_u32 v6, v6, 23, 8
	v_cmp_gt_u32_e64 s[28:29], s71, v6
	v_sub_u32_e32 v12, 0x79, v6
	v_cmp_eq_u32_e32 vcc, 0, v6
	v_cndmask_b32_e64 v12, 0, v12, s[28:29]
	v_mov_b32_e32 v14, 0x78
	v_cndmask_b32_e32 v15, v12, v14, vcc
	v_or_b32_e32 v13, 0x800000, v2
	v_add_u32_e32 v12, 20, v15
	v_cndmask_b32_e32 v2, v13, v2, vcc
	v_lshlrev_b64 v[12:13], v12, -1
	v_add_u32_e32 v14, 19, v15
	v_lshlrev_b64 v[16:17], v14, 1
	v_bfi_b32 v13, v13, 0, 0
	v_bfi_b32 v12, v12, 0, v2
	v_cmp_eq_u64_e64 s[28:29], v[12:13], v[16:17]
	v_lshrrev_b64 v[12:13], v15, v[2:3]
	v_mov_b32_e32 v14, v13
	v_mov_b32_e32 v13, v12
	s_and_saveexec_b64 s[38:39], s[28:29]
; %bb.2645:                             ;   in Loop: Header=BB4_2583 Depth=4
	v_bfe_u32 v2, v12, 20, 1
	v_add_co_u32_e64 v2, s[28:29], v12, v2
	v_add_co_u32_e64 v13, s[28:29], -1, v2
; %bb.2646:                             ;   in Loop: Header=BB4_2583 Depth=4
	s_or_b64 exec, exec, s[38:39]
	v_add_u32_e32 v2, 0xffffff81, v6
	v_mov_b32_e32 v6, 0xffffff82
	v_cndmask_b32_e32 v2, v2, v6, vcc
	v_lshrrev_b32_e32 v6, 23, v12
	v_add3_u32 v15, v15, v2, v6
	v_add_u32_e32 v14, 6, v15
	v_and_b32_e32 v2, 0xfffff, v13
	v_add_u32_e32 v2, v2, v12
	v_cmp_ne_u32_e32 vcc, 0, v14
                                        ; implicit-def: $vgpr12_vgpr13
                                        ; implicit-def: $vgpr6
	s_and_saveexec_b64 s[28:29], vcc
	s_xor_b64 s[28:29], exec, s[28:29]
; %bb.2647:                             ;   in Loop: Header=BB4_2583 Depth=4
	v_cmp_lt_u64_e32 vcc, s[74:75], v[2:3]
	v_add_u32_e32 v6, 7, v15
	v_cndmask_b32_e64 v12, 0, 1, vcc
	v_cndmask_b32_e32 v6, v14, v6, vcc
	v_lshrrev_b64 v[12:13], v12, v[2:3]
; %bb.2648:                             ;   in Loop: Header=BB4_2583 Depth=4
	s_andn2_saveexec_b64 s[28:29], s[28:29]
; %bb.2649:                             ;   in Loop: Header=BB4_2583 Depth=4
	v_mov_b32_e32 v13, v3
	v_bfe_u32 v6, v2, 23, 1
	v_mov_b32_e32 v12, v2
; %bb.2650:                             ;   in Loop: Header=BB4_2583 Depth=4
	s_or_b64 exec, exec, s[28:29]
	v_lshrrev_b64 v[12:13], 20, v[12:13]
	v_cmp_gt_i32_e32 vcc, 16, v6
	v_cndmask_b32_e32 v13, 0, v13, vcc
	v_cndmask_b32_e32 v12, 7, v12, vcc
	v_min_i32_e32 v2, 15, v6
	v_cmp_eq_u64_e64 s[28:29], 0, v[12:13]
	v_lshlrev_b32_e32 v2, 3, v2
	v_cmp_eq_u32_e32 vcc, 0, v6
	v_and_b32_e32 v2, 0xf8, v2
	v_and_or_b32 v2, v12, 7, v2
	s_and_b64 s[28:29], vcc, s[28:29]
	v_cndmask_b32_e64 v2, v2, 0, s[28:29]
	v_or_b32_e32 v30, v2, v4
.LBB4_2651:                             ;   in Loop: Header=BB4_2583 Depth=4
	s_or_b64 exec, exec, s[36:37]
                                        ; implicit-def: $vgpr4
.LBB4_2652:                             ;   in Loop: Header=BB4_2583 Depth=4
	s_andn2_saveexec_b64 s[28:29], s[34:35]
; %bb.2653:                             ;   in Loop: Header=BB4_2583 Depth=4
	v_or_b32_e32 v30, 0x7e, v4
; %bb.2654:                             ;   in Loop: Header=BB4_2583 Depth=4
	s_or_b64 exec, exec, s[28:29]
                                        ; implicit-def: $vgpr6
.LBB4_2655:                             ;   in Loop: Header=BB4_2583 Depth=4
	s_andn2_saveexec_b64 s[28:29], s[30:31]
; %bb.2656:                             ;   in Loop: Header=BB4_2583 Depth=4
	v_or_b32_sdwa v30, v6, s68 dst_sel:DWORD dst_unused:UNUSED_PAD src0_sel:BYTE_3 src1_sel:DWORD
; %bb.2657:                             ;   in Loop: Header=BB4_2583 Depth=4
	s_or_b64 exec, exec, s[28:29]
	v_cmp_lt_u32_e32 vcc, s57, v8
	v_mov_b32_e32 v4, 0
	s_and_saveexec_b64 s[28:29], vcc
	s_cbranch_execz .LBB4_2663
; %bb.2658:                             ;   in Loop: Header=BB4_2583 Depth=4
	v_lshrrev_b32_e32 v2, 24, v8
	v_cmp_ne_u32_e32 vcc, s70, v2
	v_bfrev_b32_e32 v4, 1
	s_and_saveexec_b64 s[30:31], vcc
	s_cbranch_execz .LBB4_2662
; %bb.2659:                             ;   in Loop: Header=BB4_2583 Depth=4
	v_bfe_u32 v6, v8, 24, 7
	v_cmp_ne_u32_e32 vcc, s68, v6
	v_mov_b32_e32 v4, 0x7f800001
	s_and_saveexec_b64 s[34:35], vcc
	s_cbranch_execz .LBB4_2661
; %bb.2660:                             ;   in Loop: Header=BB4_2583 Depth=4
	v_and_b32_e32 v4, 7, v2
	v_lshrrev_b32_e32 v14, 3, v6
	v_cmp_gt_u32_e32 vcc, 8, v6
	v_ffbh_u32_e32 v6, v4
	v_min_u32_e32 v6, 32, v6
	v_subrev_u32_e32 v12, 28, v6
	v_lshlrev_b64 v[12:13], v12, v[2:3]
	v_sub_u32_e32 v6, 29, v6
	v_and_b32_e32 v12, 7, v12
	v_cndmask_b32_e32 v6, v14, v6, vcc
	v_cndmask_b32_e32 v4, v4, v12, vcc
	v_lshlrev_b32_e32 v2, 24, v2
	v_lshlrev_b32_e32 v4, 20, v4
	v_and_b32_e32 v2, 0x80000000, v2
	v_lshl_add_u32 v6, v6, 23, v5
	v_or3_b32 v4, v2, v6, v4
.LBB4_2661:                             ;   in Loop: Header=BB4_2583 Depth=4
	s_or_b64 exec, exec, s[34:35]
.LBB4_2662:                             ;   in Loop: Header=BB4_2583 Depth=4
	s_or_b64 exec, exec, s[30:31]
.LBB4_2663:                             ;   in Loop: Header=BB4_2583 Depth=4
	s_or_b64 exec, exec, s[28:29]
	v_mul_f32_e32 v6, v7, v4
	v_and_b32_e32 v2, 0x7f800000, v6
	v_cmp_ne_u64_e32 vcc, s[62:63], v[2:3]
                                        ; implicit-def: $vgpr29
	s_and_saveexec_b64 s[28:29], vcc
	s_xor_b64 s[30:31], exec, s[28:29]
	s_cbranch_execz .LBB4_2677
; %bb.2664:                             ;   in Loop: Header=BB4_2583 Depth=4
	v_and_b32_e32 v2, 0x7fffffff, v6
	v_cmp_gt_u64_e32 vcc, s[72:73], v[2:3]
	v_and_b32_sdwa v4, v6, s70 dst_sel:DWORD dst_unused:UNUSED_PAD src0_sel:BYTE_3 src1_sel:DWORD
                                        ; implicit-def: $vgpr29
	s_and_saveexec_b64 s[28:29], vcc
	s_xor_b64 s[34:35], exec, s[28:29]
	s_cbranch_execz .LBB4_2674
; %bb.2665:                             ;   in Loop: Header=BB4_2583 Depth=4
	v_mov_b32_e32 v29, 0
	v_cmp_ne_u32_e32 vcc, 0, v6
	s_and_saveexec_b64 s[36:37], vcc
	s_cbranch_execz .LBB4_2673
; %bb.2666:                             ;   in Loop: Header=BB4_2583 Depth=4
	v_and_b32_e32 v2, 0x7fffff, v6
	v_bfe_u32 v6, v6, 23, 8
	v_cmp_gt_u32_e64 s[28:29], s71, v6
	v_sub_u32_e32 v12, 0x79, v6
	v_cmp_eq_u32_e32 vcc, 0, v6
	v_cndmask_b32_e64 v12, 0, v12, s[28:29]
	v_mov_b32_e32 v14, 0x78
	v_cndmask_b32_e32 v15, v12, v14, vcc
	v_or_b32_e32 v13, 0x800000, v2
	v_add_u32_e32 v12, 20, v15
	v_cndmask_b32_e32 v2, v13, v2, vcc
	v_lshlrev_b64 v[12:13], v12, -1
	v_add_u32_e32 v14, 19, v15
	v_lshlrev_b64 v[16:17], v14, 1
	v_bfi_b32 v13, v13, 0, 0
	v_bfi_b32 v12, v12, 0, v2
	v_cmp_eq_u64_e64 s[28:29], v[12:13], v[16:17]
	v_lshrrev_b64 v[12:13], v15, v[2:3]
	v_mov_b32_e32 v14, v13
	v_mov_b32_e32 v13, v12
	s_and_saveexec_b64 s[38:39], s[28:29]
; %bb.2667:                             ;   in Loop: Header=BB4_2583 Depth=4
	v_bfe_u32 v2, v12, 20, 1
	v_add_co_u32_e64 v2, s[28:29], v12, v2
	v_add_co_u32_e64 v13, s[28:29], -1, v2
; %bb.2668:                             ;   in Loop: Header=BB4_2583 Depth=4
	s_or_b64 exec, exec, s[38:39]
	v_add_u32_e32 v2, 0xffffff81, v6
	v_mov_b32_e32 v6, 0xffffff82
	v_cndmask_b32_e32 v2, v2, v6, vcc
	v_lshrrev_b32_e32 v6, 23, v12
	v_add3_u32 v15, v15, v2, v6
	v_add_u32_e32 v14, 6, v15
	v_and_b32_e32 v2, 0xfffff, v13
	v_add_u32_e32 v2, v2, v12
	v_cmp_ne_u32_e32 vcc, 0, v14
                                        ; implicit-def: $vgpr12_vgpr13
                                        ; implicit-def: $vgpr6
	s_and_saveexec_b64 s[28:29], vcc
	s_xor_b64 s[28:29], exec, s[28:29]
; %bb.2669:                             ;   in Loop: Header=BB4_2583 Depth=4
	v_cmp_lt_u64_e32 vcc, s[74:75], v[2:3]
	v_add_u32_e32 v6, 7, v15
	v_cndmask_b32_e64 v12, 0, 1, vcc
	v_cndmask_b32_e32 v6, v14, v6, vcc
	v_lshrrev_b64 v[12:13], v12, v[2:3]
; %bb.2670:                             ;   in Loop: Header=BB4_2583 Depth=4
	s_andn2_saveexec_b64 s[28:29], s[28:29]
; %bb.2671:                             ;   in Loop: Header=BB4_2583 Depth=4
	v_mov_b32_e32 v13, v3
	v_bfe_u32 v6, v2, 23, 1
	v_mov_b32_e32 v12, v2
; %bb.2672:                             ;   in Loop: Header=BB4_2583 Depth=4
	s_or_b64 exec, exec, s[28:29]
	v_lshrrev_b64 v[12:13], 20, v[12:13]
	v_cmp_gt_i32_e32 vcc, 16, v6
	v_cndmask_b32_e32 v13, 0, v13, vcc
	v_cndmask_b32_e32 v12, 7, v12, vcc
	v_min_i32_e32 v2, 15, v6
	v_cmp_eq_u64_e64 s[28:29], 0, v[12:13]
	v_lshlrev_b32_e32 v2, 3, v2
	v_cmp_eq_u32_e32 vcc, 0, v6
	v_and_b32_e32 v2, 0xf8, v2
	v_and_or_b32 v2, v12, 7, v2
	s_and_b64 s[28:29], vcc, s[28:29]
	v_cndmask_b32_e64 v2, v2, 0, s[28:29]
	v_or_b32_e32 v29, v2, v4
.LBB4_2673:                             ;   in Loop: Header=BB4_2583 Depth=4
	s_or_b64 exec, exec, s[36:37]
                                        ; implicit-def: $vgpr4
.LBB4_2674:                             ;   in Loop: Header=BB4_2583 Depth=4
	s_andn2_saveexec_b64 s[28:29], s[34:35]
; %bb.2675:                             ;   in Loop: Header=BB4_2583 Depth=4
	v_or_b32_e32 v29, 0x7e, v4
; %bb.2676:                             ;   in Loop: Header=BB4_2583 Depth=4
	s_or_b64 exec, exec, s[28:29]
                                        ; implicit-def: $vgpr6
.LBB4_2677:                             ;   in Loop: Header=BB4_2583 Depth=4
	s_andn2_saveexec_b64 s[28:29], s[30:31]
; %bb.2678:                             ;   in Loop: Header=BB4_2583 Depth=4
	v_or_b32_sdwa v29, v6, s68 dst_sel:DWORD dst_unused:UNUSED_PAD src0_sel:BYTE_3 src1_sel:DWORD
; %bb.2679:                             ;   in Loop: Header=BB4_2583 Depth=4
	s_or_b64 exec, exec, s[28:29]
	v_mov_b32_e32 v2, v9
	v_cmp_ne_u16_sdwa vcc, v9, v3 src0_sel:BYTE_0 src1_sel:DWORD
	v_mov_b32_e32 v4, 0
	s_and_saveexec_b64 s[28:29], vcc
	s_cbranch_execz .LBB4_2685
; %bb.2680:                             ;   in Loop: Header=BB4_2583 Depth=4
	v_cmp_ne_u16_sdwa vcc, v9, s70 src0_sel:BYTE_0 src1_sel:DWORD
	v_bfrev_b32_e32 v4, 1
	s_and_saveexec_b64 s[30:31], vcc
	s_cbranch_execz .LBB4_2684
; %bb.2681:                             ;   in Loop: Header=BB4_2583 Depth=4
	v_and_b32_e32 v6, 0x7f, v9
	v_cmp_ne_u32_e32 vcc, s68, v6
	v_mov_b32_e32 v4, 0x7f800001
	s_and_saveexec_b64 s[34:35], vcc
	s_cbranch_execz .LBB4_2683
; %bb.2682:                             ;   in Loop: Header=BB4_2583 Depth=4
	v_and_b32_e32 v4, 7, v9
	v_ffbh_u32_e32 v4, v4
	v_min_u32_e32 v4, 32, v4
	v_lshrrev_b32_e32 v12, 3, v6
	v_cmp_gt_u32_e32 vcc, 8, v6
	v_subrev_u32_e32 v6, 28, v4
	v_sub_u32_e32 v4, 29, v4
	v_cndmask_b32_e32 v6, 0, v6, vcc
	v_cndmask_b32_e32 v4, v12, v4, vcc
	v_lshlrev_b64 v[12:13], v6, v[2:3]
	v_lshl_add_u32 v4, v4, 23, v5
	v_lshlrev_b32_e32 v6, 20, v12
	v_lshlrev_b32_e32 v12, 24, v2
	v_and_b32_e32 v6, 0x700000, v6
	v_and_b32_e32 v12, 0x80000000, v12
	v_or3_b32 v4, v12, v4, v6
.LBB4_2683:                             ;   in Loop: Header=BB4_2583 Depth=4
	s_or_b64 exec, exec, s[34:35]
.LBB4_2684:                             ;   in Loop: Header=BB4_2583 Depth=4
	s_or_b64 exec, exec, s[30:31]
.LBB4_2685:                             ;   in Loop: Header=BB4_2583 Depth=4
	s_or_b64 exec, exec, s[28:29]
	v_mul_f32_e32 v6, v7, v4
	v_and_b32_e32 v12, 0x7f800000, v6
	v_mov_b32_e32 v13, v3
	v_cmp_ne_u64_e32 vcc, s[62:63], v[12:13]
                                        ; implicit-def: $vgpr53
	s_and_saveexec_b64 s[28:29], vcc
	s_xor_b64 s[30:31], exec, s[28:29]
	s_cbranch_execz .LBB4_2699
; %bb.2686:                             ;   in Loop: Header=BB4_2583 Depth=4
	v_and_b32_e32 v12, 0x7fffffff, v6
	v_mov_b32_e32 v13, v3
	v_cmp_gt_u64_e32 vcc, s[72:73], v[12:13]
	v_and_b32_sdwa v4, v6, s70 dst_sel:DWORD dst_unused:UNUSED_PAD src0_sel:BYTE_3 src1_sel:DWORD
                                        ; implicit-def: $vgpr53
	s_and_saveexec_b64 s[28:29], vcc
	s_xor_b64 s[34:35], exec, s[28:29]
	s_cbranch_execz .LBB4_2696
; %bb.2687:                             ;   in Loop: Header=BB4_2583 Depth=4
	v_mov_b32_e32 v53, 0
	v_cmp_ne_u32_e32 vcc, 0, v6
	s_and_saveexec_b64 s[36:37], vcc
	s_cbranch_execz .LBB4_2695
; %bb.2688:                             ;   in Loop: Header=BB4_2583 Depth=4
	v_and_b32_e32 v12, 0x7fffff, v6
	v_bfe_u32 v6, v6, 23, 8
	v_cmp_gt_u32_e64 s[28:29], s71, v6
	v_sub_u32_e32 v13, 0x79, v6
	v_cmp_eq_u32_e32 vcc, 0, v6
	v_cndmask_b32_e64 v13, 0, v13, s[28:29]
	v_mov_b32_e32 v15, 0x78
	v_or_b32_e32 v14, 0x800000, v12
	v_cndmask_b32_e32 v15, v13, v15, vcc
	v_cndmask_b32_e32 v12, v14, v12, vcc
	v_add_u32_e32 v14, 20, v15
	v_lshlrev_b64 v[16:17], v14, -1
	v_mov_b32_e32 v13, v3
	v_add_u32_e32 v14, 19, v15
	v_bfi_b32 v16, v16, 0, v12
	v_lshlrev_b64 v[20:21], v14, 1
	v_lshrrev_b64 v[12:13], v15, v[12:13]
	v_bfi_b32 v17, v17, 0, 0
	v_cmp_eq_u64_e64 s[28:29], v[16:17], v[20:21]
	v_mov_b32_e32 v14, v13
	v_mov_b32_e32 v13, v12
	s_and_saveexec_b64 s[38:39], s[28:29]
; %bb.2689:                             ;   in Loop: Header=BB4_2583 Depth=4
	v_bfe_u32 v13, v12, 20, 1
	v_add_co_u32_e64 v13, s[28:29], v12, v13
	v_add_co_u32_e64 v13, s[28:29], -1, v13
; %bb.2690:                             ;   in Loop: Header=BB4_2583 Depth=4
	s_or_b64 exec, exec, s[38:39]
	v_add_u32_e32 v6, 0xffffff81, v6
	v_mov_b32_e32 v14, 0xffffff82
	v_cndmask_b32_e32 v6, v6, v14, vcc
	v_lshrrev_b32_e32 v14, 23, v12
	v_add3_u32 v15, v15, v6, v14
	v_add_u32_e32 v14, 6, v15
	v_and_b32_e32 v6, 0xfffff, v13
	v_add_u32_e32 v12, v6, v12
	v_mov_b32_e32 v13, v3
	v_cmp_ne_u32_e32 vcc, 0, v14
                                        ; implicit-def: $vgpr6
	s_and_saveexec_b64 s[28:29], vcc
	s_xor_b64 s[28:29], exec, s[28:29]
; %bb.2691:                             ;   in Loop: Header=BB4_2583 Depth=4
	v_cmp_lt_u64_e32 vcc, s[74:75], v[12:13]
	v_add_u32_e32 v6, 7, v15
	v_cndmask_b32_e32 v6, v14, v6, vcc
	v_cndmask_b32_e64 v14, 0, 1, vcc
	v_lshrrev_b64 v[12:13], v14, v[12:13]
; %bb.2692:                             ;   in Loop: Header=BB4_2583 Depth=4
	s_andn2_saveexec_b64 s[28:29], s[28:29]
; %bb.2693:                             ;   in Loop: Header=BB4_2583 Depth=4
	v_bfe_u32 v6, v12, 23, 1
; %bb.2694:                             ;   in Loop: Header=BB4_2583 Depth=4
	s_or_b64 exec, exec, s[28:29]
	v_lshrrev_b64 v[12:13], 20, v[12:13]
	v_cmp_gt_i32_e32 vcc, 16, v6
	v_cndmask_b32_e32 v13, 0, v13, vcc
	v_cndmask_b32_e32 v12, 7, v12, vcc
	v_cmp_eq_u32_e32 vcc, 0, v6
	v_min_i32_e32 v6, 15, v6
	v_cmp_eq_u64_e64 s[28:29], 0, v[12:13]
	v_lshlrev_b32_e32 v6, 3, v6
	v_and_b32_e32 v6, 0xf8, v6
	v_and_or_b32 v6, v12, 7, v6
	s_and_b64 s[28:29], vcc, s[28:29]
	v_cndmask_b32_e64 v6, v6, 0, s[28:29]
	v_or_b32_e32 v53, v6, v4
.LBB4_2695:                             ;   in Loop: Header=BB4_2583 Depth=4
	s_or_b64 exec, exec, s[36:37]
                                        ; implicit-def: $vgpr4
.LBB4_2696:                             ;   in Loop: Header=BB4_2583 Depth=4
	s_andn2_saveexec_b64 s[28:29], s[34:35]
; %bb.2697:                             ;   in Loop: Header=BB4_2583 Depth=4
	v_or_b32_e32 v53, 0x7e, v4
; %bb.2698:                             ;   in Loop: Header=BB4_2583 Depth=4
	s_or_b64 exec, exec, s[28:29]
                                        ; implicit-def: $vgpr6
.LBB4_2699:                             ;   in Loop: Header=BB4_2583 Depth=4
	s_andn2_saveexec_b64 s[28:29], s[30:31]
; %bb.2700:                             ;   in Loop: Header=BB4_2583 Depth=4
	v_or_b32_sdwa v53, v6, s68 dst_sel:DWORD dst_unused:UNUSED_PAD src0_sel:BYTE_3 src1_sel:DWORD
; %bb.2701:                             ;   in Loop: Header=BB4_2583 Depth=4
	s_or_b64 exec, exec, s[28:29]
	v_lshrrev_b16_e32 v12, 8, v2
	v_cmp_ne_u16_e32 vcc, 0, v12
	v_mov_b32_e32 v4, 0
	s_and_saveexec_b64 s[28:29], vcc
	s_cbranch_execz .LBB4_2707
; %bb.2702:                             ;   in Loop: Header=BB4_2583 Depth=4
	v_cmp_ne_u16_e32 vcc, s70, v12
	v_bfrev_b32_e32 v4, 1
	s_and_saveexec_b64 s[30:31], vcc
	s_cbranch_execz .LBB4_2706
; %bb.2703:                             ;   in Loop: Header=BB4_2583 Depth=4
	v_and_b32_e32 v6, 0x7f, v12
	v_cmp_ne_u32_e32 vcc, s68, v6
	v_mov_b32_e32 v4, 0x7f800001
	s_and_saveexec_b64 s[34:35], vcc
	s_cbranch_execz .LBB4_2705
; %bb.2704:                             ;   in Loop: Header=BB4_2583 Depth=4
	v_and_b32_e32 v4, 7, v12
	v_lshrrev_b32_e32 v14, 3, v6
	v_cmp_gt_u32_e32 vcc, 8, v6
	v_ffbh_u32_e32 v6, v4
	v_min_u32_e32 v6, 32, v6
	v_subrev_u32_e32 v13, 28, v6
	v_lshlrev_b64 v[12:13], v13, v[12:13]
	v_sub_u32_e32 v6, 29, v6
	v_and_b32_e32 v12, 7, v12
	v_cndmask_b32_e32 v6, v14, v6, vcc
	v_cndmask_b32_e32 v4, v4, v12, vcc
	v_lshlrev_b32_e32 v2, 16, v2
	v_lshlrev_b32_e32 v4, 20, v4
	v_and_b32_e32 v2, 0x80000000, v2
	v_lshl_add_u32 v6, v6, 23, v5
	v_or3_b32 v4, v2, v6, v4
.LBB4_2705:                             ;   in Loop: Header=BB4_2583 Depth=4
	s_or_b64 exec, exec, s[34:35]
.LBB4_2706:                             ;   in Loop: Header=BB4_2583 Depth=4
	s_or_b64 exec, exec, s[30:31]
.LBB4_2707:                             ;   in Loop: Header=BB4_2583 Depth=4
	s_or_b64 exec, exec, s[28:29]
	v_mul_f32_e32 v6, v7, v4
	v_and_b32_e32 v2, 0x7f800000, v6
	v_cmp_ne_u64_e32 vcc, s[62:63], v[2:3]
                                        ; implicit-def: $vgpr61
	s_and_saveexec_b64 s[28:29], vcc
	s_xor_b64 s[30:31], exec, s[28:29]
	s_cbranch_execz .LBB4_2721
; %bb.2708:                             ;   in Loop: Header=BB4_2583 Depth=4
	v_and_b32_e32 v2, 0x7fffffff, v6
	v_cmp_gt_u64_e32 vcc, s[72:73], v[2:3]
	v_and_b32_sdwa v4, v6, s70 dst_sel:DWORD dst_unused:UNUSED_PAD src0_sel:BYTE_3 src1_sel:DWORD
                                        ; implicit-def: $vgpr61
	s_and_saveexec_b64 s[28:29], vcc
	s_xor_b64 s[34:35], exec, s[28:29]
	s_cbranch_execz .LBB4_2718
; %bb.2709:                             ;   in Loop: Header=BB4_2583 Depth=4
	v_mov_b32_e32 v61, 0
	v_cmp_ne_u32_e32 vcc, 0, v6
	s_and_saveexec_b64 s[36:37], vcc
	s_cbranch_execz .LBB4_2717
; %bb.2710:                             ;   in Loop: Header=BB4_2583 Depth=4
	v_and_b32_e32 v2, 0x7fffff, v6
	v_bfe_u32 v6, v6, 23, 8
	v_cmp_gt_u32_e64 s[28:29], s71, v6
	v_sub_u32_e32 v12, 0x79, v6
	v_cmp_eq_u32_e32 vcc, 0, v6
	v_cndmask_b32_e64 v12, 0, v12, s[28:29]
	v_mov_b32_e32 v14, 0x78
	v_cndmask_b32_e32 v15, v12, v14, vcc
	v_or_b32_e32 v13, 0x800000, v2
	v_add_u32_e32 v12, 20, v15
	v_cndmask_b32_e32 v2, v13, v2, vcc
	v_lshlrev_b64 v[12:13], v12, -1
	v_add_u32_e32 v14, 19, v15
	v_lshlrev_b64 v[16:17], v14, 1
	v_bfi_b32 v13, v13, 0, 0
	v_bfi_b32 v12, v12, 0, v2
	v_cmp_eq_u64_e64 s[28:29], v[12:13], v[16:17]
	v_lshrrev_b64 v[12:13], v15, v[2:3]
	v_mov_b32_e32 v14, v13
	v_mov_b32_e32 v13, v12
	s_and_saveexec_b64 s[38:39], s[28:29]
; %bb.2711:                             ;   in Loop: Header=BB4_2583 Depth=4
	v_bfe_u32 v2, v12, 20, 1
	v_add_co_u32_e64 v2, s[28:29], v12, v2
	v_add_co_u32_e64 v13, s[28:29], -1, v2
; %bb.2712:                             ;   in Loop: Header=BB4_2583 Depth=4
	s_or_b64 exec, exec, s[38:39]
	v_add_u32_e32 v2, 0xffffff81, v6
	v_mov_b32_e32 v6, 0xffffff82
	v_cndmask_b32_e32 v2, v2, v6, vcc
	v_lshrrev_b32_e32 v6, 23, v12
	v_add3_u32 v15, v15, v2, v6
	v_add_u32_e32 v14, 6, v15
	v_and_b32_e32 v2, 0xfffff, v13
	v_add_u32_e32 v2, v2, v12
	v_cmp_ne_u32_e32 vcc, 0, v14
                                        ; implicit-def: $vgpr12_vgpr13
                                        ; implicit-def: $vgpr6
	s_and_saveexec_b64 s[28:29], vcc
	s_xor_b64 s[28:29], exec, s[28:29]
; %bb.2713:                             ;   in Loop: Header=BB4_2583 Depth=4
	v_cmp_lt_u64_e32 vcc, s[74:75], v[2:3]
	v_add_u32_e32 v6, 7, v15
	v_cndmask_b32_e64 v12, 0, 1, vcc
	v_cndmask_b32_e32 v6, v14, v6, vcc
	v_lshrrev_b64 v[12:13], v12, v[2:3]
; %bb.2714:                             ;   in Loop: Header=BB4_2583 Depth=4
	s_andn2_saveexec_b64 s[28:29], s[28:29]
; %bb.2715:                             ;   in Loop: Header=BB4_2583 Depth=4
	v_mov_b32_e32 v13, v3
	v_bfe_u32 v6, v2, 23, 1
	v_mov_b32_e32 v12, v2
; %bb.2716:                             ;   in Loop: Header=BB4_2583 Depth=4
	s_or_b64 exec, exec, s[28:29]
	v_lshrrev_b64 v[12:13], 20, v[12:13]
	v_cmp_gt_i32_e32 vcc, 16, v6
	v_cndmask_b32_e32 v13, 0, v13, vcc
	v_cndmask_b32_e32 v12, 7, v12, vcc
	v_min_i32_e32 v2, 15, v6
	v_cmp_eq_u64_e64 s[28:29], 0, v[12:13]
	v_lshlrev_b32_e32 v2, 3, v2
	v_cmp_eq_u32_e32 vcc, 0, v6
	v_and_b32_e32 v2, 0xf8, v2
	v_and_or_b32 v2, v12, 7, v2
	s_and_b64 s[28:29], vcc, s[28:29]
	v_cndmask_b32_e64 v2, v2, 0, s[28:29]
	v_or_b32_e32 v61, v2, v4
.LBB4_2717:                             ;   in Loop: Header=BB4_2583 Depth=4
	s_or_b64 exec, exec, s[36:37]
                                        ; implicit-def: $vgpr4
.LBB4_2718:                             ;   in Loop: Header=BB4_2583 Depth=4
	s_andn2_saveexec_b64 s[28:29], s[34:35]
; %bb.2719:                             ;   in Loop: Header=BB4_2583 Depth=4
	v_or_b32_e32 v61, 0x7e, v4
; %bb.2720:                             ;   in Loop: Header=BB4_2583 Depth=4
	s_or_b64 exec, exec, s[28:29]
                                        ; implicit-def: $vgpr6
.LBB4_2721:                             ;   in Loop: Header=BB4_2583 Depth=4
	s_andn2_saveexec_b64 s[28:29], s[30:31]
; %bb.2722:                             ;   in Loop: Header=BB4_2583 Depth=4
	v_or_b32_sdwa v61, v6, s68 dst_sel:DWORD dst_unused:UNUSED_PAD src0_sel:BYTE_3 src1_sel:DWORD
; %bb.2723:                             ;   in Loop: Header=BB4_2583 Depth=4
	s_or_b64 exec, exec, s[28:29]
	v_lshrrev_b32_e32 v2, 16, v9
	v_cmp_ne_u16_sdwa vcc, v2, v3 src0_sel:BYTE_0 src1_sel:DWORD
	v_mov_b32_e32 v4, 0
	s_and_saveexec_b64 s[28:29], vcc
	s_cbranch_execz .LBB4_2729
; %bb.2724:                             ;   in Loop: Header=BB4_2583 Depth=4
	v_cmp_ne_u16_sdwa vcc, v2, s70 src0_sel:BYTE_0 src1_sel:DWORD
	v_bfrev_b32_e32 v4, 1
	s_and_saveexec_b64 s[30:31], vcc
	s_cbranch_execz .LBB4_2728
; %bb.2725:                             ;   in Loop: Header=BB4_2583 Depth=4
	v_bfe_u32 v6, v9, 16, 7
	v_cmp_ne_u32_e32 vcc, s68, v6
	v_mov_b32_e32 v4, 0x7f800001
	s_and_saveexec_b64 s[34:35], vcc
	s_cbranch_execz .LBB4_2727
; %bb.2726:                             ;   in Loop: Header=BB4_2583 Depth=4
	v_and_b32_e32 v4, 7, v2
	v_lshrrev_b32_e32 v14, 3, v6
	v_cmp_gt_u32_e32 vcc, 8, v6
	v_ffbh_u32_e32 v6, v4
	v_min_u32_e32 v6, 32, v6
	v_subrev_u32_e32 v12, 28, v6
	v_lshlrev_b64 v[12:13], v12, v[2:3]
	v_sub_u32_e32 v6, 29, v6
	v_and_b32_e32 v12, 7, v12
	v_cndmask_b32_e32 v6, v14, v6, vcc
	v_cndmask_b32_e32 v4, v4, v12, vcc
	v_lshlrev_b32_e32 v2, 24, v2
	v_lshlrev_b32_e32 v4, 20, v4
	v_and_b32_e32 v2, 0x80000000, v2
	v_lshl_add_u32 v6, v6, 23, v5
	v_or3_b32 v4, v2, v6, v4
.LBB4_2727:                             ;   in Loop: Header=BB4_2583 Depth=4
	s_or_b64 exec, exec, s[34:35]
.LBB4_2728:                             ;   in Loop: Header=BB4_2583 Depth=4
	s_or_b64 exec, exec, s[30:31]
.LBB4_2729:                             ;   in Loop: Header=BB4_2583 Depth=4
	s_or_b64 exec, exec, s[28:29]
	v_mul_f32_e32 v6, v7, v4
	v_and_b32_e32 v2, 0x7f800000, v6
	v_cmp_ne_u64_e32 vcc, s[62:63], v[2:3]
                                        ; implicit-def: $vgpr36
	s_and_saveexec_b64 s[28:29], vcc
	s_xor_b64 s[30:31], exec, s[28:29]
	s_cbranch_execz .LBB4_2743
; %bb.2730:                             ;   in Loop: Header=BB4_2583 Depth=4
	v_and_b32_e32 v2, 0x7fffffff, v6
	v_cmp_gt_u64_e32 vcc, s[72:73], v[2:3]
	v_and_b32_sdwa v4, v6, s70 dst_sel:DWORD dst_unused:UNUSED_PAD src0_sel:BYTE_3 src1_sel:DWORD
                                        ; implicit-def: $vgpr36
	s_and_saveexec_b64 s[28:29], vcc
	s_xor_b64 s[34:35], exec, s[28:29]
	s_cbranch_execz .LBB4_2740
; %bb.2731:                             ;   in Loop: Header=BB4_2583 Depth=4
	v_mov_b32_e32 v36, 0
	v_cmp_ne_u32_e32 vcc, 0, v6
	s_and_saveexec_b64 s[36:37], vcc
	s_cbranch_execz .LBB4_2739
; %bb.2732:                             ;   in Loop: Header=BB4_2583 Depth=4
	v_and_b32_e32 v2, 0x7fffff, v6
	v_bfe_u32 v6, v6, 23, 8
	v_cmp_gt_u32_e64 s[28:29], s71, v6
	v_sub_u32_e32 v12, 0x79, v6
	v_cmp_eq_u32_e32 vcc, 0, v6
	v_cndmask_b32_e64 v12, 0, v12, s[28:29]
	v_mov_b32_e32 v14, 0x78
	v_cndmask_b32_e32 v15, v12, v14, vcc
	v_or_b32_e32 v13, 0x800000, v2
	v_add_u32_e32 v12, 20, v15
	v_cndmask_b32_e32 v2, v13, v2, vcc
	v_lshlrev_b64 v[12:13], v12, -1
	v_add_u32_e32 v14, 19, v15
	v_lshlrev_b64 v[16:17], v14, 1
	v_bfi_b32 v13, v13, 0, 0
	v_bfi_b32 v12, v12, 0, v2
	v_cmp_eq_u64_e64 s[28:29], v[12:13], v[16:17]
	v_lshrrev_b64 v[12:13], v15, v[2:3]
	v_mov_b32_e32 v14, v13
	v_mov_b32_e32 v13, v12
	s_and_saveexec_b64 s[38:39], s[28:29]
; %bb.2733:                             ;   in Loop: Header=BB4_2583 Depth=4
	v_bfe_u32 v2, v12, 20, 1
	v_add_co_u32_e64 v2, s[28:29], v12, v2
	v_add_co_u32_e64 v13, s[28:29], -1, v2
; %bb.2734:                             ;   in Loop: Header=BB4_2583 Depth=4
	s_or_b64 exec, exec, s[38:39]
	v_add_u32_e32 v2, 0xffffff81, v6
	v_mov_b32_e32 v6, 0xffffff82
	v_cndmask_b32_e32 v2, v2, v6, vcc
	v_lshrrev_b32_e32 v6, 23, v12
	v_add3_u32 v15, v15, v2, v6
	v_add_u32_e32 v14, 6, v15
	v_and_b32_e32 v2, 0xfffff, v13
	v_add_u32_e32 v2, v2, v12
	v_cmp_ne_u32_e32 vcc, 0, v14
                                        ; implicit-def: $vgpr12_vgpr13
                                        ; implicit-def: $vgpr6
	s_and_saveexec_b64 s[28:29], vcc
	s_xor_b64 s[28:29], exec, s[28:29]
; %bb.2735:                             ;   in Loop: Header=BB4_2583 Depth=4
	v_cmp_lt_u64_e32 vcc, s[74:75], v[2:3]
	v_add_u32_e32 v6, 7, v15
	v_cndmask_b32_e64 v12, 0, 1, vcc
	v_cndmask_b32_e32 v6, v14, v6, vcc
	v_lshrrev_b64 v[12:13], v12, v[2:3]
; %bb.2736:                             ;   in Loop: Header=BB4_2583 Depth=4
	s_andn2_saveexec_b64 s[28:29], s[28:29]
; %bb.2737:                             ;   in Loop: Header=BB4_2583 Depth=4
	v_mov_b32_e32 v13, v3
	v_bfe_u32 v6, v2, 23, 1
	v_mov_b32_e32 v12, v2
; %bb.2738:                             ;   in Loop: Header=BB4_2583 Depth=4
	s_or_b64 exec, exec, s[28:29]
	v_lshrrev_b64 v[12:13], 20, v[12:13]
	v_cmp_gt_i32_e32 vcc, 16, v6
	v_cndmask_b32_e32 v13, 0, v13, vcc
	v_cndmask_b32_e32 v12, 7, v12, vcc
	v_min_i32_e32 v2, 15, v6
	v_cmp_eq_u64_e64 s[28:29], 0, v[12:13]
	v_lshlrev_b32_e32 v2, 3, v2
	v_cmp_eq_u32_e32 vcc, 0, v6
	v_and_b32_e32 v2, 0xf8, v2
	v_and_or_b32 v2, v12, 7, v2
	s_and_b64 s[28:29], vcc, s[28:29]
	v_cndmask_b32_e64 v2, v2, 0, s[28:29]
	v_or_b32_e32 v36, v2, v4
.LBB4_2739:                             ;   in Loop: Header=BB4_2583 Depth=4
	s_or_b64 exec, exec, s[36:37]
                                        ; implicit-def: $vgpr4
.LBB4_2740:                             ;   in Loop: Header=BB4_2583 Depth=4
	s_andn2_saveexec_b64 s[28:29], s[34:35]
; %bb.2741:                             ;   in Loop: Header=BB4_2583 Depth=4
	v_or_b32_e32 v36, 0x7e, v4
; %bb.2742:                             ;   in Loop: Header=BB4_2583 Depth=4
	s_or_b64 exec, exec, s[28:29]
                                        ; implicit-def: $vgpr6
.LBB4_2743:                             ;   in Loop: Header=BB4_2583 Depth=4
	s_andn2_saveexec_b64 s[28:29], s[30:31]
; %bb.2744:                             ;   in Loop: Header=BB4_2583 Depth=4
	v_or_b32_sdwa v36, v6, s68 dst_sel:DWORD dst_unused:UNUSED_PAD src0_sel:BYTE_3 src1_sel:DWORD
; %bb.2745:                             ;   in Loop: Header=BB4_2583 Depth=4
	s_or_b64 exec, exec, s[28:29]
	v_cmp_lt_u64_e32 vcc, s[56:57], v[8:9]
	v_mov_b32_e32 v4, 0
	s_and_saveexec_b64 s[28:29], vcc
	s_cbranch_execz .LBB4_2751
; %bb.2746:                             ;   in Loop: Header=BB4_2583 Depth=4
	v_lshrrev_b32_e32 v2, 24, v9
	v_cmp_ne_u32_e32 vcc, s70, v2
	v_bfrev_b32_e32 v4, 1
	s_and_saveexec_b64 s[30:31], vcc
	s_cbranch_execz .LBB4_2750
; %bb.2747:                             ;   in Loop: Header=BB4_2583 Depth=4
	v_bfe_u32 v6, v9, 24, 7
	v_cmp_ne_u32_e32 vcc, s68, v6
	v_mov_b32_e32 v4, 0x7f800001
	s_and_saveexec_b64 s[34:35], vcc
	s_cbranch_execz .LBB4_2749
; %bb.2748:                             ;   in Loop: Header=BB4_2583 Depth=4
	v_and_b32_e32 v4, 7, v2
	v_lshrrev_b32_e32 v12, 3, v6
	v_cmp_gt_u32_e32 vcc, 8, v6
	v_ffbh_u32_e32 v6, v4
	v_min_u32_e32 v6, 32, v6
	v_subrev_u32_e32 v8, 28, v6
	v_lshlrev_b64 v[8:9], v8, v[2:3]
	v_sub_u32_e32 v6, 29, v6
	v_and_b32_e32 v8, 7, v8
	v_cndmask_b32_e32 v6, v12, v6, vcc
	v_cndmask_b32_e32 v4, v4, v8, vcc
	v_lshlrev_b32_e32 v2, 24, v2
	v_lshlrev_b32_e32 v4, 20, v4
	v_and_b32_e32 v2, 0x80000000, v2
	v_lshl_add_u32 v6, v6, 23, v5
	v_or3_b32 v4, v2, v6, v4
.LBB4_2749:                             ;   in Loop: Header=BB4_2583 Depth=4
	s_or_b64 exec, exec, s[34:35]
.LBB4_2750:                             ;   in Loop: Header=BB4_2583 Depth=4
	s_or_b64 exec, exec, s[30:31]
.LBB4_2751:                             ;   in Loop: Header=BB4_2583 Depth=4
	s_or_b64 exec, exec, s[28:29]
	v_mul_f32_e32 v6, v7, v4
	v_and_b32_e32 v2, 0x7f800000, v6
	v_cmp_ne_u64_e32 vcc, s[62:63], v[2:3]
                                        ; implicit-def: $vgpr28
	s_and_saveexec_b64 s[28:29], vcc
	s_xor_b64 s[30:31], exec, s[28:29]
	s_cbranch_execz .LBB4_2765
; %bb.2752:                             ;   in Loop: Header=BB4_2583 Depth=4
	v_and_b32_e32 v2, 0x7fffffff, v6
	v_cmp_gt_u64_e32 vcc, s[72:73], v[2:3]
	v_and_b32_sdwa v4, v6, s70 dst_sel:DWORD dst_unused:UNUSED_PAD src0_sel:BYTE_3 src1_sel:DWORD
                                        ; implicit-def: $vgpr28
	s_and_saveexec_b64 s[28:29], vcc
	s_xor_b64 s[34:35], exec, s[28:29]
	s_cbranch_execz .LBB4_2762
; %bb.2753:                             ;   in Loop: Header=BB4_2583 Depth=4
	v_mov_b32_e32 v28, 0
	v_cmp_ne_u32_e32 vcc, 0, v6
	s_and_saveexec_b64 s[36:37], vcc
	s_cbranch_execz .LBB4_2761
; %bb.2754:                             ;   in Loop: Header=BB4_2583 Depth=4
	v_and_b32_e32 v2, 0x7fffff, v6
	v_bfe_u32 v6, v6, 23, 8
	v_cmp_gt_u32_e64 s[28:29], s71, v6
	v_sub_u32_e32 v8, 0x79, v6
	v_cmp_eq_u32_e32 vcc, 0, v6
	v_cndmask_b32_e64 v8, 0, v8, s[28:29]
	v_mov_b32_e32 v12, 0x78
	v_cndmask_b32_e32 v14, v8, v12, vcc
	v_or_b32_e32 v9, 0x800000, v2
	v_add_u32_e32 v8, 20, v14
	v_cndmask_b32_e32 v2, v9, v2, vcc
	v_lshlrev_b64 v[8:9], v8, -1
	v_add_u32_e32 v12, 19, v14
	v_lshlrev_b64 v[12:13], v12, 1
	v_bfi_b32 v9, v9, 0, 0
	v_bfi_b32 v8, v8, 0, v2
	v_cmp_eq_u64_e64 s[28:29], v[8:9], v[12:13]
	v_lshrrev_b64 v[8:9], v14, v[2:3]
	v_mov_b32_e32 v13, v9
	v_mov_b32_e32 v12, v8
	s_and_saveexec_b64 s[38:39], s[28:29]
; %bb.2755:                             ;   in Loop: Header=BB4_2583 Depth=4
	v_bfe_u32 v2, v8, 20, 1
	v_add_co_u32_e64 v2, s[28:29], v8, v2
	v_add_co_u32_e64 v12, s[28:29], -1, v2
; %bb.2756:                             ;   in Loop: Header=BB4_2583 Depth=4
	s_or_b64 exec, exec, s[38:39]
	v_add_u32_e32 v2, 0xffffff81, v6
	v_mov_b32_e32 v6, 0xffffff82
	v_cndmask_b32_e32 v2, v2, v6, vcc
	v_lshrrev_b32_e32 v6, 23, v8
	v_add3_u32 v14, v14, v2, v6
	v_add_u32_e32 v13, 6, v14
	v_and_b32_e32 v2, 0xfffff, v12
	v_add_u32_e32 v2, v2, v8
	v_cmp_ne_u32_e32 vcc, 0, v13
                                        ; implicit-def: $vgpr8_vgpr9
                                        ; implicit-def: $vgpr6
	s_and_saveexec_b64 s[28:29], vcc
	s_xor_b64 s[28:29], exec, s[28:29]
; %bb.2757:                             ;   in Loop: Header=BB4_2583 Depth=4
	v_cmp_lt_u64_e32 vcc, s[74:75], v[2:3]
	v_add_u32_e32 v6, 7, v14
	v_cndmask_b32_e64 v8, 0, 1, vcc
	v_cndmask_b32_e32 v6, v13, v6, vcc
	v_lshrrev_b64 v[8:9], v8, v[2:3]
; %bb.2758:                             ;   in Loop: Header=BB4_2583 Depth=4
	s_andn2_saveexec_b64 s[28:29], s[28:29]
; %bb.2759:                             ;   in Loop: Header=BB4_2583 Depth=4
	v_mov_b32_e32 v9, v3
	v_bfe_u32 v6, v2, 23, 1
	v_mov_b32_e32 v8, v2
; %bb.2760:                             ;   in Loop: Header=BB4_2583 Depth=4
	s_or_b64 exec, exec, s[28:29]
	v_lshrrev_b64 v[8:9], 20, v[8:9]
	v_cmp_gt_i32_e32 vcc, 16, v6
	v_cndmask_b32_e32 v9, 0, v9, vcc
	v_cndmask_b32_e32 v8, 7, v8, vcc
	v_min_i32_e32 v2, 15, v6
	v_cmp_eq_u64_e64 s[28:29], 0, v[8:9]
	v_lshlrev_b32_e32 v2, 3, v2
	v_cmp_eq_u32_e32 vcc, 0, v6
	v_and_b32_e32 v2, 0xf8, v2
	v_and_or_b32 v2, v8, 7, v2
	s_and_b64 s[28:29], vcc, s[28:29]
	v_cndmask_b32_e64 v2, v2, 0, s[28:29]
	v_or_b32_e32 v28, v2, v4
.LBB4_2761:                             ;   in Loop: Header=BB4_2583 Depth=4
	s_or_b64 exec, exec, s[36:37]
                                        ; implicit-def: $vgpr4
.LBB4_2762:                             ;   in Loop: Header=BB4_2583 Depth=4
	s_andn2_saveexec_b64 s[28:29], s[34:35]
; %bb.2763:                             ;   in Loop: Header=BB4_2583 Depth=4
	v_or_b32_e32 v28, 0x7e, v4
; %bb.2764:                             ;   in Loop: Header=BB4_2583 Depth=4
	s_or_b64 exec, exec, s[28:29]
                                        ; implicit-def: $vgpr6
.LBB4_2765:                             ;   in Loop: Header=BB4_2583 Depth=4
	s_andn2_saveexec_b64 s[28:29], s[30:31]
; %bb.2766:                             ;   in Loop: Header=BB4_2583 Depth=4
	v_or_b32_sdwa v28, v6, s68 dst_sel:DWORD dst_unused:UNUSED_PAD src0_sel:BYTE_3 src1_sel:DWORD
; %bb.2767:                             ;   in Loop: Header=BB4_2583 Depth=4
	s_or_b64 exec, exec, s[28:29]
	v_cmp_ne_u16_sdwa vcc, v10, v3 src0_sel:BYTE_0 src1_sel:DWORD
	v_mov_b32_e32 v2, 0
	s_and_saveexec_b64 s[28:29], vcc
	s_cbranch_execz .LBB4_2773
; %bb.2768:                             ;   in Loop: Header=BB4_2583 Depth=4
	v_cmp_ne_u16_sdwa vcc, v10, s70 src0_sel:BYTE_0 src1_sel:DWORD
	v_bfrev_b32_e32 v2, 1
	s_and_saveexec_b64 s[30:31], vcc
	s_cbranch_execz .LBB4_2772
; %bb.2769:                             ;   in Loop: Header=BB4_2583 Depth=4
	v_and_b32_e32 v4, 0x7f, v10
	v_cmp_ne_u32_e32 vcc, s68, v4
	v_mov_b32_e32 v2, 0x7f800001
	s_and_saveexec_b64 s[34:35], vcc
	s_cbranch_execz .LBB4_2771
; %bb.2770:                             ;   in Loop: Header=BB4_2583 Depth=4
	v_and_b32_e32 v2, 7, v10
	v_ffbh_u32_e32 v2, v2
	v_min_u32_e32 v2, 32, v2
	v_lshrrev_b32_e32 v6, 3, v4
	v_cmp_gt_u32_e32 vcc, 8, v4
	v_subrev_u32_e32 v4, 28, v2
	v_cndmask_b32_e32 v4, 0, v4, vcc
	v_lshlrev_b64 v[8:9], v4, v[10:11]
	v_sub_u32_e32 v2, 29, v2
	v_cndmask_b32_e32 v2, v6, v2, vcc
	v_lshlrev_b32_e32 v4, 20, v8
	v_lshlrev_b32_e32 v6, 24, v10
	v_and_b32_e32 v4, 0x700000, v4
	v_and_b32_e32 v6, 0x80000000, v6
	v_lshl_add_u32 v2, v2, 23, v5
	v_or3_b32 v2, v6, v2, v4
.LBB4_2771:                             ;   in Loop: Header=BB4_2583 Depth=4
	s_or_b64 exec, exec, s[34:35]
.LBB4_2772:                             ;   in Loop: Header=BB4_2583 Depth=4
	s_or_b64 exec, exec, s[30:31]
.LBB4_2773:                             ;   in Loop: Header=BB4_2583 Depth=4
	s_or_b64 exec, exec, s[28:29]
	v_mul_f32_e32 v6, v7, v2
	v_and_b32_e32 v2, 0x7f800000, v6
	v_cmp_ne_u64_e32 vcc, s[62:63], v[2:3]
                                        ; implicit-def: $vgpr21
	s_and_saveexec_b64 s[28:29], vcc
	s_xor_b64 s[30:31], exec, s[28:29]
	s_cbranch_execz .LBB4_2787
; %bb.2774:                             ;   in Loop: Header=BB4_2583 Depth=4
	v_and_b32_e32 v2, 0x7fffffff, v6
	v_cmp_gt_u64_e32 vcc, s[72:73], v[2:3]
	v_and_b32_sdwa v4, v6, s70 dst_sel:DWORD dst_unused:UNUSED_PAD src0_sel:BYTE_3 src1_sel:DWORD
                                        ; implicit-def: $vgpr21
	s_and_saveexec_b64 s[28:29], vcc
	s_xor_b64 s[34:35], exec, s[28:29]
	s_cbranch_execz .LBB4_2784
; %bb.2775:                             ;   in Loop: Header=BB4_2583 Depth=4
	v_mov_b32_e32 v21, 0
	v_cmp_ne_u32_e32 vcc, 0, v6
	s_and_saveexec_b64 s[36:37], vcc
	s_cbranch_execz .LBB4_2783
; %bb.2776:                             ;   in Loop: Header=BB4_2583 Depth=4
	v_and_b32_e32 v2, 0x7fffff, v6
	v_bfe_u32 v6, v6, 23, 8
	v_cmp_gt_u32_e64 s[28:29], s71, v6
	v_sub_u32_e32 v8, 0x79, v6
	v_cmp_eq_u32_e32 vcc, 0, v6
	v_cndmask_b32_e64 v8, 0, v8, s[28:29]
	v_mov_b32_e32 v12, 0x78
	v_cndmask_b32_e32 v14, v8, v12, vcc
	v_or_b32_e32 v9, 0x800000, v2
	v_add_u32_e32 v8, 20, v14
	v_cndmask_b32_e32 v2, v9, v2, vcc
	v_lshlrev_b64 v[8:9], v8, -1
	v_add_u32_e32 v12, 19, v14
	v_lshlrev_b64 v[12:13], v12, 1
	v_bfi_b32 v9, v9, 0, 0
	v_bfi_b32 v8, v8, 0, v2
	v_cmp_eq_u64_e64 s[28:29], v[8:9], v[12:13]
	v_lshrrev_b64 v[8:9], v14, v[2:3]
	v_mov_b32_e32 v13, v9
	v_mov_b32_e32 v12, v8
	s_and_saveexec_b64 s[38:39], s[28:29]
; %bb.2777:                             ;   in Loop: Header=BB4_2583 Depth=4
	v_bfe_u32 v2, v8, 20, 1
	v_add_co_u32_e64 v2, s[28:29], v8, v2
	v_add_co_u32_e64 v12, s[28:29], -1, v2
; %bb.2778:                             ;   in Loop: Header=BB4_2583 Depth=4
	s_or_b64 exec, exec, s[38:39]
	v_add_u32_e32 v2, 0xffffff81, v6
	v_mov_b32_e32 v6, 0xffffff82
	v_cndmask_b32_e32 v2, v2, v6, vcc
	v_lshrrev_b32_e32 v6, 23, v8
	v_add3_u32 v14, v14, v2, v6
	v_add_u32_e32 v13, 6, v14
	v_and_b32_e32 v2, 0xfffff, v12
	v_add_u32_e32 v2, v2, v8
	v_cmp_ne_u32_e32 vcc, 0, v13
                                        ; implicit-def: $vgpr8_vgpr9
                                        ; implicit-def: $vgpr6
	s_and_saveexec_b64 s[28:29], vcc
	s_xor_b64 s[28:29], exec, s[28:29]
; %bb.2779:                             ;   in Loop: Header=BB4_2583 Depth=4
	v_cmp_lt_u64_e32 vcc, s[74:75], v[2:3]
	v_add_u32_e32 v6, 7, v14
	v_cndmask_b32_e64 v8, 0, 1, vcc
	v_cndmask_b32_e32 v6, v13, v6, vcc
	v_lshrrev_b64 v[8:9], v8, v[2:3]
; %bb.2780:                             ;   in Loop: Header=BB4_2583 Depth=4
	s_andn2_saveexec_b64 s[28:29], s[28:29]
; %bb.2781:                             ;   in Loop: Header=BB4_2583 Depth=4
	v_mov_b32_e32 v9, v3
	v_bfe_u32 v6, v2, 23, 1
	v_mov_b32_e32 v8, v2
; %bb.2782:                             ;   in Loop: Header=BB4_2583 Depth=4
	s_or_b64 exec, exec, s[28:29]
	v_lshrrev_b64 v[8:9], 20, v[8:9]
	v_cmp_gt_i32_e32 vcc, 16, v6
	v_cndmask_b32_e32 v9, 0, v9, vcc
	v_cndmask_b32_e32 v8, 7, v8, vcc
	v_min_i32_e32 v2, 15, v6
	v_cmp_eq_u64_e64 s[28:29], 0, v[8:9]
	v_lshlrev_b32_e32 v2, 3, v2
	v_cmp_eq_u32_e32 vcc, 0, v6
	v_and_b32_e32 v2, 0xf8, v2
	v_and_or_b32 v2, v8, 7, v2
	s_and_b64 s[28:29], vcc, s[28:29]
	v_cndmask_b32_e64 v2, v2, 0, s[28:29]
	v_or_b32_e32 v21, v2, v4
.LBB4_2783:                             ;   in Loop: Header=BB4_2583 Depth=4
	s_or_b64 exec, exec, s[36:37]
                                        ; implicit-def: $vgpr4
.LBB4_2784:                             ;   in Loop: Header=BB4_2583 Depth=4
	s_andn2_saveexec_b64 s[28:29], s[34:35]
; %bb.2785:                             ;   in Loop: Header=BB4_2583 Depth=4
	v_or_b32_e32 v21, 0x7e, v4
; %bb.2786:                             ;   in Loop: Header=BB4_2583 Depth=4
	s_or_b64 exec, exec, s[28:29]
                                        ; implicit-def: $vgpr6
.LBB4_2787:                             ;   in Loop: Header=BB4_2583 Depth=4
	s_andn2_saveexec_b64 s[28:29], s[30:31]
; %bb.2788:                             ;   in Loop: Header=BB4_2583 Depth=4
	v_or_b32_sdwa v21, v6, s68 dst_sel:DWORD dst_unused:UNUSED_PAD src0_sel:BYTE_3 src1_sel:DWORD
; %bb.2789:                             ;   in Loop: Header=BB4_2583 Depth=4
	s_or_b64 exec, exec, s[28:29]
	v_lshrrev_b16_e32 v2, 8, v10
	v_cmp_ne_u16_e32 vcc, 0, v2
	v_mov_b32_e32 v4, 0
	s_and_saveexec_b64 s[28:29], vcc
	s_cbranch_execz .LBB4_2795
; %bb.2790:                             ;   in Loop: Header=BB4_2583 Depth=4
	v_cmp_ne_u16_e32 vcc, s70, v2
	v_bfrev_b32_e32 v4, 1
	s_and_saveexec_b64 s[30:31], vcc
	s_cbranch_execz .LBB4_2794
; %bb.2791:                             ;   in Loop: Header=BB4_2583 Depth=4
	v_and_b32_e32 v6, 0x7f, v2
	v_cmp_ne_u32_e32 vcc, s68, v6
	v_mov_b32_e32 v4, 0x7f800001
	s_and_saveexec_b64 s[34:35], vcc
	s_cbranch_execz .LBB4_2793
; %bb.2792:                             ;   in Loop: Header=BB4_2583 Depth=4
	v_and_b32_e32 v4, 7, v2
	v_lshrrev_b32_e32 v12, 3, v6
	v_cmp_gt_u32_e32 vcc, 8, v6
	v_ffbh_u32_e32 v6, v4
	v_min_u32_e32 v6, 32, v6
	v_subrev_u32_e32 v8, 28, v6
	v_lshlrev_b64 v[8:9], v8, v[2:3]
	v_sub_u32_e32 v2, 29, v6
	v_and_b32_e32 v6, 7, v8
	v_cndmask_b32_e32 v2, v12, v2, vcc
	v_cndmask_b32_e32 v4, v4, v6, vcc
	v_lshlrev_b32_e32 v6, 16, v10
	v_lshlrev_b32_e32 v4, 20, v4
	v_and_b32_e32 v6, 0x80000000, v6
	v_lshl_add_u32 v2, v2, 23, v5
	v_or3_b32 v4, v6, v2, v4
.LBB4_2793:                             ;   in Loop: Header=BB4_2583 Depth=4
	s_or_b64 exec, exec, s[34:35]
.LBB4_2794:                             ;   in Loop: Header=BB4_2583 Depth=4
	s_or_b64 exec, exec, s[30:31]
.LBB4_2795:                             ;   in Loop: Header=BB4_2583 Depth=4
	s_or_b64 exec, exec, s[28:29]
	v_mul_f32_e32 v6, v7, v4
	v_and_b32_e32 v2, 0x7f800000, v6
	v_cmp_ne_u64_e32 vcc, s[62:63], v[2:3]
                                        ; implicit-def: $vgpr42
	s_and_saveexec_b64 s[28:29], vcc
	s_xor_b64 s[30:31], exec, s[28:29]
	s_cbranch_execz .LBB4_2809
; %bb.2796:                             ;   in Loop: Header=BB4_2583 Depth=4
	v_and_b32_e32 v2, 0x7fffffff, v6
	v_cmp_gt_u64_e32 vcc, s[72:73], v[2:3]
	v_and_b32_sdwa v4, v6, s70 dst_sel:DWORD dst_unused:UNUSED_PAD src0_sel:BYTE_3 src1_sel:DWORD
                                        ; implicit-def: $vgpr42
	s_and_saveexec_b64 s[28:29], vcc
	s_xor_b64 s[34:35], exec, s[28:29]
	s_cbranch_execz .LBB4_2806
; %bb.2797:                             ;   in Loop: Header=BB4_2583 Depth=4
	v_mov_b32_e32 v42, 0
	v_cmp_ne_u32_e32 vcc, 0, v6
	s_and_saveexec_b64 s[36:37], vcc
	s_cbranch_execz .LBB4_2805
; %bb.2798:                             ;   in Loop: Header=BB4_2583 Depth=4
	v_and_b32_e32 v2, 0x7fffff, v6
	v_bfe_u32 v6, v6, 23, 8
	v_cmp_gt_u32_e64 s[28:29], s71, v6
	v_sub_u32_e32 v8, 0x79, v6
	v_cmp_eq_u32_e32 vcc, 0, v6
	v_cndmask_b32_e64 v8, 0, v8, s[28:29]
	v_mov_b32_e32 v12, 0x78
	v_cndmask_b32_e32 v14, v8, v12, vcc
	v_or_b32_e32 v9, 0x800000, v2
	v_add_u32_e32 v8, 20, v14
	v_cndmask_b32_e32 v2, v9, v2, vcc
	v_lshlrev_b64 v[8:9], v8, -1
	v_add_u32_e32 v12, 19, v14
	v_lshlrev_b64 v[12:13], v12, 1
	v_bfi_b32 v9, v9, 0, 0
	v_bfi_b32 v8, v8, 0, v2
	v_cmp_eq_u64_e64 s[28:29], v[8:9], v[12:13]
	v_lshrrev_b64 v[8:9], v14, v[2:3]
	v_mov_b32_e32 v13, v9
	v_mov_b32_e32 v12, v8
	s_and_saveexec_b64 s[38:39], s[28:29]
; %bb.2799:                             ;   in Loop: Header=BB4_2583 Depth=4
	v_bfe_u32 v2, v8, 20, 1
	v_add_co_u32_e64 v2, s[28:29], v8, v2
	v_add_co_u32_e64 v12, s[28:29], -1, v2
; %bb.2800:                             ;   in Loop: Header=BB4_2583 Depth=4
	s_or_b64 exec, exec, s[38:39]
	v_add_u32_e32 v2, 0xffffff81, v6
	v_mov_b32_e32 v6, 0xffffff82
	v_cndmask_b32_e32 v2, v2, v6, vcc
	v_lshrrev_b32_e32 v6, 23, v8
	v_add3_u32 v14, v14, v2, v6
	v_add_u32_e32 v13, 6, v14
	v_and_b32_e32 v2, 0xfffff, v12
	v_add_u32_e32 v2, v2, v8
	v_cmp_ne_u32_e32 vcc, 0, v13
                                        ; implicit-def: $vgpr8_vgpr9
                                        ; implicit-def: $vgpr6
	s_and_saveexec_b64 s[28:29], vcc
	s_xor_b64 s[28:29], exec, s[28:29]
; %bb.2801:                             ;   in Loop: Header=BB4_2583 Depth=4
	v_cmp_lt_u64_e32 vcc, s[74:75], v[2:3]
	v_add_u32_e32 v6, 7, v14
	v_cndmask_b32_e64 v8, 0, 1, vcc
	v_cndmask_b32_e32 v6, v13, v6, vcc
	v_lshrrev_b64 v[8:9], v8, v[2:3]
; %bb.2802:                             ;   in Loop: Header=BB4_2583 Depth=4
	s_andn2_saveexec_b64 s[28:29], s[28:29]
; %bb.2803:                             ;   in Loop: Header=BB4_2583 Depth=4
	v_mov_b32_e32 v9, v3
	v_bfe_u32 v6, v2, 23, 1
	v_mov_b32_e32 v8, v2
; %bb.2804:                             ;   in Loop: Header=BB4_2583 Depth=4
	s_or_b64 exec, exec, s[28:29]
	v_lshrrev_b64 v[8:9], 20, v[8:9]
	v_cmp_gt_i32_e32 vcc, 16, v6
	v_cndmask_b32_e32 v9, 0, v9, vcc
	v_cndmask_b32_e32 v8, 7, v8, vcc
	v_min_i32_e32 v2, 15, v6
	v_cmp_eq_u64_e64 s[28:29], 0, v[8:9]
	v_lshlrev_b32_e32 v2, 3, v2
	v_cmp_eq_u32_e32 vcc, 0, v6
	v_and_b32_e32 v2, 0xf8, v2
	v_and_or_b32 v2, v8, 7, v2
	s_and_b64 s[28:29], vcc, s[28:29]
	v_cndmask_b32_e64 v2, v2, 0, s[28:29]
	v_or_b32_e32 v42, v2, v4
.LBB4_2805:                             ;   in Loop: Header=BB4_2583 Depth=4
	s_or_b64 exec, exec, s[36:37]
                                        ; implicit-def: $vgpr4
.LBB4_2806:                             ;   in Loop: Header=BB4_2583 Depth=4
	s_andn2_saveexec_b64 s[28:29], s[34:35]
; %bb.2807:                             ;   in Loop: Header=BB4_2583 Depth=4
	v_or_b32_e32 v42, 0x7e, v4
; %bb.2808:                             ;   in Loop: Header=BB4_2583 Depth=4
	s_or_b64 exec, exec, s[28:29]
                                        ; implicit-def: $vgpr6
.LBB4_2809:                             ;   in Loop: Header=BB4_2583 Depth=4
	s_andn2_saveexec_b64 s[28:29], s[30:31]
; %bb.2810:                             ;   in Loop: Header=BB4_2583 Depth=4
	v_or_b32_sdwa v42, v6, s68 dst_sel:DWORD dst_unused:UNUSED_PAD src0_sel:BYTE_3 src1_sel:DWORD
; %bb.2811:                             ;   in Loop: Header=BB4_2583 Depth=4
	s_or_b64 exec, exec, s[28:29]
	v_lshrrev_b32_e32 v2, 16, v10
	v_cmp_ne_u16_sdwa vcc, v2, v3 src0_sel:BYTE_0 src1_sel:DWORD
	v_mov_b32_e32 v4, 0
	s_and_saveexec_b64 s[28:29], vcc
	s_cbranch_execz .LBB4_2817
; %bb.2812:                             ;   in Loop: Header=BB4_2583 Depth=4
	v_cmp_ne_u16_sdwa vcc, v2, s70 src0_sel:BYTE_0 src1_sel:DWORD
	v_bfrev_b32_e32 v4, 1
	s_and_saveexec_b64 s[30:31], vcc
	s_cbranch_execz .LBB4_2816
; %bb.2813:                             ;   in Loop: Header=BB4_2583 Depth=4
	v_bfe_u32 v6, v10, 16, 7
	v_cmp_ne_u32_e32 vcc, s68, v6
	v_mov_b32_e32 v4, 0x7f800001
	s_and_saveexec_b64 s[34:35], vcc
	s_cbranch_execz .LBB4_2815
; %bb.2814:                             ;   in Loop: Header=BB4_2583 Depth=4
	v_and_b32_e32 v4, 7, v2
	v_lshrrev_b32_e32 v12, 3, v6
	v_cmp_gt_u32_e32 vcc, 8, v6
	v_ffbh_u32_e32 v6, v4
	v_min_u32_e32 v6, 32, v6
	v_subrev_u32_e32 v8, 28, v6
	v_lshlrev_b64 v[8:9], v8, v[2:3]
	v_sub_u32_e32 v6, 29, v6
	v_and_b32_e32 v8, 7, v8
	v_cndmask_b32_e32 v6, v12, v6, vcc
	v_cndmask_b32_e32 v4, v4, v8, vcc
	v_lshlrev_b32_e32 v2, 24, v2
	v_lshlrev_b32_e32 v4, 20, v4
	v_and_b32_e32 v2, 0x80000000, v2
	v_lshl_add_u32 v6, v6, 23, v5
	v_or3_b32 v4, v2, v6, v4
.LBB4_2815:                             ;   in Loop: Header=BB4_2583 Depth=4
	s_or_b64 exec, exec, s[34:35]
.LBB4_2816:                             ;   in Loop: Header=BB4_2583 Depth=4
	s_or_b64 exec, exec, s[30:31]
.LBB4_2817:                             ;   in Loop: Header=BB4_2583 Depth=4
	s_or_b64 exec, exec, s[28:29]
	v_mul_f32_e32 v6, v7, v4
	v_and_b32_e32 v2, 0x7f800000, v6
	v_cmp_ne_u64_e32 vcc, s[62:63], v[2:3]
                                        ; implicit-def: $vgpr48
	s_and_saveexec_b64 s[28:29], vcc
	s_xor_b64 s[30:31], exec, s[28:29]
	s_cbranch_execz .LBB4_2831
; %bb.2818:                             ;   in Loop: Header=BB4_2583 Depth=4
	v_and_b32_e32 v2, 0x7fffffff, v6
	v_cmp_gt_u64_e32 vcc, s[72:73], v[2:3]
	v_and_b32_sdwa v4, v6, s70 dst_sel:DWORD dst_unused:UNUSED_PAD src0_sel:BYTE_3 src1_sel:DWORD
                                        ; implicit-def: $vgpr48
	s_and_saveexec_b64 s[28:29], vcc
	s_xor_b64 s[34:35], exec, s[28:29]
	s_cbranch_execz .LBB4_2828
; %bb.2819:                             ;   in Loop: Header=BB4_2583 Depth=4
	v_mov_b32_e32 v48, 0
	v_cmp_ne_u32_e32 vcc, 0, v6
	s_and_saveexec_b64 s[36:37], vcc
	s_cbranch_execz .LBB4_2827
; %bb.2820:                             ;   in Loop: Header=BB4_2583 Depth=4
	v_and_b32_e32 v2, 0x7fffff, v6
	v_bfe_u32 v6, v6, 23, 8
	v_cmp_gt_u32_e64 s[28:29], s71, v6
	v_sub_u32_e32 v8, 0x79, v6
	v_cmp_eq_u32_e32 vcc, 0, v6
	v_cndmask_b32_e64 v8, 0, v8, s[28:29]
	v_mov_b32_e32 v12, 0x78
	v_cndmask_b32_e32 v14, v8, v12, vcc
	v_or_b32_e32 v9, 0x800000, v2
	v_add_u32_e32 v8, 20, v14
	v_cndmask_b32_e32 v2, v9, v2, vcc
	v_lshlrev_b64 v[8:9], v8, -1
	v_add_u32_e32 v12, 19, v14
	v_lshlrev_b64 v[12:13], v12, 1
	v_bfi_b32 v9, v9, 0, 0
	v_bfi_b32 v8, v8, 0, v2
	v_cmp_eq_u64_e64 s[28:29], v[8:9], v[12:13]
	v_lshrrev_b64 v[8:9], v14, v[2:3]
	v_mov_b32_e32 v13, v9
	v_mov_b32_e32 v12, v8
	s_and_saveexec_b64 s[38:39], s[28:29]
; %bb.2821:                             ;   in Loop: Header=BB4_2583 Depth=4
	v_bfe_u32 v2, v8, 20, 1
	v_add_co_u32_e64 v2, s[28:29], v8, v2
	v_add_co_u32_e64 v12, s[28:29], -1, v2
; %bb.2822:                             ;   in Loop: Header=BB4_2583 Depth=4
	s_or_b64 exec, exec, s[38:39]
	v_add_u32_e32 v2, 0xffffff81, v6
	v_mov_b32_e32 v6, 0xffffff82
	v_cndmask_b32_e32 v2, v2, v6, vcc
	v_lshrrev_b32_e32 v6, 23, v8
	v_add3_u32 v14, v14, v2, v6
	v_add_u32_e32 v13, 6, v14
	v_and_b32_e32 v2, 0xfffff, v12
	v_add_u32_e32 v2, v2, v8
	v_cmp_ne_u32_e32 vcc, 0, v13
                                        ; implicit-def: $vgpr8_vgpr9
                                        ; implicit-def: $vgpr6
	s_and_saveexec_b64 s[28:29], vcc
	s_xor_b64 s[28:29], exec, s[28:29]
; %bb.2823:                             ;   in Loop: Header=BB4_2583 Depth=4
	v_cmp_lt_u64_e32 vcc, s[74:75], v[2:3]
	v_add_u32_e32 v6, 7, v14
	v_cndmask_b32_e64 v8, 0, 1, vcc
	v_cndmask_b32_e32 v6, v13, v6, vcc
	v_lshrrev_b64 v[8:9], v8, v[2:3]
; %bb.2824:                             ;   in Loop: Header=BB4_2583 Depth=4
	s_andn2_saveexec_b64 s[28:29], s[28:29]
; %bb.2825:                             ;   in Loop: Header=BB4_2583 Depth=4
	v_mov_b32_e32 v9, v3
	v_bfe_u32 v6, v2, 23, 1
	v_mov_b32_e32 v8, v2
; %bb.2826:                             ;   in Loop: Header=BB4_2583 Depth=4
	s_or_b64 exec, exec, s[28:29]
	v_lshrrev_b64 v[8:9], 20, v[8:9]
	v_cmp_gt_i32_e32 vcc, 16, v6
	v_cndmask_b32_e32 v9, 0, v9, vcc
	v_cndmask_b32_e32 v8, 7, v8, vcc
	v_min_i32_e32 v2, 15, v6
	v_cmp_eq_u64_e64 s[28:29], 0, v[8:9]
	v_lshlrev_b32_e32 v2, 3, v2
	v_cmp_eq_u32_e32 vcc, 0, v6
	v_and_b32_e32 v2, 0xf8, v2
	v_and_or_b32 v2, v8, 7, v2
	s_and_b64 s[28:29], vcc, s[28:29]
	v_cndmask_b32_e64 v2, v2, 0, s[28:29]
	v_or_b32_e32 v48, v2, v4
.LBB4_2827:                             ;   in Loop: Header=BB4_2583 Depth=4
	s_or_b64 exec, exec, s[36:37]
                                        ; implicit-def: $vgpr4
.LBB4_2828:                             ;   in Loop: Header=BB4_2583 Depth=4
	s_andn2_saveexec_b64 s[28:29], s[34:35]
; %bb.2829:                             ;   in Loop: Header=BB4_2583 Depth=4
	v_or_b32_e32 v48, 0x7e, v4
; %bb.2830:                             ;   in Loop: Header=BB4_2583 Depth=4
	s_or_b64 exec, exec, s[28:29]
                                        ; implicit-def: $vgpr6
.LBB4_2831:                             ;   in Loop: Header=BB4_2583 Depth=4
	s_andn2_saveexec_b64 s[28:29], s[30:31]
; %bb.2832:                             ;   in Loop: Header=BB4_2583 Depth=4
	v_or_b32_sdwa v48, v6, s68 dst_sel:DWORD dst_unused:UNUSED_PAD src0_sel:BYTE_3 src1_sel:DWORD
; %bb.2833:                             ;   in Loop: Header=BB4_2583 Depth=4
	s_or_b64 exec, exec, s[28:29]
	v_cmp_lt_u32_e32 vcc, s57, v10
	v_mov_b32_e32 v4, 0
	s_and_saveexec_b64 s[28:29], vcc
	s_cbranch_execz .LBB4_2839
; %bb.2834:                             ;   in Loop: Header=BB4_2583 Depth=4
	v_lshrrev_b32_e32 v2, 24, v10
	v_cmp_ne_u32_e32 vcc, s70, v2
	v_bfrev_b32_e32 v4, 1
	s_and_saveexec_b64 s[30:31], vcc
	s_cbranch_execz .LBB4_2838
; %bb.2835:                             ;   in Loop: Header=BB4_2583 Depth=4
	v_bfe_u32 v6, v10, 24, 7
	v_cmp_ne_u32_e32 vcc, s68, v6
	v_mov_b32_e32 v4, 0x7f800001
	s_and_saveexec_b64 s[34:35], vcc
	s_cbranch_execz .LBB4_2837
; %bb.2836:                             ;   in Loop: Header=BB4_2583 Depth=4
	v_and_b32_e32 v4, 7, v2
	v_lshrrev_b32_e32 v12, 3, v6
	v_cmp_gt_u32_e32 vcc, 8, v6
	v_ffbh_u32_e32 v6, v4
	v_min_u32_e32 v6, 32, v6
	v_subrev_u32_e32 v8, 28, v6
	v_lshlrev_b64 v[8:9], v8, v[2:3]
	v_sub_u32_e32 v6, 29, v6
	v_and_b32_e32 v8, 7, v8
	v_cndmask_b32_e32 v6, v12, v6, vcc
	v_cndmask_b32_e32 v4, v4, v8, vcc
	v_lshlrev_b32_e32 v2, 24, v2
	v_lshlrev_b32_e32 v4, 20, v4
	v_and_b32_e32 v2, 0x80000000, v2
	v_lshl_add_u32 v6, v6, 23, v5
	v_or3_b32 v4, v2, v6, v4
.LBB4_2837:                             ;   in Loop: Header=BB4_2583 Depth=4
	s_or_b64 exec, exec, s[34:35]
.LBB4_2838:                             ;   in Loop: Header=BB4_2583 Depth=4
	s_or_b64 exec, exec, s[30:31]
.LBB4_2839:                             ;   in Loop: Header=BB4_2583 Depth=4
	s_or_b64 exec, exec, s[28:29]
	v_mul_f32_e32 v6, v7, v4
	v_and_b32_e32 v2, 0x7f800000, v6
	v_cmp_ne_u64_e32 vcc, s[62:63], v[2:3]
                                        ; implicit-def: $vgpr37
	s_and_saveexec_b64 s[28:29], vcc
	s_xor_b64 s[30:31], exec, s[28:29]
	s_cbranch_execz .LBB4_2853
; %bb.2840:                             ;   in Loop: Header=BB4_2583 Depth=4
	v_and_b32_e32 v2, 0x7fffffff, v6
	v_cmp_gt_u64_e32 vcc, s[72:73], v[2:3]
	v_and_b32_sdwa v4, v6, s70 dst_sel:DWORD dst_unused:UNUSED_PAD src0_sel:BYTE_3 src1_sel:DWORD
                                        ; implicit-def: $vgpr37
	s_and_saveexec_b64 s[28:29], vcc
	s_xor_b64 s[34:35], exec, s[28:29]
	s_cbranch_execz .LBB4_2850
; %bb.2841:                             ;   in Loop: Header=BB4_2583 Depth=4
	v_mov_b32_e32 v37, 0
	v_cmp_ne_u32_e32 vcc, 0, v6
	s_and_saveexec_b64 s[36:37], vcc
	s_cbranch_execz .LBB4_2849
; %bb.2842:                             ;   in Loop: Header=BB4_2583 Depth=4
	v_and_b32_e32 v2, 0x7fffff, v6
	v_bfe_u32 v6, v6, 23, 8
	v_cmp_gt_u32_e64 s[28:29], s71, v6
	v_sub_u32_e32 v8, 0x79, v6
	v_cmp_eq_u32_e32 vcc, 0, v6
	v_cndmask_b32_e64 v8, 0, v8, s[28:29]
	v_mov_b32_e32 v12, 0x78
	v_cndmask_b32_e32 v14, v8, v12, vcc
	v_or_b32_e32 v9, 0x800000, v2
	v_add_u32_e32 v8, 20, v14
	v_cndmask_b32_e32 v2, v9, v2, vcc
	v_lshlrev_b64 v[8:9], v8, -1
	v_add_u32_e32 v12, 19, v14
	v_lshlrev_b64 v[12:13], v12, 1
	v_bfi_b32 v9, v9, 0, 0
	v_bfi_b32 v8, v8, 0, v2
	v_cmp_eq_u64_e64 s[28:29], v[8:9], v[12:13]
	v_lshrrev_b64 v[8:9], v14, v[2:3]
	v_mov_b32_e32 v13, v9
	v_mov_b32_e32 v12, v8
	s_and_saveexec_b64 s[38:39], s[28:29]
; %bb.2843:                             ;   in Loop: Header=BB4_2583 Depth=4
	v_bfe_u32 v2, v8, 20, 1
	v_add_co_u32_e64 v2, s[28:29], v8, v2
	v_add_co_u32_e64 v12, s[28:29], -1, v2
; %bb.2844:                             ;   in Loop: Header=BB4_2583 Depth=4
	s_or_b64 exec, exec, s[38:39]
	v_add_u32_e32 v2, 0xffffff81, v6
	v_mov_b32_e32 v6, 0xffffff82
	v_cndmask_b32_e32 v2, v2, v6, vcc
	v_lshrrev_b32_e32 v6, 23, v8
	v_add3_u32 v14, v14, v2, v6
	v_add_u32_e32 v13, 6, v14
	v_and_b32_e32 v2, 0xfffff, v12
	v_add_u32_e32 v2, v2, v8
	v_cmp_ne_u32_e32 vcc, 0, v13
                                        ; implicit-def: $vgpr8_vgpr9
                                        ; implicit-def: $vgpr6
	s_and_saveexec_b64 s[28:29], vcc
	s_xor_b64 s[28:29], exec, s[28:29]
; %bb.2845:                             ;   in Loop: Header=BB4_2583 Depth=4
	v_cmp_lt_u64_e32 vcc, s[74:75], v[2:3]
	v_add_u32_e32 v6, 7, v14
	v_cndmask_b32_e64 v8, 0, 1, vcc
	v_cndmask_b32_e32 v6, v13, v6, vcc
	v_lshrrev_b64 v[8:9], v8, v[2:3]
; %bb.2846:                             ;   in Loop: Header=BB4_2583 Depth=4
	s_andn2_saveexec_b64 s[28:29], s[28:29]
; %bb.2847:                             ;   in Loop: Header=BB4_2583 Depth=4
	v_mov_b32_e32 v9, v3
	v_bfe_u32 v6, v2, 23, 1
	v_mov_b32_e32 v8, v2
; %bb.2848:                             ;   in Loop: Header=BB4_2583 Depth=4
	s_or_b64 exec, exec, s[28:29]
	v_lshrrev_b64 v[8:9], 20, v[8:9]
	v_cmp_gt_i32_e32 vcc, 16, v6
	v_cndmask_b32_e32 v9, 0, v9, vcc
	v_cndmask_b32_e32 v8, 7, v8, vcc
	v_min_i32_e32 v2, 15, v6
	v_cmp_eq_u64_e64 s[28:29], 0, v[8:9]
	v_lshlrev_b32_e32 v2, 3, v2
	v_cmp_eq_u32_e32 vcc, 0, v6
	v_and_b32_e32 v2, 0xf8, v2
	v_and_or_b32 v2, v8, 7, v2
	s_and_b64 s[28:29], vcc, s[28:29]
	v_cndmask_b32_e64 v2, v2, 0, s[28:29]
	v_or_b32_e32 v37, v2, v4
.LBB4_2849:                             ;   in Loop: Header=BB4_2583 Depth=4
	s_or_b64 exec, exec, s[36:37]
                                        ; implicit-def: $vgpr4
.LBB4_2850:                             ;   in Loop: Header=BB4_2583 Depth=4
	s_andn2_saveexec_b64 s[28:29], s[34:35]
; %bb.2851:                             ;   in Loop: Header=BB4_2583 Depth=4
	v_or_b32_e32 v37, 0x7e, v4
; %bb.2852:                             ;   in Loop: Header=BB4_2583 Depth=4
	s_or_b64 exec, exec, s[28:29]
                                        ; implicit-def: $vgpr6
.LBB4_2853:                             ;   in Loop: Header=BB4_2583 Depth=4
	s_andn2_saveexec_b64 s[28:29], s[30:31]
; %bb.2854:                             ;   in Loop: Header=BB4_2583 Depth=4
	v_or_b32_sdwa v37, v6, s68 dst_sel:DWORD dst_unused:UNUSED_PAD src0_sel:BYTE_3 src1_sel:DWORD
; %bb.2855:                             ;   in Loop: Header=BB4_2583 Depth=4
	s_or_b64 exec, exec, s[28:29]
	v_mov_b32_e32 v2, v11
	v_cmp_ne_u16_sdwa vcc, v11, v3 src0_sel:BYTE_0 src1_sel:DWORD
	v_mov_b32_e32 v4, 0
	s_and_saveexec_b64 s[28:29], vcc
	s_cbranch_execz .LBB4_2861
; %bb.2856:                             ;   in Loop: Header=BB4_2583 Depth=4
	v_cmp_ne_u16_sdwa vcc, v11, s70 src0_sel:BYTE_0 src1_sel:DWORD
	v_bfrev_b32_e32 v4, 1
	s_and_saveexec_b64 s[30:31], vcc
	s_cbranch_execz .LBB4_2860
; %bb.2857:                             ;   in Loop: Header=BB4_2583 Depth=4
	v_and_b32_e32 v6, 0x7f, v11
	v_cmp_ne_u32_e32 vcc, s68, v6
	v_mov_b32_e32 v4, 0x7f800001
	s_and_saveexec_b64 s[34:35], vcc
	s_cbranch_execz .LBB4_2859
; %bb.2858:                             ;   in Loop: Header=BB4_2583 Depth=4
	v_and_b32_e32 v4, 7, v11
	v_ffbh_u32_e32 v4, v4
	v_min_u32_e32 v4, 32, v4
	v_lshrrev_b32_e32 v8, 3, v6
	v_cmp_gt_u32_e32 vcc, 8, v6
	v_subrev_u32_e32 v6, 28, v4
	v_sub_u32_e32 v4, 29, v4
	v_cndmask_b32_e32 v6, 0, v6, vcc
	v_cndmask_b32_e32 v4, v8, v4, vcc
	v_lshlrev_b64 v[8:9], v6, v[2:3]
	v_lshl_add_u32 v4, v4, 23, v5
	v_lshlrev_b32_e32 v6, 20, v8
	v_lshlrev_b32_e32 v8, 24, v2
	v_and_b32_e32 v6, 0x700000, v6
	v_and_b32_e32 v8, 0x80000000, v8
	v_or3_b32 v4, v8, v4, v6
.LBB4_2859:                             ;   in Loop: Header=BB4_2583 Depth=4
	s_or_b64 exec, exec, s[34:35]
.LBB4_2860:                             ;   in Loop: Header=BB4_2583 Depth=4
	s_or_b64 exec, exec, s[30:31]
.LBB4_2861:                             ;   in Loop: Header=BB4_2583 Depth=4
	s_or_b64 exec, exec, s[28:29]
	v_mul_f32_e32 v6, v7, v4
	v_and_b32_e32 v8, 0x7f800000, v6
	v_mov_b32_e32 v9, v3
	v_cmp_ne_u64_e32 vcc, s[62:63], v[8:9]
                                        ; implicit-def: $vgpr54
	s_and_saveexec_b64 s[28:29], vcc
	s_xor_b64 s[30:31], exec, s[28:29]
	s_cbranch_execz .LBB4_2875
; %bb.2862:                             ;   in Loop: Header=BB4_2583 Depth=4
	v_and_b32_e32 v8, 0x7fffffff, v6
	v_mov_b32_e32 v9, v3
	v_cmp_gt_u64_e32 vcc, s[72:73], v[8:9]
	v_and_b32_sdwa v4, v6, s70 dst_sel:DWORD dst_unused:UNUSED_PAD src0_sel:BYTE_3 src1_sel:DWORD
                                        ; implicit-def: $vgpr54
	s_and_saveexec_b64 s[28:29], vcc
	s_xor_b64 s[34:35], exec, s[28:29]
	s_cbranch_execz .LBB4_2872
; %bb.2863:                             ;   in Loop: Header=BB4_2583 Depth=4
	v_mov_b32_e32 v54, 0
	v_cmp_ne_u32_e32 vcc, 0, v6
	s_and_saveexec_b64 s[36:37], vcc
	s_cbranch_execz .LBB4_2871
; %bb.2864:                             ;   in Loop: Header=BB4_2583 Depth=4
	v_and_b32_e32 v8, 0x7fffff, v6
	v_bfe_u32 v6, v6, 23, 8
	v_cmp_gt_u32_e64 s[28:29], s71, v6
	v_sub_u32_e32 v9, 0x79, v6
	v_cmp_eq_u32_e32 vcc, 0, v6
	v_cndmask_b32_e64 v9, 0, v9, s[28:29]
	v_mov_b32_e32 v13, 0x78
	v_or_b32_e32 v12, 0x800000, v8
	v_cndmask_b32_e32 v14, v9, v13, vcc
	v_cndmask_b32_e32 v8, v12, v8, vcc
	v_add_u32_e32 v12, 20, v14
	v_lshlrev_b64 v[12:13], v12, -1
	v_mov_b32_e32 v9, v3
	v_add_u32_e32 v15, 19, v14
	v_bfi_b32 v12, v12, 0, v8
	v_lshlrev_b64 v[15:16], v15, 1
	v_lshrrev_b64 v[8:9], v14, v[8:9]
	v_bfi_b32 v13, v13, 0, 0
	v_cmp_eq_u64_e64 s[28:29], v[12:13], v[15:16]
	v_mov_b32_e32 v13, v9
	v_mov_b32_e32 v12, v8
	s_and_saveexec_b64 s[38:39], s[28:29]
; %bb.2865:                             ;   in Loop: Header=BB4_2583 Depth=4
	v_bfe_u32 v9, v8, 20, 1
	v_add_co_u32_e64 v9, s[28:29], v8, v9
	v_add_co_u32_e64 v12, s[28:29], -1, v9
; %bb.2866:                             ;   in Loop: Header=BB4_2583 Depth=4
	s_or_b64 exec, exec, s[38:39]
	v_add_u32_e32 v6, 0xffffff81, v6
	v_mov_b32_e32 v9, 0xffffff82
	v_cndmask_b32_e32 v6, v6, v9, vcc
	v_lshrrev_b32_e32 v9, 23, v8
	v_add3_u32 v14, v14, v6, v9
	v_add_u32_e32 v13, 6, v14
	v_and_b32_e32 v6, 0xfffff, v12
	v_add_u32_e32 v8, v6, v8
	v_mov_b32_e32 v9, v3
	v_cmp_ne_u32_e32 vcc, 0, v13
                                        ; implicit-def: $vgpr6
	s_and_saveexec_b64 s[28:29], vcc
	s_xor_b64 s[28:29], exec, s[28:29]
; %bb.2867:                             ;   in Loop: Header=BB4_2583 Depth=4
	v_cmp_lt_u64_e32 vcc, s[74:75], v[8:9]
	v_add_u32_e32 v6, 7, v14
	v_cndmask_b32_e64 v12, 0, 1, vcc
	v_cndmask_b32_e32 v6, v13, v6, vcc
	v_lshrrev_b64 v[8:9], v12, v[8:9]
; %bb.2868:                             ;   in Loop: Header=BB4_2583 Depth=4
	s_andn2_saveexec_b64 s[28:29], s[28:29]
; %bb.2869:                             ;   in Loop: Header=BB4_2583 Depth=4
	v_bfe_u32 v6, v8, 23, 1
; %bb.2870:                             ;   in Loop: Header=BB4_2583 Depth=4
	s_or_b64 exec, exec, s[28:29]
	v_lshrrev_b64 v[8:9], 20, v[8:9]
	v_cmp_gt_i32_e32 vcc, 16, v6
	v_cndmask_b32_e32 v9, 0, v9, vcc
	v_cndmask_b32_e32 v8, 7, v8, vcc
	v_cmp_eq_u32_e32 vcc, 0, v6
	v_min_i32_e32 v6, 15, v6
	v_cmp_eq_u64_e64 s[28:29], 0, v[8:9]
	v_lshlrev_b32_e32 v6, 3, v6
	v_and_b32_e32 v6, 0xf8, v6
	v_and_or_b32 v6, v8, 7, v6
	s_and_b64 s[28:29], vcc, s[28:29]
	v_cndmask_b32_e64 v6, v6, 0, s[28:29]
	v_or_b32_e32 v54, v6, v4
.LBB4_2871:                             ;   in Loop: Header=BB4_2583 Depth=4
	s_or_b64 exec, exec, s[36:37]
                                        ; implicit-def: $vgpr4
.LBB4_2872:                             ;   in Loop: Header=BB4_2583 Depth=4
	s_andn2_saveexec_b64 s[28:29], s[34:35]
; %bb.2873:                             ;   in Loop: Header=BB4_2583 Depth=4
	v_or_b32_e32 v54, 0x7e, v4
; %bb.2874:                             ;   in Loop: Header=BB4_2583 Depth=4
	s_or_b64 exec, exec, s[28:29]
                                        ; implicit-def: $vgpr6
.LBB4_2875:                             ;   in Loop: Header=BB4_2583 Depth=4
	s_andn2_saveexec_b64 s[28:29], s[30:31]
; %bb.2876:                             ;   in Loop: Header=BB4_2583 Depth=4
	v_or_b32_sdwa v54, v6, s68 dst_sel:DWORD dst_unused:UNUSED_PAD src0_sel:BYTE_3 src1_sel:DWORD
; %bb.2877:                             ;   in Loop: Header=BB4_2583 Depth=4
	s_or_b64 exec, exec, s[28:29]
	v_lshrrev_b16_e32 v8, 8, v2
	v_cmp_ne_u16_e32 vcc, 0, v8
	v_mov_b32_e32 v4, 0
	s_and_saveexec_b64 s[28:29], vcc
	s_cbranch_execz .LBB4_2883
; %bb.2878:                             ;   in Loop: Header=BB4_2583 Depth=4
	v_cmp_ne_u16_e32 vcc, s70, v8
	v_bfrev_b32_e32 v4, 1
	s_and_saveexec_b64 s[30:31], vcc
	s_cbranch_execz .LBB4_2882
; %bb.2879:                             ;   in Loop: Header=BB4_2583 Depth=4
	v_and_b32_e32 v6, 0x7f, v8
	v_cmp_ne_u32_e32 vcc, s68, v6
	v_mov_b32_e32 v4, 0x7f800001
	s_and_saveexec_b64 s[34:35], vcc
	s_cbranch_execz .LBB4_2881
; %bb.2880:                             ;   in Loop: Header=BB4_2583 Depth=4
	v_and_b32_e32 v4, 7, v8
	v_lshrrev_b32_e32 v12, 3, v6
	v_cmp_gt_u32_e32 vcc, 8, v6
	v_ffbh_u32_e32 v6, v4
	v_min_u32_e32 v6, 32, v6
	v_subrev_u32_e32 v9, 28, v6
	v_lshlrev_b64 v[8:9], v9, v[8:9]
	v_sub_u32_e32 v6, 29, v6
	v_and_b32_e32 v8, 7, v8
	v_cndmask_b32_e32 v6, v12, v6, vcc
	v_cndmask_b32_e32 v4, v4, v8, vcc
	v_lshlrev_b32_e32 v2, 16, v2
	v_lshlrev_b32_e32 v4, 20, v4
	v_and_b32_e32 v2, 0x80000000, v2
	v_lshl_add_u32 v6, v6, 23, v5
	v_or3_b32 v4, v2, v6, v4
.LBB4_2881:                             ;   in Loop: Header=BB4_2583 Depth=4
	s_or_b64 exec, exec, s[34:35]
.LBB4_2882:                             ;   in Loop: Header=BB4_2583 Depth=4
	s_or_b64 exec, exec, s[30:31]
.LBB4_2883:                             ;   in Loop: Header=BB4_2583 Depth=4
	s_or_b64 exec, exec, s[28:29]
	v_mul_f32_e32 v6, v7, v4
	v_and_b32_e32 v2, 0x7f800000, v6
	v_cmp_ne_u64_e32 vcc, s[62:63], v[2:3]
                                        ; implicit-def: $vgpr40
	s_and_saveexec_b64 s[28:29], vcc
	s_xor_b64 s[30:31], exec, s[28:29]
	s_cbranch_execz .LBB4_2897
; %bb.2884:                             ;   in Loop: Header=BB4_2583 Depth=4
	v_and_b32_e32 v2, 0x7fffffff, v6
	v_cmp_gt_u64_e32 vcc, s[72:73], v[2:3]
	v_and_b32_sdwa v4, v6, s70 dst_sel:DWORD dst_unused:UNUSED_PAD src0_sel:BYTE_3 src1_sel:DWORD
                                        ; implicit-def: $vgpr40
	s_and_saveexec_b64 s[28:29], vcc
	s_xor_b64 s[34:35], exec, s[28:29]
	s_cbranch_execz .LBB4_2894
; %bb.2885:                             ;   in Loop: Header=BB4_2583 Depth=4
	v_mov_b32_e32 v40, 0
	v_cmp_ne_u32_e32 vcc, 0, v6
	s_and_saveexec_b64 s[36:37], vcc
	s_cbranch_execz .LBB4_2893
; %bb.2886:                             ;   in Loop: Header=BB4_2583 Depth=4
	v_and_b32_e32 v2, 0x7fffff, v6
	v_bfe_u32 v6, v6, 23, 8
	v_cmp_gt_u32_e64 s[28:29], s71, v6
	v_sub_u32_e32 v8, 0x79, v6
	v_cmp_eq_u32_e32 vcc, 0, v6
	v_cndmask_b32_e64 v8, 0, v8, s[28:29]
	v_mov_b32_e32 v12, 0x78
	v_cndmask_b32_e32 v14, v8, v12, vcc
	v_or_b32_e32 v9, 0x800000, v2
	v_add_u32_e32 v8, 20, v14
	v_cndmask_b32_e32 v2, v9, v2, vcc
	v_lshlrev_b64 v[8:9], v8, -1
	v_add_u32_e32 v12, 19, v14
	v_lshlrev_b64 v[12:13], v12, 1
	v_bfi_b32 v9, v9, 0, 0
	v_bfi_b32 v8, v8, 0, v2
	v_cmp_eq_u64_e64 s[28:29], v[8:9], v[12:13]
	v_lshrrev_b64 v[8:9], v14, v[2:3]
	v_mov_b32_e32 v13, v9
	v_mov_b32_e32 v12, v8
	s_and_saveexec_b64 s[38:39], s[28:29]
; %bb.2887:                             ;   in Loop: Header=BB4_2583 Depth=4
	v_bfe_u32 v2, v8, 20, 1
	v_add_co_u32_e64 v2, s[28:29], v8, v2
	v_add_co_u32_e64 v12, s[28:29], -1, v2
; %bb.2888:                             ;   in Loop: Header=BB4_2583 Depth=4
	s_or_b64 exec, exec, s[38:39]
	v_add_u32_e32 v2, 0xffffff81, v6
	v_mov_b32_e32 v6, 0xffffff82
	v_cndmask_b32_e32 v2, v2, v6, vcc
	v_lshrrev_b32_e32 v6, 23, v8
	v_add3_u32 v14, v14, v2, v6
	v_add_u32_e32 v13, 6, v14
	v_and_b32_e32 v2, 0xfffff, v12
	v_add_u32_e32 v2, v2, v8
	v_cmp_ne_u32_e32 vcc, 0, v13
                                        ; implicit-def: $vgpr8_vgpr9
                                        ; implicit-def: $vgpr6
	s_and_saveexec_b64 s[28:29], vcc
	s_xor_b64 s[28:29], exec, s[28:29]
; %bb.2889:                             ;   in Loop: Header=BB4_2583 Depth=4
	v_cmp_lt_u64_e32 vcc, s[74:75], v[2:3]
	v_add_u32_e32 v6, 7, v14
	v_cndmask_b32_e64 v8, 0, 1, vcc
	v_cndmask_b32_e32 v6, v13, v6, vcc
	v_lshrrev_b64 v[8:9], v8, v[2:3]
; %bb.2890:                             ;   in Loop: Header=BB4_2583 Depth=4
	s_andn2_saveexec_b64 s[28:29], s[28:29]
; %bb.2891:                             ;   in Loop: Header=BB4_2583 Depth=4
	v_mov_b32_e32 v9, v3
	v_bfe_u32 v6, v2, 23, 1
	v_mov_b32_e32 v8, v2
; %bb.2892:                             ;   in Loop: Header=BB4_2583 Depth=4
	s_or_b64 exec, exec, s[28:29]
	v_lshrrev_b64 v[8:9], 20, v[8:9]
	v_cmp_gt_i32_e32 vcc, 16, v6
	v_cndmask_b32_e32 v9, 0, v9, vcc
	v_cndmask_b32_e32 v8, 7, v8, vcc
	v_min_i32_e32 v2, 15, v6
	v_cmp_eq_u64_e64 s[28:29], 0, v[8:9]
	v_lshlrev_b32_e32 v2, 3, v2
	v_cmp_eq_u32_e32 vcc, 0, v6
	v_and_b32_e32 v2, 0xf8, v2
	v_and_or_b32 v2, v8, 7, v2
	s_and_b64 s[28:29], vcc, s[28:29]
	v_cndmask_b32_e64 v2, v2, 0, s[28:29]
	v_or_b32_e32 v40, v2, v4
.LBB4_2893:                             ;   in Loop: Header=BB4_2583 Depth=4
	s_or_b64 exec, exec, s[36:37]
                                        ; implicit-def: $vgpr4
.LBB4_2894:                             ;   in Loop: Header=BB4_2583 Depth=4
	s_andn2_saveexec_b64 s[28:29], s[34:35]
; %bb.2895:                             ;   in Loop: Header=BB4_2583 Depth=4
	v_or_b32_e32 v40, 0x7e, v4
; %bb.2896:                             ;   in Loop: Header=BB4_2583 Depth=4
	s_or_b64 exec, exec, s[28:29]
                                        ; implicit-def: $vgpr6
.LBB4_2897:                             ;   in Loop: Header=BB4_2583 Depth=4
	s_andn2_saveexec_b64 s[28:29], s[30:31]
; %bb.2898:                             ;   in Loop: Header=BB4_2583 Depth=4
	v_or_b32_sdwa v40, v6, s68 dst_sel:DWORD dst_unused:UNUSED_PAD src0_sel:BYTE_3 src1_sel:DWORD
; %bb.2899:                             ;   in Loop: Header=BB4_2583 Depth=4
	s_or_b64 exec, exec, s[28:29]
	v_lshrrev_b32_e32 v2, 16, v11
	v_cmp_ne_u16_sdwa vcc, v2, v3 src0_sel:BYTE_0 src1_sel:DWORD
	v_mov_b32_e32 v4, 0
	s_and_saveexec_b64 s[28:29], vcc
	s_cbranch_execz .LBB4_2905
; %bb.2900:                             ;   in Loop: Header=BB4_2583 Depth=4
	v_cmp_ne_u16_sdwa vcc, v2, s70 src0_sel:BYTE_0 src1_sel:DWORD
	v_bfrev_b32_e32 v4, 1
	s_and_saveexec_b64 s[30:31], vcc
	s_cbranch_execz .LBB4_2904
; %bb.2901:                             ;   in Loop: Header=BB4_2583 Depth=4
	v_bfe_u32 v6, v11, 16, 7
	v_cmp_ne_u32_e32 vcc, s68, v6
	v_mov_b32_e32 v4, 0x7f800001
	s_and_saveexec_b64 s[34:35], vcc
	s_cbranch_execz .LBB4_2903
; %bb.2902:                             ;   in Loop: Header=BB4_2583 Depth=4
	v_and_b32_e32 v4, 7, v2
	v_lshrrev_b32_e32 v12, 3, v6
	v_cmp_gt_u32_e32 vcc, 8, v6
	v_ffbh_u32_e32 v6, v4
	v_min_u32_e32 v6, 32, v6
	v_subrev_u32_e32 v8, 28, v6
	v_lshlrev_b64 v[8:9], v8, v[2:3]
	v_sub_u32_e32 v6, 29, v6
	v_and_b32_e32 v8, 7, v8
	v_cndmask_b32_e32 v6, v12, v6, vcc
	v_cndmask_b32_e32 v4, v4, v8, vcc
	v_lshlrev_b32_e32 v2, 24, v2
	v_lshlrev_b32_e32 v4, 20, v4
	v_and_b32_e32 v2, 0x80000000, v2
	v_lshl_add_u32 v6, v6, 23, v5
	v_or3_b32 v4, v2, v6, v4
.LBB4_2903:                             ;   in Loop: Header=BB4_2583 Depth=4
	s_or_b64 exec, exec, s[34:35]
.LBB4_2904:                             ;   in Loop: Header=BB4_2583 Depth=4
	s_or_b64 exec, exec, s[30:31]
.LBB4_2905:                             ;   in Loop: Header=BB4_2583 Depth=4
	s_or_b64 exec, exec, s[28:29]
	v_mul_f32_e32 v6, v7, v4
	v_and_b32_e32 v2, 0x7f800000, v6
	v_cmp_ne_u64_e32 vcc, s[62:63], v[2:3]
                                        ; implicit-def: $vgpr43
	s_and_saveexec_b64 s[28:29], vcc
	s_xor_b64 s[30:31], exec, s[28:29]
	s_cbranch_execz .LBB4_2919
; %bb.2906:                             ;   in Loop: Header=BB4_2583 Depth=4
	v_and_b32_e32 v2, 0x7fffffff, v6
	v_cmp_gt_u64_e32 vcc, s[72:73], v[2:3]
	v_and_b32_sdwa v4, v6, s70 dst_sel:DWORD dst_unused:UNUSED_PAD src0_sel:BYTE_3 src1_sel:DWORD
                                        ; implicit-def: $vgpr43
	s_and_saveexec_b64 s[28:29], vcc
	s_xor_b64 s[34:35], exec, s[28:29]
	s_cbranch_execz .LBB4_2916
; %bb.2907:                             ;   in Loop: Header=BB4_2583 Depth=4
	v_mov_b32_e32 v43, 0
	v_cmp_ne_u32_e32 vcc, 0, v6
	s_and_saveexec_b64 s[36:37], vcc
	s_cbranch_execz .LBB4_2915
; %bb.2908:                             ;   in Loop: Header=BB4_2583 Depth=4
	v_and_b32_e32 v2, 0x7fffff, v6
	v_bfe_u32 v6, v6, 23, 8
	v_cmp_gt_u32_e64 s[28:29], s71, v6
	v_sub_u32_e32 v8, 0x79, v6
	v_cmp_eq_u32_e32 vcc, 0, v6
	v_cndmask_b32_e64 v8, 0, v8, s[28:29]
	v_mov_b32_e32 v12, 0x78
	v_cndmask_b32_e32 v14, v8, v12, vcc
	v_or_b32_e32 v9, 0x800000, v2
	v_add_u32_e32 v8, 20, v14
	v_cndmask_b32_e32 v2, v9, v2, vcc
	v_lshlrev_b64 v[8:9], v8, -1
	v_add_u32_e32 v12, 19, v14
	v_lshlrev_b64 v[12:13], v12, 1
	v_bfi_b32 v9, v9, 0, 0
	v_bfi_b32 v8, v8, 0, v2
	v_cmp_eq_u64_e64 s[28:29], v[8:9], v[12:13]
	v_lshrrev_b64 v[8:9], v14, v[2:3]
	v_mov_b32_e32 v13, v9
	v_mov_b32_e32 v12, v8
	s_and_saveexec_b64 s[38:39], s[28:29]
; %bb.2909:                             ;   in Loop: Header=BB4_2583 Depth=4
	v_bfe_u32 v2, v8, 20, 1
	v_add_co_u32_e64 v2, s[28:29], v8, v2
	v_add_co_u32_e64 v12, s[28:29], -1, v2
; %bb.2910:                             ;   in Loop: Header=BB4_2583 Depth=4
	s_or_b64 exec, exec, s[38:39]
	v_add_u32_e32 v2, 0xffffff81, v6
	v_mov_b32_e32 v6, 0xffffff82
	v_cndmask_b32_e32 v2, v2, v6, vcc
	v_lshrrev_b32_e32 v6, 23, v8
	v_add3_u32 v14, v14, v2, v6
	v_add_u32_e32 v13, 6, v14
	v_and_b32_e32 v2, 0xfffff, v12
	v_add_u32_e32 v2, v2, v8
	v_cmp_ne_u32_e32 vcc, 0, v13
                                        ; implicit-def: $vgpr8_vgpr9
                                        ; implicit-def: $vgpr6
	s_and_saveexec_b64 s[28:29], vcc
	s_xor_b64 s[28:29], exec, s[28:29]
; %bb.2911:                             ;   in Loop: Header=BB4_2583 Depth=4
	v_cmp_lt_u64_e32 vcc, s[74:75], v[2:3]
	v_add_u32_e32 v6, 7, v14
	v_cndmask_b32_e64 v8, 0, 1, vcc
	v_cndmask_b32_e32 v6, v13, v6, vcc
	v_lshrrev_b64 v[8:9], v8, v[2:3]
; %bb.2912:                             ;   in Loop: Header=BB4_2583 Depth=4
	s_andn2_saveexec_b64 s[28:29], s[28:29]
; %bb.2913:                             ;   in Loop: Header=BB4_2583 Depth=4
	v_mov_b32_e32 v9, v3
	v_bfe_u32 v6, v2, 23, 1
	v_mov_b32_e32 v8, v2
; %bb.2914:                             ;   in Loop: Header=BB4_2583 Depth=4
	s_or_b64 exec, exec, s[28:29]
	v_lshrrev_b64 v[8:9], 20, v[8:9]
	v_cmp_gt_i32_e32 vcc, 16, v6
	v_cndmask_b32_e32 v9, 0, v9, vcc
	v_cndmask_b32_e32 v8, 7, v8, vcc
	v_min_i32_e32 v2, 15, v6
	v_cmp_eq_u64_e64 s[28:29], 0, v[8:9]
	v_lshlrev_b32_e32 v2, 3, v2
	v_cmp_eq_u32_e32 vcc, 0, v6
	v_and_b32_e32 v2, 0xf8, v2
	v_and_or_b32 v2, v8, 7, v2
	s_and_b64 s[28:29], vcc, s[28:29]
	v_cndmask_b32_e64 v2, v2, 0, s[28:29]
	v_or_b32_e32 v43, v2, v4
.LBB4_2915:                             ;   in Loop: Header=BB4_2583 Depth=4
	s_or_b64 exec, exec, s[36:37]
                                        ; implicit-def: $vgpr4
.LBB4_2916:                             ;   in Loop: Header=BB4_2583 Depth=4
	s_andn2_saveexec_b64 s[28:29], s[34:35]
; %bb.2917:                             ;   in Loop: Header=BB4_2583 Depth=4
	v_or_b32_e32 v43, 0x7e, v4
; %bb.2918:                             ;   in Loop: Header=BB4_2583 Depth=4
	s_or_b64 exec, exec, s[28:29]
                                        ; implicit-def: $vgpr6
.LBB4_2919:                             ;   in Loop: Header=BB4_2583 Depth=4
	s_andn2_saveexec_b64 s[28:29], s[30:31]
; %bb.2920:                             ;   in Loop: Header=BB4_2583 Depth=4
	v_or_b32_sdwa v43, v6, s68 dst_sel:DWORD dst_unused:UNUSED_PAD src0_sel:BYTE_3 src1_sel:DWORD
; %bb.2921:                             ;   in Loop: Header=BB4_2583 Depth=4
	s_or_b64 exec, exec, s[28:29]
	v_cmp_lt_u64_e32 vcc, s[56:57], v[10:11]
	v_mov_b32_e32 v4, 0
	s_and_saveexec_b64 s[28:29], vcc
	s_cbranch_execz .LBB4_2927
; %bb.2922:                             ;   in Loop: Header=BB4_2583 Depth=4
	v_lshrrev_b32_e32 v2, 24, v11
	v_cmp_ne_u32_e32 vcc, s70, v2
	v_bfrev_b32_e32 v4, 1
	s_and_saveexec_b64 s[30:31], vcc
	s_cbranch_execz .LBB4_2926
; %bb.2923:                             ;   in Loop: Header=BB4_2583 Depth=4
	v_bfe_u32 v6, v11, 24, 7
	v_cmp_ne_u32_e32 vcc, s68, v6
	v_mov_b32_e32 v4, 0x7f800001
	s_and_saveexec_b64 s[34:35], vcc
	s_cbranch_execz .LBB4_2925
; %bb.2924:                             ;   in Loop: Header=BB4_2583 Depth=4
	v_and_b32_e32 v4, 7, v2
	v_lshrrev_b32_e32 v10, 3, v6
	v_cmp_gt_u32_e32 vcc, 8, v6
	v_ffbh_u32_e32 v6, v4
	v_min_u32_e32 v6, 32, v6
	v_subrev_u32_e32 v8, 28, v6
	v_lshlrev_b64 v[8:9], v8, v[2:3]
	v_sub_u32_e32 v6, 29, v6
	v_and_b32_e32 v8, 7, v8
	v_cndmask_b32_e32 v6, v10, v6, vcc
	v_cndmask_b32_e32 v4, v4, v8, vcc
	v_lshlrev_b32_e32 v2, 24, v2
	v_lshlrev_b32_e32 v4, 20, v4
	v_and_b32_e32 v2, 0x80000000, v2
	v_lshl_add_u32 v6, v6, 23, v5
	v_or3_b32 v4, v2, v6, v4
.LBB4_2925:                             ;   in Loop: Header=BB4_2583 Depth=4
	s_or_b64 exec, exec, s[34:35]
.LBB4_2926:                             ;   in Loop: Header=BB4_2583 Depth=4
	s_or_b64 exec, exec, s[30:31]
.LBB4_2927:                             ;   in Loop: Header=BB4_2583 Depth=4
	s_or_b64 exec, exec, s[28:29]
	v_mul_f32_e32 v6, v7, v4
	v_and_b32_e32 v2, 0x7f800000, v6
	v_cmp_ne_u64_e32 vcc, s[62:63], v[2:3]
                                        ; implicit-def: $vgpr49
	s_and_saveexec_b64 s[28:29], vcc
	s_xor_b64 s[30:31], exec, s[28:29]
	s_cbranch_execz .LBB4_2941
; %bb.2928:                             ;   in Loop: Header=BB4_2583 Depth=4
	v_and_b32_e32 v2, 0x7fffffff, v6
	v_cmp_gt_u64_e32 vcc, s[72:73], v[2:3]
	v_and_b32_sdwa v4, v6, s70 dst_sel:DWORD dst_unused:UNUSED_PAD src0_sel:BYTE_3 src1_sel:DWORD
                                        ; implicit-def: $vgpr49
	s_and_saveexec_b64 s[28:29], vcc
	s_xor_b64 s[34:35], exec, s[28:29]
	s_cbranch_execz .LBB4_2938
; %bb.2929:                             ;   in Loop: Header=BB4_2583 Depth=4
	v_mov_b32_e32 v49, 0
	v_cmp_ne_u32_e32 vcc, 0, v6
	s_and_saveexec_b64 s[36:37], vcc
	s_cbranch_execz .LBB4_2937
; %bb.2930:                             ;   in Loop: Header=BB4_2583 Depth=4
	v_and_b32_e32 v2, 0x7fffff, v6
	v_bfe_u32 v6, v6, 23, 8
	v_cmp_gt_u32_e64 s[28:29], s71, v6
	v_sub_u32_e32 v8, 0x79, v6
	v_cmp_eq_u32_e32 vcc, 0, v6
	v_cndmask_b32_e64 v8, 0, v8, s[28:29]
	v_mov_b32_e32 v10, 0x78
	v_cndmask_b32_e32 v11, v8, v10, vcc
	v_or_b32_e32 v9, 0x800000, v2
	v_add_u32_e32 v8, 20, v11
	v_cndmask_b32_e32 v2, v9, v2, vcc
	v_lshlrev_b64 v[8:9], v8, -1
	v_add_u32_e32 v10, 19, v11
	v_lshlrev_b64 v[12:13], v10, 1
	v_bfi_b32 v9, v9, 0, 0
	v_bfi_b32 v8, v8, 0, v2
	v_cmp_eq_u64_e64 s[28:29], v[8:9], v[12:13]
	v_lshrrev_b64 v[8:9], v11, v[2:3]
	v_mov_b32_e32 v10, v9
	v_mov_b32_e32 v9, v8
	s_and_saveexec_b64 s[38:39], s[28:29]
; %bb.2931:                             ;   in Loop: Header=BB4_2583 Depth=4
	v_bfe_u32 v2, v8, 20, 1
	v_add_co_u32_e64 v2, s[28:29], v8, v2
	v_add_co_u32_e64 v9, s[28:29], -1, v2
; %bb.2932:                             ;   in Loop: Header=BB4_2583 Depth=4
	s_or_b64 exec, exec, s[38:39]
	v_add_u32_e32 v2, 0xffffff81, v6
	v_mov_b32_e32 v6, 0xffffff82
	v_cndmask_b32_e32 v2, v2, v6, vcc
	v_lshrrev_b32_e32 v6, 23, v8
	v_add3_u32 v11, v11, v2, v6
	v_add_u32_e32 v10, 6, v11
	v_and_b32_e32 v2, 0xfffff, v9
	v_add_u32_e32 v2, v2, v8
	v_cmp_ne_u32_e32 vcc, 0, v10
                                        ; implicit-def: $vgpr8_vgpr9
                                        ; implicit-def: $vgpr6
	s_and_saveexec_b64 s[28:29], vcc
	s_xor_b64 s[28:29], exec, s[28:29]
; %bb.2933:                             ;   in Loop: Header=BB4_2583 Depth=4
	v_cmp_lt_u64_e32 vcc, s[74:75], v[2:3]
	v_add_u32_e32 v6, 7, v11
	v_cndmask_b32_e64 v8, 0, 1, vcc
	v_cndmask_b32_e32 v6, v10, v6, vcc
	v_lshrrev_b64 v[8:9], v8, v[2:3]
; %bb.2934:                             ;   in Loop: Header=BB4_2583 Depth=4
	s_andn2_saveexec_b64 s[28:29], s[28:29]
; %bb.2935:                             ;   in Loop: Header=BB4_2583 Depth=4
	v_mov_b32_e32 v9, v3
	v_bfe_u32 v6, v2, 23, 1
	v_mov_b32_e32 v8, v2
; %bb.2936:                             ;   in Loop: Header=BB4_2583 Depth=4
	s_or_b64 exec, exec, s[28:29]
	v_lshrrev_b64 v[8:9], 20, v[8:9]
	v_cmp_gt_i32_e32 vcc, 16, v6
	v_cndmask_b32_e32 v9, 0, v9, vcc
	v_cndmask_b32_e32 v8, 7, v8, vcc
	v_min_i32_e32 v2, 15, v6
	v_cmp_eq_u64_e64 s[28:29], 0, v[8:9]
	v_lshlrev_b32_e32 v2, 3, v2
	v_cmp_eq_u32_e32 vcc, 0, v6
	v_and_b32_e32 v2, 0xf8, v2
	v_and_or_b32 v2, v8, 7, v2
	s_and_b64 s[28:29], vcc, s[28:29]
	v_cndmask_b32_e64 v2, v2, 0, s[28:29]
	v_or_b32_e32 v49, v2, v4
.LBB4_2937:                             ;   in Loop: Header=BB4_2583 Depth=4
	s_or_b64 exec, exec, s[36:37]
                                        ; implicit-def: $vgpr4
.LBB4_2938:                             ;   in Loop: Header=BB4_2583 Depth=4
	s_andn2_saveexec_b64 s[28:29], s[34:35]
; %bb.2939:                             ;   in Loop: Header=BB4_2583 Depth=4
	v_or_b32_e32 v49, 0x7e, v4
; %bb.2940:                             ;   in Loop: Header=BB4_2583 Depth=4
	s_or_b64 exec, exec, s[28:29]
                                        ; implicit-def: $vgpr6
.LBB4_2941:                             ;   in Loop: Header=BB4_2583 Depth=4
	s_andn2_saveexec_b64 s[28:29], s[30:31]
; %bb.2942:                             ;   in Loop: Header=BB4_2583 Depth=4
	v_or_b32_sdwa v49, v6, s68 dst_sel:DWORD dst_unused:UNUSED_PAD src0_sel:BYTE_3 src1_sel:DWORD
; %bb.2943:                             ;   in Loop: Header=BB4_2583 Depth=4
	s_or_b64 exec, exec, s[28:29]
	global_load_dwordx4 v[8:11], v[44:45], off offset:1024 glc slc
	v_mov_b32_e32 v2, 0
	s_waitcnt vmcnt(0)
	v_cmp_ne_u16_sdwa vcc, v8, v3 src0_sel:BYTE_0 src1_sel:DWORD
	s_and_saveexec_b64 s[28:29], vcc
	s_cbranch_execz .LBB4_2949
; %bb.2944:                             ;   in Loop: Header=BB4_2583 Depth=4
	v_cmp_ne_u16_sdwa vcc, v8, s70 src0_sel:BYTE_0 src1_sel:DWORD
	v_bfrev_b32_e32 v2, 1
	s_and_saveexec_b64 s[30:31], vcc
	s_cbranch_execz .LBB4_2948
; %bb.2945:                             ;   in Loop: Header=BB4_2583 Depth=4
	v_and_b32_e32 v4, 0x7f, v8
	v_cmp_ne_u32_e32 vcc, s68, v4
	v_mov_b32_e32 v2, 0x7f800001
	s_and_saveexec_b64 s[34:35], vcc
	s_cbranch_execz .LBB4_2947
; %bb.2946:                             ;   in Loop: Header=BB4_2583 Depth=4
	v_and_b32_e32 v2, 7, v8
	v_ffbh_u32_e32 v2, v2
	v_min_u32_e32 v2, 32, v2
	v_lshrrev_b32_e32 v6, 3, v4
	v_cmp_gt_u32_e32 vcc, 8, v4
	v_subrev_u32_e32 v4, 28, v2
	v_cndmask_b32_e32 v4, 0, v4, vcc
	v_lshlrev_b64 v[12:13], v4, v[8:9]
	v_sub_u32_e32 v2, 29, v2
	v_cndmask_b32_e32 v2, v6, v2, vcc
	v_lshlrev_b32_e32 v4, 20, v12
	v_lshlrev_b32_e32 v6, 24, v8
	v_and_b32_e32 v4, 0x700000, v4
	v_and_b32_e32 v6, 0x80000000, v6
	v_lshl_add_u32 v2, v2, 23, v5
	v_or3_b32 v2, v6, v2, v4
.LBB4_2947:                             ;   in Loop: Header=BB4_2583 Depth=4
	s_or_b64 exec, exec, s[34:35]
.LBB4_2948:                             ;   in Loop: Header=BB4_2583 Depth=4
	s_or_b64 exec, exec, s[30:31]
.LBB4_2949:                             ;   in Loop: Header=BB4_2583 Depth=4
	s_or_b64 exec, exec, s[28:29]
	v_mul_f32_e32 v6, v7, v2
	v_and_b32_e32 v2, 0x7f800000, v6
	v_cmp_ne_u64_e32 vcc, s[62:63], v[2:3]
                                        ; implicit-def: $vgpr35
	s_and_saveexec_b64 s[28:29], vcc
	s_xor_b64 s[30:31], exec, s[28:29]
	s_cbranch_execz .LBB4_2963
; %bb.2950:                             ;   in Loop: Header=BB4_2583 Depth=4
	v_and_b32_e32 v2, 0x7fffffff, v6
	v_cmp_gt_u64_e32 vcc, s[72:73], v[2:3]
	v_and_b32_sdwa v4, v6, s70 dst_sel:DWORD dst_unused:UNUSED_PAD src0_sel:BYTE_3 src1_sel:DWORD
                                        ; implicit-def: $vgpr35
	s_and_saveexec_b64 s[28:29], vcc
	s_xor_b64 s[34:35], exec, s[28:29]
	s_cbranch_execz .LBB4_2960
; %bb.2951:                             ;   in Loop: Header=BB4_2583 Depth=4
	v_mov_b32_e32 v35, 0
	v_cmp_ne_u32_e32 vcc, 0, v6
	s_and_saveexec_b64 s[36:37], vcc
	s_cbranch_execz .LBB4_2959
; %bb.2952:                             ;   in Loop: Header=BB4_2583 Depth=4
	v_and_b32_e32 v2, 0x7fffff, v6
	v_bfe_u32 v6, v6, 23, 8
	v_cmp_gt_u32_e64 s[28:29], s71, v6
	v_sub_u32_e32 v12, 0x79, v6
	v_cmp_eq_u32_e32 vcc, 0, v6
	v_cndmask_b32_e64 v12, 0, v12, s[28:29]
	v_mov_b32_e32 v14, 0x78
	v_cndmask_b32_e32 v15, v12, v14, vcc
	v_or_b32_e32 v13, 0x800000, v2
	v_add_u32_e32 v12, 20, v15
	v_cndmask_b32_e32 v2, v13, v2, vcc
	v_lshlrev_b64 v[12:13], v12, -1
	v_add_u32_e32 v14, 19, v15
	v_lshlrev_b64 v[16:17], v14, 1
	v_bfi_b32 v13, v13, 0, 0
	v_bfi_b32 v12, v12, 0, v2
	v_cmp_eq_u64_e64 s[28:29], v[12:13], v[16:17]
	v_lshrrev_b64 v[12:13], v15, v[2:3]
	v_mov_b32_e32 v14, v13
	v_mov_b32_e32 v13, v12
	s_and_saveexec_b64 s[38:39], s[28:29]
; %bb.2953:                             ;   in Loop: Header=BB4_2583 Depth=4
	v_bfe_u32 v2, v12, 20, 1
	v_add_co_u32_e64 v2, s[28:29], v12, v2
	v_add_co_u32_e64 v13, s[28:29], -1, v2
; %bb.2954:                             ;   in Loop: Header=BB4_2583 Depth=4
	s_or_b64 exec, exec, s[38:39]
	v_add_u32_e32 v2, 0xffffff81, v6
	v_mov_b32_e32 v6, 0xffffff82
	v_cndmask_b32_e32 v2, v2, v6, vcc
	v_lshrrev_b32_e32 v6, 23, v12
	v_add3_u32 v15, v15, v2, v6
	v_add_u32_e32 v14, 6, v15
	v_and_b32_e32 v2, 0xfffff, v13
	v_add_u32_e32 v2, v2, v12
	v_cmp_ne_u32_e32 vcc, 0, v14
                                        ; implicit-def: $vgpr12_vgpr13
                                        ; implicit-def: $vgpr6
	s_and_saveexec_b64 s[28:29], vcc
	s_xor_b64 s[28:29], exec, s[28:29]
; %bb.2955:                             ;   in Loop: Header=BB4_2583 Depth=4
	v_cmp_lt_u64_e32 vcc, s[74:75], v[2:3]
	v_add_u32_e32 v6, 7, v15
	v_cndmask_b32_e64 v12, 0, 1, vcc
	v_lshrrev_b64 v[12:13], v12, v[2:3]
	v_cndmask_b32_e32 v6, v14, v6, vcc
; %bb.2956:                             ;   in Loop: Header=BB4_2583 Depth=4
	s_andn2_saveexec_b64 s[28:29], s[28:29]
; %bb.2957:                             ;   in Loop: Header=BB4_2583 Depth=4
	v_mov_b32_e32 v13, v3
	v_bfe_u32 v6, v2, 23, 1
	v_mov_b32_e32 v12, v2
; %bb.2958:                             ;   in Loop: Header=BB4_2583 Depth=4
	s_or_b64 exec, exec, s[28:29]
	v_lshrrev_b64 v[12:13], 20, v[12:13]
	v_cmp_gt_i32_e32 vcc, 16, v6
	v_cndmask_b32_e32 v13, 0, v13, vcc
	v_cndmask_b32_e32 v12, 7, v12, vcc
	v_min_i32_e32 v2, 15, v6
	v_cmp_eq_u64_e64 s[28:29], 0, v[12:13]
	v_lshlrev_b32_e32 v2, 3, v2
	v_cmp_eq_u32_e32 vcc, 0, v6
	v_and_b32_e32 v2, 0xf8, v2
	v_and_or_b32 v2, v12, 7, v2
	s_and_b64 s[28:29], vcc, s[28:29]
	v_cndmask_b32_e64 v2, v2, 0, s[28:29]
	v_or_b32_e32 v35, v2, v4
.LBB4_2959:                             ;   in Loop: Header=BB4_2583 Depth=4
	s_or_b64 exec, exec, s[36:37]
                                        ; implicit-def: $vgpr4
.LBB4_2960:                             ;   in Loop: Header=BB4_2583 Depth=4
	s_andn2_saveexec_b64 s[28:29], s[34:35]
; %bb.2961:                             ;   in Loop: Header=BB4_2583 Depth=4
	v_or_b32_e32 v35, 0x7e, v4
; %bb.2962:                             ;   in Loop: Header=BB4_2583 Depth=4
	s_or_b64 exec, exec, s[28:29]
                                        ; implicit-def: $vgpr6
.LBB4_2963:                             ;   in Loop: Header=BB4_2583 Depth=4
	s_andn2_saveexec_b64 s[28:29], s[30:31]
; %bb.2964:                             ;   in Loop: Header=BB4_2583 Depth=4
	v_or_b32_sdwa v35, v6, s68 dst_sel:DWORD dst_unused:UNUSED_PAD src0_sel:BYTE_3 src1_sel:DWORD
; %bb.2965:                             ;   in Loop: Header=BB4_2583 Depth=4
	s_or_b64 exec, exec, s[28:29]
	v_lshrrev_b16_e32 v2, 8, v8
	v_cmp_ne_u16_e32 vcc, 0, v2
	v_mov_b32_e32 v4, 0
	s_and_saveexec_b64 s[28:29], vcc
	s_cbranch_execz .LBB4_2971
; %bb.2966:                             ;   in Loop: Header=BB4_2583 Depth=4
	v_cmp_ne_u16_e32 vcc, s70, v2
	v_bfrev_b32_e32 v4, 1
	s_and_saveexec_b64 s[30:31], vcc
	s_cbranch_execz .LBB4_2970
; %bb.2967:                             ;   in Loop: Header=BB4_2583 Depth=4
	v_and_b32_e32 v6, 0x7f, v2
	v_cmp_ne_u32_e32 vcc, s68, v6
	v_mov_b32_e32 v4, 0x7f800001
	s_and_saveexec_b64 s[34:35], vcc
	s_cbranch_execz .LBB4_2969
; %bb.2968:                             ;   in Loop: Header=BB4_2583 Depth=4
	v_and_b32_e32 v4, 7, v2
	v_lshrrev_b32_e32 v14, 3, v6
	v_cmp_gt_u32_e32 vcc, 8, v6
	v_ffbh_u32_e32 v6, v4
	v_min_u32_e32 v6, 32, v6
	v_subrev_u32_e32 v12, 28, v6
	v_lshlrev_b64 v[12:13], v12, v[2:3]
	v_sub_u32_e32 v2, 29, v6
	v_and_b32_e32 v6, 7, v12
	v_cndmask_b32_e32 v2, v14, v2, vcc
	v_cndmask_b32_e32 v4, v4, v6, vcc
	v_lshlrev_b32_e32 v6, 16, v8
	v_lshlrev_b32_e32 v4, 20, v4
	v_and_b32_e32 v6, 0x80000000, v6
	v_lshl_add_u32 v2, v2, 23, v5
	v_or3_b32 v4, v6, v2, v4
.LBB4_2969:                             ;   in Loop: Header=BB4_2583 Depth=4
	s_or_b64 exec, exec, s[34:35]
.LBB4_2970:                             ;   in Loop: Header=BB4_2583 Depth=4
	s_or_b64 exec, exec, s[30:31]
.LBB4_2971:                             ;   in Loop: Header=BB4_2583 Depth=4
	s_or_b64 exec, exec, s[28:29]
	v_mul_f32_e32 v6, v7, v4
	v_and_b32_e32 v2, 0x7f800000, v6
	v_cmp_ne_u64_e32 vcc, s[62:63], v[2:3]
                                        ; implicit-def: $vgpr55
	s_and_saveexec_b64 s[28:29], vcc
	s_xor_b64 s[30:31], exec, s[28:29]
	s_cbranch_execz .LBB4_2985
; %bb.2972:                             ;   in Loop: Header=BB4_2583 Depth=4
	v_and_b32_e32 v2, 0x7fffffff, v6
	v_cmp_gt_u64_e32 vcc, s[72:73], v[2:3]
	v_and_b32_sdwa v4, v6, s70 dst_sel:DWORD dst_unused:UNUSED_PAD src0_sel:BYTE_3 src1_sel:DWORD
                                        ; implicit-def: $vgpr55
	s_and_saveexec_b64 s[28:29], vcc
	s_xor_b64 s[34:35], exec, s[28:29]
	s_cbranch_execz .LBB4_2982
; %bb.2973:                             ;   in Loop: Header=BB4_2583 Depth=4
	v_mov_b32_e32 v55, 0
	v_cmp_ne_u32_e32 vcc, 0, v6
	s_and_saveexec_b64 s[36:37], vcc
	s_cbranch_execz .LBB4_2981
; %bb.2974:                             ;   in Loop: Header=BB4_2583 Depth=4
	v_and_b32_e32 v2, 0x7fffff, v6
	v_bfe_u32 v6, v6, 23, 8
	v_cmp_gt_u32_e64 s[28:29], s71, v6
	v_sub_u32_e32 v12, 0x79, v6
	v_cmp_eq_u32_e32 vcc, 0, v6
	v_cndmask_b32_e64 v12, 0, v12, s[28:29]
	v_mov_b32_e32 v14, 0x78
	v_cndmask_b32_e32 v15, v12, v14, vcc
	v_or_b32_e32 v13, 0x800000, v2
	v_add_u32_e32 v12, 20, v15
	v_cndmask_b32_e32 v2, v13, v2, vcc
	v_lshlrev_b64 v[12:13], v12, -1
	v_add_u32_e32 v14, 19, v15
	v_lshlrev_b64 v[16:17], v14, 1
	v_bfi_b32 v13, v13, 0, 0
	v_bfi_b32 v12, v12, 0, v2
	v_cmp_eq_u64_e64 s[28:29], v[12:13], v[16:17]
	v_lshrrev_b64 v[12:13], v15, v[2:3]
	v_mov_b32_e32 v14, v13
	v_mov_b32_e32 v13, v12
	s_and_saveexec_b64 s[38:39], s[28:29]
; %bb.2975:                             ;   in Loop: Header=BB4_2583 Depth=4
	v_bfe_u32 v2, v12, 20, 1
	v_add_co_u32_e64 v2, s[28:29], v12, v2
	v_add_co_u32_e64 v13, s[28:29], -1, v2
; %bb.2976:                             ;   in Loop: Header=BB4_2583 Depth=4
	s_or_b64 exec, exec, s[38:39]
	v_add_u32_e32 v2, 0xffffff81, v6
	v_mov_b32_e32 v6, 0xffffff82
	v_cndmask_b32_e32 v2, v2, v6, vcc
	v_lshrrev_b32_e32 v6, 23, v12
	v_add3_u32 v15, v15, v2, v6
	v_add_u32_e32 v14, 6, v15
	v_and_b32_e32 v2, 0xfffff, v13
	v_add_u32_e32 v2, v2, v12
	v_cmp_ne_u32_e32 vcc, 0, v14
                                        ; implicit-def: $vgpr12_vgpr13
                                        ; implicit-def: $vgpr6
	s_and_saveexec_b64 s[28:29], vcc
	s_xor_b64 s[28:29], exec, s[28:29]
; %bb.2977:                             ;   in Loop: Header=BB4_2583 Depth=4
	v_cmp_lt_u64_e32 vcc, s[74:75], v[2:3]
	v_add_u32_e32 v6, 7, v15
	v_cndmask_b32_e64 v12, 0, 1, vcc
	v_lshrrev_b64 v[12:13], v12, v[2:3]
	v_cndmask_b32_e32 v6, v14, v6, vcc
; %bb.2978:                             ;   in Loop: Header=BB4_2583 Depth=4
	s_andn2_saveexec_b64 s[28:29], s[28:29]
; %bb.2979:                             ;   in Loop: Header=BB4_2583 Depth=4
	v_mov_b32_e32 v13, v3
	v_bfe_u32 v6, v2, 23, 1
	v_mov_b32_e32 v12, v2
; %bb.2980:                             ;   in Loop: Header=BB4_2583 Depth=4
	s_or_b64 exec, exec, s[28:29]
	v_lshrrev_b64 v[12:13], 20, v[12:13]
	v_cmp_gt_i32_e32 vcc, 16, v6
	v_cndmask_b32_e32 v13, 0, v13, vcc
	v_cndmask_b32_e32 v12, 7, v12, vcc
	v_min_i32_e32 v2, 15, v6
	v_cmp_eq_u64_e64 s[28:29], 0, v[12:13]
	v_lshlrev_b32_e32 v2, 3, v2
	v_cmp_eq_u32_e32 vcc, 0, v6
	v_and_b32_e32 v2, 0xf8, v2
	v_and_or_b32 v2, v12, 7, v2
	s_and_b64 s[28:29], vcc, s[28:29]
	v_cndmask_b32_e64 v2, v2, 0, s[28:29]
	v_or_b32_e32 v55, v2, v4
.LBB4_2981:                             ;   in Loop: Header=BB4_2583 Depth=4
	s_or_b64 exec, exec, s[36:37]
                                        ; implicit-def: $vgpr4
.LBB4_2982:                             ;   in Loop: Header=BB4_2583 Depth=4
	s_andn2_saveexec_b64 s[28:29], s[34:35]
; %bb.2983:                             ;   in Loop: Header=BB4_2583 Depth=4
	v_or_b32_e32 v55, 0x7e, v4
; %bb.2984:                             ;   in Loop: Header=BB4_2583 Depth=4
	s_or_b64 exec, exec, s[28:29]
                                        ; implicit-def: $vgpr6
.LBB4_2985:                             ;   in Loop: Header=BB4_2583 Depth=4
	s_andn2_saveexec_b64 s[28:29], s[30:31]
; %bb.2986:                             ;   in Loop: Header=BB4_2583 Depth=4
	v_or_b32_sdwa v55, v6, s68 dst_sel:DWORD dst_unused:UNUSED_PAD src0_sel:BYTE_3 src1_sel:DWORD
; %bb.2987:                             ;   in Loop: Header=BB4_2583 Depth=4
	s_or_b64 exec, exec, s[28:29]
	v_lshrrev_b32_e32 v2, 16, v8
	v_cmp_ne_u16_sdwa vcc, v2, v3 src0_sel:BYTE_0 src1_sel:DWORD
	v_mov_b32_e32 v4, 0
	s_and_saveexec_b64 s[28:29], vcc
	s_cbranch_execz .LBB4_2993
; %bb.2988:                             ;   in Loop: Header=BB4_2583 Depth=4
	v_cmp_ne_u16_sdwa vcc, v2, s70 src0_sel:BYTE_0 src1_sel:DWORD
	v_bfrev_b32_e32 v4, 1
	s_and_saveexec_b64 s[30:31], vcc
	s_cbranch_execz .LBB4_2992
; %bb.2989:                             ;   in Loop: Header=BB4_2583 Depth=4
	v_bfe_u32 v6, v8, 16, 7
	v_cmp_ne_u32_e32 vcc, s68, v6
	v_mov_b32_e32 v4, 0x7f800001
	s_and_saveexec_b64 s[34:35], vcc
	s_cbranch_execz .LBB4_2991
; %bb.2990:                             ;   in Loop: Header=BB4_2583 Depth=4
	v_and_b32_e32 v4, 7, v2
	v_lshrrev_b32_e32 v14, 3, v6
	v_cmp_gt_u32_e32 vcc, 8, v6
	v_ffbh_u32_e32 v6, v4
	v_min_u32_e32 v6, 32, v6
	v_subrev_u32_e32 v12, 28, v6
	v_lshlrev_b64 v[12:13], v12, v[2:3]
	v_sub_u32_e32 v6, 29, v6
	v_and_b32_e32 v12, 7, v12
	v_cndmask_b32_e32 v6, v14, v6, vcc
	v_cndmask_b32_e32 v4, v4, v12, vcc
	v_lshlrev_b32_e32 v2, 24, v2
	v_lshlrev_b32_e32 v4, 20, v4
	v_and_b32_e32 v2, 0x80000000, v2
	v_lshl_add_u32 v6, v6, 23, v5
	v_or3_b32 v4, v2, v6, v4
.LBB4_2991:                             ;   in Loop: Header=BB4_2583 Depth=4
	s_or_b64 exec, exec, s[34:35]
.LBB4_2992:                             ;   in Loop: Header=BB4_2583 Depth=4
	s_or_b64 exec, exec, s[30:31]
.LBB4_2993:                             ;   in Loop: Header=BB4_2583 Depth=4
	s_or_b64 exec, exec, s[28:29]
	v_mul_f32_e32 v6, v7, v4
	v_and_b32_e32 v2, 0x7f800000, v6
	v_cmp_ne_u64_e32 vcc, s[62:63], v[2:3]
                                        ; implicit-def: $vgpr41
	s_and_saveexec_b64 s[28:29], vcc
	s_xor_b64 s[30:31], exec, s[28:29]
	s_cbranch_execz .LBB4_3007
; %bb.2994:                             ;   in Loop: Header=BB4_2583 Depth=4
	v_and_b32_e32 v2, 0x7fffffff, v6
	v_cmp_gt_u64_e32 vcc, s[72:73], v[2:3]
	v_and_b32_sdwa v4, v6, s70 dst_sel:DWORD dst_unused:UNUSED_PAD src0_sel:BYTE_3 src1_sel:DWORD
                                        ; implicit-def: $vgpr41
	s_and_saveexec_b64 s[28:29], vcc
	s_xor_b64 s[34:35], exec, s[28:29]
	s_cbranch_execz .LBB4_3004
; %bb.2995:                             ;   in Loop: Header=BB4_2583 Depth=4
	v_mov_b32_e32 v41, 0
	v_cmp_ne_u32_e32 vcc, 0, v6
	s_and_saveexec_b64 s[36:37], vcc
	s_cbranch_execz .LBB4_3003
; %bb.2996:                             ;   in Loop: Header=BB4_2583 Depth=4
	v_and_b32_e32 v2, 0x7fffff, v6
	v_bfe_u32 v6, v6, 23, 8
	v_cmp_gt_u32_e64 s[28:29], s71, v6
	v_sub_u32_e32 v12, 0x79, v6
	v_cmp_eq_u32_e32 vcc, 0, v6
	v_cndmask_b32_e64 v12, 0, v12, s[28:29]
	v_mov_b32_e32 v14, 0x78
	v_cndmask_b32_e32 v15, v12, v14, vcc
	v_or_b32_e32 v13, 0x800000, v2
	v_add_u32_e32 v12, 20, v15
	v_cndmask_b32_e32 v2, v13, v2, vcc
	v_lshlrev_b64 v[12:13], v12, -1
	v_add_u32_e32 v14, 19, v15
	v_lshlrev_b64 v[16:17], v14, 1
	v_bfi_b32 v13, v13, 0, 0
	v_bfi_b32 v12, v12, 0, v2
	v_cmp_eq_u64_e64 s[28:29], v[12:13], v[16:17]
	v_lshrrev_b64 v[12:13], v15, v[2:3]
	v_mov_b32_e32 v14, v13
	v_mov_b32_e32 v13, v12
	s_and_saveexec_b64 s[38:39], s[28:29]
; %bb.2997:                             ;   in Loop: Header=BB4_2583 Depth=4
	v_bfe_u32 v2, v12, 20, 1
	v_add_co_u32_e64 v2, s[28:29], v12, v2
	v_add_co_u32_e64 v13, s[28:29], -1, v2
; %bb.2998:                             ;   in Loop: Header=BB4_2583 Depth=4
	s_or_b64 exec, exec, s[38:39]
	v_add_u32_e32 v2, 0xffffff81, v6
	v_mov_b32_e32 v6, 0xffffff82
	v_cndmask_b32_e32 v2, v2, v6, vcc
	v_lshrrev_b32_e32 v6, 23, v12
	v_add3_u32 v15, v15, v2, v6
	v_add_u32_e32 v14, 6, v15
	v_and_b32_e32 v2, 0xfffff, v13
	v_add_u32_e32 v2, v2, v12
	v_cmp_ne_u32_e32 vcc, 0, v14
                                        ; implicit-def: $vgpr12_vgpr13
                                        ; implicit-def: $vgpr6
	s_and_saveexec_b64 s[28:29], vcc
	s_xor_b64 s[28:29], exec, s[28:29]
; %bb.2999:                             ;   in Loop: Header=BB4_2583 Depth=4
	v_cmp_lt_u64_e32 vcc, s[74:75], v[2:3]
	v_add_u32_e32 v6, 7, v15
	v_cndmask_b32_e64 v12, 0, 1, vcc
	v_lshrrev_b64 v[12:13], v12, v[2:3]
	v_cndmask_b32_e32 v6, v14, v6, vcc
; %bb.3000:                             ;   in Loop: Header=BB4_2583 Depth=4
	s_andn2_saveexec_b64 s[28:29], s[28:29]
; %bb.3001:                             ;   in Loop: Header=BB4_2583 Depth=4
	v_mov_b32_e32 v13, v3
	v_bfe_u32 v6, v2, 23, 1
	v_mov_b32_e32 v12, v2
; %bb.3002:                             ;   in Loop: Header=BB4_2583 Depth=4
	s_or_b64 exec, exec, s[28:29]
	v_lshrrev_b64 v[12:13], 20, v[12:13]
	v_cmp_gt_i32_e32 vcc, 16, v6
	v_cndmask_b32_e32 v13, 0, v13, vcc
	v_cndmask_b32_e32 v12, 7, v12, vcc
	v_min_i32_e32 v2, 15, v6
	v_cmp_eq_u64_e64 s[28:29], 0, v[12:13]
	v_lshlrev_b32_e32 v2, 3, v2
	v_cmp_eq_u32_e32 vcc, 0, v6
	v_and_b32_e32 v2, 0xf8, v2
	v_and_or_b32 v2, v12, 7, v2
	s_and_b64 s[28:29], vcc, s[28:29]
	v_cndmask_b32_e64 v2, v2, 0, s[28:29]
	v_or_b32_e32 v41, v2, v4
.LBB4_3003:                             ;   in Loop: Header=BB4_2583 Depth=4
	s_or_b64 exec, exec, s[36:37]
                                        ; implicit-def: $vgpr4
.LBB4_3004:                             ;   in Loop: Header=BB4_2583 Depth=4
	s_andn2_saveexec_b64 s[28:29], s[34:35]
; %bb.3005:                             ;   in Loop: Header=BB4_2583 Depth=4
	v_or_b32_e32 v41, 0x7e, v4
; %bb.3006:                             ;   in Loop: Header=BB4_2583 Depth=4
	s_or_b64 exec, exec, s[28:29]
                                        ; implicit-def: $vgpr6
.LBB4_3007:                             ;   in Loop: Header=BB4_2583 Depth=4
	s_andn2_saveexec_b64 s[28:29], s[30:31]
; %bb.3008:                             ;   in Loop: Header=BB4_2583 Depth=4
	v_or_b32_sdwa v41, v6, s68 dst_sel:DWORD dst_unused:UNUSED_PAD src0_sel:BYTE_3 src1_sel:DWORD
; %bb.3009:                             ;   in Loop: Header=BB4_2583 Depth=4
	s_or_b64 exec, exec, s[28:29]
	v_cmp_lt_u32_e32 vcc, s57, v8
	v_mov_b32_e32 v4, 0
	s_and_saveexec_b64 s[28:29], vcc
	s_cbranch_execz .LBB4_3015
; %bb.3010:                             ;   in Loop: Header=BB4_2583 Depth=4
	v_lshrrev_b32_e32 v2, 24, v8
	v_cmp_ne_u32_e32 vcc, s70, v2
	v_bfrev_b32_e32 v4, 1
	s_and_saveexec_b64 s[30:31], vcc
	s_cbranch_execz .LBB4_3014
; %bb.3011:                             ;   in Loop: Header=BB4_2583 Depth=4
	v_bfe_u32 v6, v8, 24, 7
	v_cmp_ne_u32_e32 vcc, s68, v6
	v_mov_b32_e32 v4, 0x7f800001
	s_and_saveexec_b64 s[34:35], vcc
	s_cbranch_execz .LBB4_3013
; %bb.3012:                             ;   in Loop: Header=BB4_2583 Depth=4
	v_and_b32_e32 v4, 7, v2
	v_lshrrev_b32_e32 v14, 3, v6
	v_cmp_gt_u32_e32 vcc, 8, v6
	v_ffbh_u32_e32 v6, v4
	v_min_u32_e32 v6, 32, v6
	v_subrev_u32_e32 v12, 28, v6
	v_lshlrev_b64 v[12:13], v12, v[2:3]
	v_sub_u32_e32 v6, 29, v6
	v_and_b32_e32 v12, 7, v12
	v_cndmask_b32_e32 v6, v14, v6, vcc
	v_cndmask_b32_e32 v4, v4, v12, vcc
	v_lshlrev_b32_e32 v2, 24, v2
	v_lshlrev_b32_e32 v4, 20, v4
	v_and_b32_e32 v2, 0x80000000, v2
	v_lshl_add_u32 v6, v6, 23, v5
	v_or3_b32 v4, v2, v6, v4
.LBB4_3013:                             ;   in Loop: Header=BB4_2583 Depth=4
	s_or_b64 exec, exec, s[34:35]
.LBB4_3014:                             ;   in Loop: Header=BB4_2583 Depth=4
	s_or_b64 exec, exec, s[30:31]
.LBB4_3015:                             ;   in Loop: Header=BB4_2583 Depth=4
	s_or_b64 exec, exec, s[28:29]
	v_mul_f32_e32 v6, v7, v4
	v_and_b32_e32 v2, 0x7f800000, v6
	v_cmp_ne_u64_e32 vcc, s[62:63], v[2:3]
                                        ; implicit-def: $vgpr17
	s_and_saveexec_b64 s[28:29], vcc
	s_xor_b64 s[30:31], exec, s[28:29]
	s_cbranch_execz .LBB4_3029
; %bb.3016:                             ;   in Loop: Header=BB4_2583 Depth=4
	v_and_b32_e32 v2, 0x7fffffff, v6
	v_cmp_gt_u64_e32 vcc, s[72:73], v[2:3]
	v_and_b32_sdwa v4, v6, s70 dst_sel:DWORD dst_unused:UNUSED_PAD src0_sel:BYTE_3 src1_sel:DWORD
                                        ; implicit-def: $vgpr17
	s_and_saveexec_b64 s[28:29], vcc
	s_xor_b64 s[34:35], exec, s[28:29]
	s_cbranch_execz .LBB4_3026
; %bb.3017:                             ;   in Loop: Header=BB4_2583 Depth=4
	v_mov_b32_e32 v17, 0
	v_cmp_ne_u32_e32 vcc, 0, v6
	s_and_saveexec_b64 s[36:37], vcc
	s_cbranch_execz .LBB4_3025
; %bb.3018:                             ;   in Loop: Header=BB4_2583 Depth=4
	v_and_b32_e32 v2, 0x7fffff, v6
	v_bfe_u32 v6, v6, 23, 8
	v_cmp_gt_u32_e64 s[28:29], s71, v6
	v_sub_u32_e32 v12, 0x79, v6
	v_cmp_eq_u32_e32 vcc, 0, v6
	v_cndmask_b32_e64 v12, 0, v12, s[28:29]
	v_mov_b32_e32 v14, 0x78
	v_cndmask_b32_e32 v15, v12, v14, vcc
	v_or_b32_e32 v13, 0x800000, v2
	v_add_u32_e32 v12, 20, v15
	v_cndmask_b32_e32 v2, v13, v2, vcc
	v_lshlrev_b64 v[12:13], v12, -1
	v_add_u32_e32 v14, 19, v15
	v_lshlrev_b64 v[16:17], v14, 1
	v_bfi_b32 v13, v13, 0, 0
	v_bfi_b32 v12, v12, 0, v2
	v_cmp_eq_u64_e64 s[28:29], v[12:13], v[16:17]
	v_lshrrev_b64 v[12:13], v15, v[2:3]
	v_mov_b32_e32 v14, v13
	v_mov_b32_e32 v13, v12
	s_and_saveexec_b64 s[38:39], s[28:29]
; %bb.3019:                             ;   in Loop: Header=BB4_2583 Depth=4
	v_bfe_u32 v2, v12, 20, 1
	v_add_co_u32_e64 v2, s[28:29], v12, v2
	v_add_co_u32_e64 v13, s[28:29], -1, v2
; %bb.3020:                             ;   in Loop: Header=BB4_2583 Depth=4
	s_or_b64 exec, exec, s[38:39]
	v_add_u32_e32 v2, 0xffffff81, v6
	v_mov_b32_e32 v6, 0xffffff82
	v_cndmask_b32_e32 v2, v2, v6, vcc
	v_lshrrev_b32_e32 v6, 23, v12
	v_add3_u32 v15, v15, v2, v6
	v_add_u32_e32 v14, 6, v15
	v_and_b32_e32 v2, 0xfffff, v13
	v_add_u32_e32 v2, v2, v12
	v_cmp_ne_u32_e32 vcc, 0, v14
                                        ; implicit-def: $vgpr12_vgpr13
                                        ; implicit-def: $vgpr6
	s_and_saveexec_b64 s[28:29], vcc
	s_xor_b64 s[28:29], exec, s[28:29]
; %bb.3021:                             ;   in Loop: Header=BB4_2583 Depth=4
	v_cmp_lt_u64_e32 vcc, s[74:75], v[2:3]
	v_add_u32_e32 v6, 7, v15
	v_cndmask_b32_e64 v12, 0, 1, vcc
	v_lshrrev_b64 v[12:13], v12, v[2:3]
	v_cndmask_b32_e32 v6, v14, v6, vcc
; %bb.3022:                             ;   in Loop: Header=BB4_2583 Depth=4
	s_andn2_saveexec_b64 s[28:29], s[28:29]
; %bb.3023:                             ;   in Loop: Header=BB4_2583 Depth=4
	v_mov_b32_e32 v13, v3
	v_bfe_u32 v6, v2, 23, 1
	v_mov_b32_e32 v12, v2
; %bb.3024:                             ;   in Loop: Header=BB4_2583 Depth=4
	s_or_b64 exec, exec, s[28:29]
	v_lshrrev_b64 v[12:13], 20, v[12:13]
	v_cmp_gt_i32_e32 vcc, 16, v6
	v_cndmask_b32_e32 v13, 0, v13, vcc
	v_cndmask_b32_e32 v12, 7, v12, vcc
	v_min_i32_e32 v2, 15, v6
	v_cmp_eq_u64_e64 s[28:29], 0, v[12:13]
	v_lshlrev_b32_e32 v2, 3, v2
	v_cmp_eq_u32_e32 vcc, 0, v6
	v_and_b32_e32 v2, 0xf8, v2
	v_and_or_b32 v2, v12, 7, v2
	s_and_b64 s[28:29], vcc, s[28:29]
	v_cndmask_b32_e64 v2, v2, 0, s[28:29]
	v_or_b32_e32 v17, v2, v4
.LBB4_3025:                             ;   in Loop: Header=BB4_2583 Depth=4
	s_or_b64 exec, exec, s[36:37]
                                        ; implicit-def: $vgpr4
.LBB4_3026:                             ;   in Loop: Header=BB4_2583 Depth=4
	s_andn2_saveexec_b64 s[28:29], s[34:35]
; %bb.3027:                             ;   in Loop: Header=BB4_2583 Depth=4
	v_or_b32_e32 v17, 0x7e, v4
; %bb.3028:                             ;   in Loop: Header=BB4_2583 Depth=4
	s_or_b64 exec, exec, s[28:29]
                                        ; implicit-def: $vgpr6
.LBB4_3029:                             ;   in Loop: Header=BB4_2583 Depth=4
	s_andn2_saveexec_b64 s[28:29], s[30:31]
; %bb.3030:                             ;   in Loop: Header=BB4_2583 Depth=4
	v_or_b32_sdwa v17, v6, s68 dst_sel:DWORD dst_unused:UNUSED_PAD src0_sel:BYTE_3 src1_sel:DWORD
; %bb.3031:                             ;   in Loop: Header=BB4_2583 Depth=4
	s_or_b64 exec, exec, s[28:29]
	v_mov_b32_e32 v2, v9
	v_cmp_ne_u16_sdwa vcc, v9, v3 src0_sel:BYTE_0 src1_sel:DWORD
	v_mov_b32_e32 v4, 0
	s_and_saveexec_b64 s[28:29], vcc
	s_cbranch_execz .LBB4_3037
; %bb.3032:                             ;   in Loop: Header=BB4_2583 Depth=4
	v_cmp_ne_u16_sdwa vcc, v9, s70 src0_sel:BYTE_0 src1_sel:DWORD
	v_bfrev_b32_e32 v4, 1
	s_and_saveexec_b64 s[30:31], vcc
	s_cbranch_execz .LBB4_3036
; %bb.3033:                             ;   in Loop: Header=BB4_2583 Depth=4
	v_and_b32_e32 v6, 0x7f, v9
	v_cmp_ne_u32_e32 vcc, s68, v6
	v_mov_b32_e32 v4, 0x7f800001
	s_and_saveexec_b64 s[34:35], vcc
	s_cbranch_execz .LBB4_3035
; %bb.3034:                             ;   in Loop: Header=BB4_2583 Depth=4
	v_and_b32_e32 v4, 7, v9
	v_ffbh_u32_e32 v4, v4
	v_min_u32_e32 v4, 32, v4
	v_lshrrev_b32_e32 v12, 3, v6
	v_cmp_gt_u32_e32 vcc, 8, v6
	v_subrev_u32_e32 v6, 28, v4
	v_sub_u32_e32 v4, 29, v4
	v_cndmask_b32_e32 v6, 0, v6, vcc
	v_cndmask_b32_e32 v4, v12, v4, vcc
	v_lshlrev_b64 v[12:13], v6, v[2:3]
	v_lshl_add_u32 v4, v4, 23, v5
	v_lshlrev_b32_e32 v6, 20, v12
	v_lshlrev_b32_e32 v12, 24, v2
	v_and_b32_e32 v6, 0x700000, v6
	v_and_b32_e32 v12, 0x80000000, v12
	v_or3_b32 v4, v12, v4, v6
.LBB4_3035:                             ;   in Loop: Header=BB4_2583 Depth=4
	s_or_b64 exec, exec, s[34:35]
.LBB4_3036:                             ;   in Loop: Header=BB4_2583 Depth=4
	s_or_b64 exec, exec, s[30:31]
.LBB4_3037:                             ;   in Loop: Header=BB4_2583 Depth=4
	s_or_b64 exec, exec, s[28:29]
	v_mul_f32_e32 v6, v7, v4
	v_and_b32_e32 v12, 0x7f800000, v6
	v_mov_b32_e32 v13, v3
	v_cmp_ne_u64_e32 vcc, s[62:63], v[12:13]
                                        ; implicit-def: $vgpr20
	s_and_saveexec_b64 s[28:29], vcc
	s_xor_b64 s[30:31], exec, s[28:29]
	s_cbranch_execz .LBB4_3051
; %bb.3038:                             ;   in Loop: Header=BB4_2583 Depth=4
	v_and_b32_e32 v12, 0x7fffffff, v6
	v_mov_b32_e32 v13, v3
	v_cmp_gt_u64_e32 vcc, s[72:73], v[12:13]
	v_and_b32_sdwa v4, v6, s70 dst_sel:DWORD dst_unused:UNUSED_PAD src0_sel:BYTE_3 src1_sel:DWORD
                                        ; implicit-def: $vgpr20
	s_and_saveexec_b64 s[28:29], vcc
	s_xor_b64 s[34:35], exec, s[28:29]
	s_cbranch_execz .LBB4_3048
; %bb.3039:                             ;   in Loop: Header=BB4_2583 Depth=4
	v_mov_b32_e32 v20, 0
	v_cmp_ne_u32_e32 vcc, 0, v6
	s_and_saveexec_b64 s[36:37], vcc
	s_cbranch_execz .LBB4_3047
; %bb.3040:                             ;   in Loop: Header=BB4_2583 Depth=4
	v_and_b32_e32 v12, 0x7fffff, v6
	v_bfe_u32 v6, v6, 23, 8
	v_cmp_gt_u32_e64 s[28:29], s71, v6
	v_sub_u32_e32 v13, 0x79, v6
	v_cmp_eq_u32_e32 vcc, 0, v6
	v_cndmask_b32_e64 v13, 0, v13, s[28:29]
	v_mov_b32_e32 v15, 0x78
	v_or_b32_e32 v14, 0x800000, v12
	v_cndmask_b32_e32 v15, v13, v15, vcc
	v_cndmask_b32_e32 v12, v14, v12, vcc
	v_add_u32_e32 v14, 20, v15
	v_lshlrev_b64 v[24:25], v14, -1
	v_mov_b32_e32 v13, v3
	v_add_u32_e32 v14, 19, v15
	v_bfi_b32 v24, v24, 0, v12
	v_lshlrev_b64 v[38:39], v14, 1
	v_lshrrev_b64 v[12:13], v15, v[12:13]
	v_bfi_b32 v25, v25, 0, 0
	v_cmp_eq_u64_e64 s[28:29], v[24:25], v[38:39]
	v_mov_b32_e32 v14, v13
	v_mov_b32_e32 v13, v12
	s_and_saveexec_b64 s[38:39], s[28:29]
; %bb.3041:                             ;   in Loop: Header=BB4_2583 Depth=4
	v_bfe_u32 v13, v12, 20, 1
	v_add_co_u32_e64 v13, s[28:29], v12, v13
	v_add_co_u32_e64 v13, s[28:29], -1, v13
; %bb.3042:                             ;   in Loop: Header=BB4_2583 Depth=4
	s_or_b64 exec, exec, s[38:39]
	v_add_u32_e32 v6, 0xffffff81, v6
	v_mov_b32_e32 v14, 0xffffff82
	v_cndmask_b32_e32 v6, v6, v14, vcc
	v_lshrrev_b32_e32 v14, 23, v12
	v_add3_u32 v15, v15, v6, v14
	v_add_u32_e32 v14, 6, v15
	v_and_b32_e32 v6, 0xfffff, v13
	v_add_u32_e32 v12, v6, v12
	v_mov_b32_e32 v13, v3
	v_cmp_ne_u32_e32 vcc, 0, v14
                                        ; implicit-def: $vgpr6
	s_and_saveexec_b64 s[28:29], vcc
	s_xor_b64 s[28:29], exec, s[28:29]
; %bb.3043:                             ;   in Loop: Header=BB4_2583 Depth=4
	v_cmp_lt_u64_e32 vcc, s[74:75], v[12:13]
	v_add_u32_e32 v6, 7, v15
	v_cndmask_b32_e32 v6, v14, v6, vcc
	v_cndmask_b32_e64 v14, 0, 1, vcc
	v_lshrrev_b64 v[12:13], v14, v[12:13]
; %bb.3044:                             ;   in Loop: Header=BB4_2583 Depth=4
	s_andn2_saveexec_b64 s[28:29], s[28:29]
; %bb.3045:                             ;   in Loop: Header=BB4_2583 Depth=4
	v_bfe_u32 v6, v12, 23, 1
; %bb.3046:                             ;   in Loop: Header=BB4_2583 Depth=4
	s_or_b64 exec, exec, s[28:29]
	v_lshrrev_b64 v[12:13], 20, v[12:13]
	v_cmp_gt_i32_e32 vcc, 16, v6
	v_cndmask_b32_e32 v13, 0, v13, vcc
	v_cndmask_b32_e32 v12, 7, v12, vcc
	v_cmp_eq_u32_e32 vcc, 0, v6
	v_min_i32_e32 v6, 15, v6
	v_cmp_eq_u64_e64 s[28:29], 0, v[12:13]
	v_lshlrev_b32_e32 v6, 3, v6
	v_and_b32_e32 v6, 0xf8, v6
	v_and_or_b32 v6, v12, 7, v6
	s_and_b64 s[28:29], vcc, s[28:29]
	v_cndmask_b32_e64 v6, v6, 0, s[28:29]
	v_or_b32_e32 v20, v6, v4
.LBB4_3047:                             ;   in Loop: Header=BB4_2583 Depth=4
	s_or_b64 exec, exec, s[36:37]
                                        ; implicit-def: $vgpr4
.LBB4_3048:                             ;   in Loop: Header=BB4_2583 Depth=4
	s_andn2_saveexec_b64 s[28:29], s[34:35]
; %bb.3049:                             ;   in Loop: Header=BB4_2583 Depth=4
	v_or_b32_e32 v20, 0x7e, v4
; %bb.3050:                             ;   in Loop: Header=BB4_2583 Depth=4
	s_or_b64 exec, exec, s[28:29]
                                        ; implicit-def: $vgpr6
.LBB4_3051:                             ;   in Loop: Header=BB4_2583 Depth=4
	s_andn2_saveexec_b64 s[28:29], s[30:31]
; %bb.3052:                             ;   in Loop: Header=BB4_2583 Depth=4
	v_or_b32_sdwa v20, v6, s68 dst_sel:DWORD dst_unused:UNUSED_PAD src0_sel:BYTE_3 src1_sel:DWORD
; %bb.3053:                             ;   in Loop: Header=BB4_2583 Depth=4
	s_or_b64 exec, exec, s[28:29]
	v_lshrrev_b16_e32 v12, 8, v2
	v_cmp_ne_u16_e32 vcc, 0, v12
	v_mov_b32_e32 v4, 0
	s_and_saveexec_b64 s[28:29], vcc
	s_cbranch_execz .LBB4_3059
; %bb.3054:                             ;   in Loop: Header=BB4_2583 Depth=4
	v_cmp_ne_u16_e32 vcc, s70, v12
	v_bfrev_b32_e32 v4, 1
	s_and_saveexec_b64 s[30:31], vcc
	s_cbranch_execz .LBB4_3058
; %bb.3055:                             ;   in Loop: Header=BB4_2583 Depth=4
	v_and_b32_e32 v6, 0x7f, v12
	v_cmp_ne_u32_e32 vcc, s68, v6
	v_mov_b32_e32 v4, 0x7f800001
	s_and_saveexec_b64 s[34:35], vcc
	s_cbranch_execz .LBB4_3057
; %bb.3056:                             ;   in Loop: Header=BB4_2583 Depth=4
	v_and_b32_e32 v4, 7, v12
	v_lshrrev_b32_e32 v14, 3, v6
	v_cmp_gt_u32_e32 vcc, 8, v6
	v_ffbh_u32_e32 v6, v4
	v_min_u32_e32 v6, 32, v6
	v_subrev_u32_e32 v13, 28, v6
	v_lshlrev_b64 v[12:13], v13, v[12:13]
	v_sub_u32_e32 v6, 29, v6
	v_and_b32_e32 v12, 7, v12
	v_cndmask_b32_e32 v6, v14, v6, vcc
	v_cndmask_b32_e32 v4, v4, v12, vcc
	v_lshlrev_b32_e32 v2, 16, v2
	v_lshlrev_b32_e32 v4, 20, v4
	v_and_b32_e32 v2, 0x80000000, v2
	v_lshl_add_u32 v6, v6, 23, v5
	v_or3_b32 v4, v2, v6, v4
.LBB4_3057:                             ;   in Loop: Header=BB4_2583 Depth=4
	s_or_b64 exec, exec, s[34:35]
.LBB4_3058:                             ;   in Loop: Header=BB4_2583 Depth=4
	s_or_b64 exec, exec, s[30:31]
.LBB4_3059:                             ;   in Loop: Header=BB4_2583 Depth=4
	s_or_b64 exec, exec, s[28:29]
	v_mul_f32_e32 v6, v7, v4
	v_and_b32_e32 v2, 0x7f800000, v6
	v_cmp_ne_u64_e32 vcc, s[62:63], v[2:3]
                                        ; implicit-def: $vgpr39
	s_and_saveexec_b64 s[28:29], vcc
	s_xor_b64 s[30:31], exec, s[28:29]
	s_cbranch_execz .LBB4_3073
; %bb.3060:                             ;   in Loop: Header=BB4_2583 Depth=4
	v_and_b32_e32 v2, 0x7fffffff, v6
	v_cmp_gt_u64_e32 vcc, s[72:73], v[2:3]
	v_and_b32_sdwa v4, v6, s70 dst_sel:DWORD dst_unused:UNUSED_PAD src0_sel:BYTE_3 src1_sel:DWORD
                                        ; implicit-def: $vgpr39
	s_and_saveexec_b64 s[28:29], vcc
	s_xor_b64 s[34:35], exec, s[28:29]
	s_cbranch_execz .LBB4_3070
; %bb.3061:                             ;   in Loop: Header=BB4_2583 Depth=4
	v_mov_b32_e32 v39, 0
	v_cmp_ne_u32_e32 vcc, 0, v6
	s_and_saveexec_b64 s[36:37], vcc
	s_cbranch_execz .LBB4_3069
; %bb.3062:                             ;   in Loop: Header=BB4_2583 Depth=4
	v_and_b32_e32 v2, 0x7fffff, v6
	v_bfe_u32 v6, v6, 23, 8
	v_cmp_gt_u32_e64 s[28:29], s71, v6
	v_sub_u32_e32 v12, 0x79, v6
	v_cmp_eq_u32_e32 vcc, 0, v6
	v_cndmask_b32_e64 v12, 0, v12, s[28:29]
	v_mov_b32_e32 v14, 0x78
	v_cndmask_b32_e32 v15, v12, v14, vcc
	v_or_b32_e32 v13, 0x800000, v2
	v_add_u32_e32 v12, 20, v15
	v_cndmask_b32_e32 v2, v13, v2, vcc
	v_lshlrev_b64 v[12:13], v12, -1
	v_add_u32_e32 v14, 19, v15
	v_lshlrev_b64 v[24:25], v14, 1
	v_bfi_b32 v13, v13, 0, 0
	v_bfi_b32 v12, v12, 0, v2
	v_cmp_eq_u64_e64 s[28:29], v[12:13], v[24:25]
	v_lshrrev_b64 v[12:13], v15, v[2:3]
	v_mov_b32_e32 v14, v13
	v_mov_b32_e32 v13, v12
	s_and_saveexec_b64 s[38:39], s[28:29]
; %bb.3063:                             ;   in Loop: Header=BB4_2583 Depth=4
	v_bfe_u32 v2, v12, 20, 1
	v_add_co_u32_e64 v2, s[28:29], v12, v2
	v_add_co_u32_e64 v13, s[28:29], -1, v2
; %bb.3064:                             ;   in Loop: Header=BB4_2583 Depth=4
	s_or_b64 exec, exec, s[38:39]
	v_add_u32_e32 v2, 0xffffff81, v6
	v_mov_b32_e32 v6, 0xffffff82
	v_cndmask_b32_e32 v2, v2, v6, vcc
	v_lshrrev_b32_e32 v6, 23, v12
	v_add3_u32 v15, v15, v2, v6
	v_add_u32_e32 v14, 6, v15
	v_and_b32_e32 v2, 0xfffff, v13
	v_add_u32_e32 v2, v2, v12
	v_cmp_ne_u32_e32 vcc, 0, v14
                                        ; implicit-def: $vgpr12_vgpr13
                                        ; implicit-def: $vgpr6
	s_and_saveexec_b64 s[28:29], vcc
	s_xor_b64 s[28:29], exec, s[28:29]
; %bb.3065:                             ;   in Loop: Header=BB4_2583 Depth=4
	v_cmp_lt_u64_e32 vcc, s[74:75], v[2:3]
	v_add_u32_e32 v6, 7, v15
	v_cndmask_b32_e64 v12, 0, 1, vcc
	v_lshrrev_b64 v[12:13], v12, v[2:3]
	v_cndmask_b32_e32 v6, v14, v6, vcc
; %bb.3066:                             ;   in Loop: Header=BB4_2583 Depth=4
	s_andn2_saveexec_b64 s[28:29], s[28:29]
; %bb.3067:                             ;   in Loop: Header=BB4_2583 Depth=4
	v_mov_b32_e32 v13, v3
	v_bfe_u32 v6, v2, 23, 1
	v_mov_b32_e32 v12, v2
; %bb.3068:                             ;   in Loop: Header=BB4_2583 Depth=4
	s_or_b64 exec, exec, s[28:29]
	v_lshrrev_b64 v[12:13], 20, v[12:13]
	v_cmp_gt_i32_e32 vcc, 16, v6
	v_cndmask_b32_e32 v13, 0, v13, vcc
	v_cndmask_b32_e32 v12, 7, v12, vcc
	v_min_i32_e32 v2, 15, v6
	v_cmp_eq_u64_e64 s[28:29], 0, v[12:13]
	v_lshlrev_b32_e32 v2, 3, v2
	v_cmp_eq_u32_e32 vcc, 0, v6
	v_and_b32_e32 v2, 0xf8, v2
	v_and_or_b32 v2, v12, 7, v2
	s_and_b64 s[28:29], vcc, s[28:29]
	v_cndmask_b32_e64 v2, v2, 0, s[28:29]
	v_or_b32_e32 v39, v2, v4
.LBB4_3069:                             ;   in Loop: Header=BB4_2583 Depth=4
	s_or_b64 exec, exec, s[36:37]
                                        ; implicit-def: $vgpr4
.LBB4_3070:                             ;   in Loop: Header=BB4_2583 Depth=4
	s_andn2_saveexec_b64 s[28:29], s[34:35]
; %bb.3071:                             ;   in Loop: Header=BB4_2583 Depth=4
	v_or_b32_e32 v39, 0x7e, v4
; %bb.3072:                             ;   in Loop: Header=BB4_2583 Depth=4
	s_or_b64 exec, exec, s[28:29]
                                        ; implicit-def: $vgpr6
.LBB4_3073:                             ;   in Loop: Header=BB4_2583 Depth=4
	s_andn2_saveexec_b64 s[28:29], s[30:31]
; %bb.3074:                             ;   in Loop: Header=BB4_2583 Depth=4
	v_or_b32_sdwa v39, v6, s68 dst_sel:DWORD dst_unused:UNUSED_PAD src0_sel:BYTE_3 src1_sel:DWORD
; %bb.3075:                             ;   in Loop: Header=BB4_2583 Depth=4
	s_or_b64 exec, exec, s[28:29]
	v_lshrrev_b32_e32 v2, 16, v9
	v_cmp_ne_u16_sdwa vcc, v2, v3 src0_sel:BYTE_0 src1_sel:DWORD
	v_mov_b32_e32 v4, 0
	s_and_saveexec_b64 s[28:29], vcc
	s_cbranch_execz .LBB4_3081
; %bb.3076:                             ;   in Loop: Header=BB4_2583 Depth=4
	v_cmp_ne_u16_sdwa vcc, v2, s70 src0_sel:BYTE_0 src1_sel:DWORD
	v_bfrev_b32_e32 v4, 1
	s_and_saveexec_b64 s[30:31], vcc
	s_cbranch_execz .LBB4_3080
; %bb.3077:                             ;   in Loop: Header=BB4_2583 Depth=4
	v_bfe_u32 v6, v9, 16, 7
	v_cmp_ne_u32_e32 vcc, s68, v6
	v_mov_b32_e32 v4, 0x7f800001
	s_and_saveexec_b64 s[34:35], vcc
	s_cbranch_execz .LBB4_3079
; %bb.3078:                             ;   in Loop: Header=BB4_2583 Depth=4
	v_and_b32_e32 v4, 7, v2
	v_lshrrev_b32_e32 v14, 3, v6
	v_cmp_gt_u32_e32 vcc, 8, v6
	v_ffbh_u32_e32 v6, v4
	v_min_u32_e32 v6, 32, v6
	v_subrev_u32_e32 v12, 28, v6
	v_lshlrev_b64 v[12:13], v12, v[2:3]
	v_sub_u32_e32 v6, 29, v6
	v_and_b32_e32 v12, 7, v12
	v_cndmask_b32_e32 v6, v14, v6, vcc
	v_cndmask_b32_e32 v4, v4, v12, vcc
	v_lshlrev_b32_e32 v2, 24, v2
	v_lshlrev_b32_e32 v4, 20, v4
	v_and_b32_e32 v2, 0x80000000, v2
	v_lshl_add_u32 v6, v6, 23, v5
	v_or3_b32 v4, v2, v6, v4
.LBB4_3079:                             ;   in Loop: Header=BB4_2583 Depth=4
	s_or_b64 exec, exec, s[34:35]
.LBB4_3080:                             ;   in Loop: Header=BB4_2583 Depth=4
	s_or_b64 exec, exec, s[30:31]
.LBB4_3081:                             ;   in Loop: Header=BB4_2583 Depth=4
	s_or_b64 exec, exec, s[28:29]
	v_mul_f32_e32 v6, v7, v4
	v_and_b32_e32 v2, 0x7f800000, v6
	v_cmp_ne_u64_e32 vcc, s[62:63], v[2:3]
                                        ; implicit-def: $vgpr50
	s_and_saveexec_b64 s[28:29], vcc
	s_xor_b64 s[30:31], exec, s[28:29]
	s_cbranch_execz .LBB4_3095
; %bb.3082:                             ;   in Loop: Header=BB4_2583 Depth=4
	v_and_b32_e32 v2, 0x7fffffff, v6
	v_cmp_gt_u64_e32 vcc, s[72:73], v[2:3]
	v_and_b32_sdwa v4, v6, s70 dst_sel:DWORD dst_unused:UNUSED_PAD src0_sel:BYTE_3 src1_sel:DWORD
                                        ; implicit-def: $vgpr50
	s_and_saveexec_b64 s[28:29], vcc
	s_xor_b64 s[34:35], exec, s[28:29]
	s_cbranch_execz .LBB4_3092
; %bb.3083:                             ;   in Loop: Header=BB4_2583 Depth=4
	v_mov_b32_e32 v50, 0
	v_cmp_ne_u32_e32 vcc, 0, v6
	s_and_saveexec_b64 s[36:37], vcc
	s_cbranch_execz .LBB4_3091
; %bb.3084:                             ;   in Loop: Header=BB4_2583 Depth=4
	v_and_b32_e32 v2, 0x7fffff, v6
	v_bfe_u32 v6, v6, 23, 8
	v_cmp_gt_u32_e64 s[28:29], s71, v6
	v_sub_u32_e32 v12, 0x79, v6
	v_cmp_eq_u32_e32 vcc, 0, v6
	v_cndmask_b32_e64 v12, 0, v12, s[28:29]
	v_mov_b32_e32 v14, 0x78
	v_cndmask_b32_e32 v15, v12, v14, vcc
	v_or_b32_e32 v13, 0x800000, v2
	v_add_u32_e32 v12, 20, v15
	v_cndmask_b32_e32 v2, v13, v2, vcc
	v_lshlrev_b64 v[12:13], v12, -1
	v_add_u32_e32 v14, 19, v15
	v_lshlrev_b64 v[24:25], v14, 1
	v_bfi_b32 v13, v13, 0, 0
	v_bfi_b32 v12, v12, 0, v2
	v_cmp_eq_u64_e64 s[28:29], v[12:13], v[24:25]
	v_lshrrev_b64 v[12:13], v15, v[2:3]
	v_mov_b32_e32 v14, v13
	v_mov_b32_e32 v13, v12
	s_and_saveexec_b64 s[38:39], s[28:29]
; %bb.3085:                             ;   in Loop: Header=BB4_2583 Depth=4
	v_bfe_u32 v2, v12, 20, 1
	v_add_co_u32_e64 v2, s[28:29], v12, v2
	v_add_co_u32_e64 v13, s[28:29], -1, v2
; %bb.3086:                             ;   in Loop: Header=BB4_2583 Depth=4
	s_or_b64 exec, exec, s[38:39]
	v_add_u32_e32 v2, 0xffffff81, v6
	v_mov_b32_e32 v6, 0xffffff82
	v_cndmask_b32_e32 v2, v2, v6, vcc
	v_lshrrev_b32_e32 v6, 23, v12
	v_add3_u32 v15, v15, v2, v6
	v_add_u32_e32 v14, 6, v15
	v_and_b32_e32 v2, 0xfffff, v13
	v_add_u32_e32 v2, v2, v12
	v_cmp_ne_u32_e32 vcc, 0, v14
                                        ; implicit-def: $vgpr12_vgpr13
                                        ; implicit-def: $vgpr6
	s_and_saveexec_b64 s[28:29], vcc
	s_xor_b64 s[28:29], exec, s[28:29]
; %bb.3087:                             ;   in Loop: Header=BB4_2583 Depth=4
	v_cmp_lt_u64_e32 vcc, s[74:75], v[2:3]
	v_add_u32_e32 v6, 7, v15
	v_cndmask_b32_e64 v12, 0, 1, vcc
	v_lshrrev_b64 v[12:13], v12, v[2:3]
	v_cndmask_b32_e32 v6, v14, v6, vcc
; %bb.3088:                             ;   in Loop: Header=BB4_2583 Depth=4
	s_andn2_saveexec_b64 s[28:29], s[28:29]
; %bb.3089:                             ;   in Loop: Header=BB4_2583 Depth=4
	v_mov_b32_e32 v13, v3
	v_bfe_u32 v6, v2, 23, 1
	v_mov_b32_e32 v12, v2
; %bb.3090:                             ;   in Loop: Header=BB4_2583 Depth=4
	s_or_b64 exec, exec, s[28:29]
	v_lshrrev_b64 v[12:13], 20, v[12:13]
	v_cmp_gt_i32_e32 vcc, 16, v6
	v_cndmask_b32_e32 v13, 0, v13, vcc
	v_cndmask_b32_e32 v12, 7, v12, vcc
	v_min_i32_e32 v2, 15, v6
	v_cmp_eq_u64_e64 s[28:29], 0, v[12:13]
	v_lshlrev_b32_e32 v2, 3, v2
	v_cmp_eq_u32_e32 vcc, 0, v6
	v_and_b32_e32 v2, 0xf8, v2
	v_and_or_b32 v2, v12, 7, v2
	s_and_b64 s[28:29], vcc, s[28:29]
	v_cndmask_b32_e64 v2, v2, 0, s[28:29]
	v_or_b32_e32 v50, v2, v4
.LBB4_3091:                             ;   in Loop: Header=BB4_2583 Depth=4
	s_or_b64 exec, exec, s[36:37]
                                        ; implicit-def: $vgpr4
.LBB4_3092:                             ;   in Loop: Header=BB4_2583 Depth=4
	s_andn2_saveexec_b64 s[28:29], s[34:35]
; %bb.3093:                             ;   in Loop: Header=BB4_2583 Depth=4
	v_or_b32_e32 v50, 0x7e, v4
; %bb.3094:                             ;   in Loop: Header=BB4_2583 Depth=4
	s_or_b64 exec, exec, s[28:29]
                                        ; implicit-def: $vgpr6
.LBB4_3095:                             ;   in Loop: Header=BB4_2583 Depth=4
	s_andn2_saveexec_b64 s[28:29], s[30:31]
; %bb.3096:                             ;   in Loop: Header=BB4_2583 Depth=4
	v_or_b32_sdwa v50, v6, s68 dst_sel:DWORD dst_unused:UNUSED_PAD src0_sel:BYTE_3 src1_sel:DWORD
; %bb.3097:                             ;   in Loop: Header=BB4_2583 Depth=4
	s_or_b64 exec, exec, s[28:29]
	v_cmp_lt_u64_e32 vcc, s[56:57], v[8:9]
	v_mov_b32_e32 v4, 0
	s_and_saveexec_b64 s[28:29], vcc
	s_cbranch_execz .LBB4_3103
; %bb.3098:                             ;   in Loop: Header=BB4_2583 Depth=4
	v_lshrrev_b32_e32 v2, 24, v9
	v_cmp_ne_u32_e32 vcc, s70, v2
	v_bfrev_b32_e32 v4, 1
	s_and_saveexec_b64 s[30:31], vcc
	s_cbranch_execz .LBB4_3102
; %bb.3099:                             ;   in Loop: Header=BB4_2583 Depth=4
	v_bfe_u32 v6, v9, 24, 7
	v_cmp_ne_u32_e32 vcc, s68, v6
	v_mov_b32_e32 v4, 0x7f800001
	s_and_saveexec_b64 s[34:35], vcc
	s_cbranch_execz .LBB4_3101
; %bb.3100:                             ;   in Loop: Header=BB4_2583 Depth=4
	v_and_b32_e32 v4, 7, v2
	v_lshrrev_b32_e32 v12, 3, v6
	v_cmp_gt_u32_e32 vcc, 8, v6
	v_ffbh_u32_e32 v6, v4
	v_min_u32_e32 v6, 32, v6
	v_subrev_u32_e32 v8, 28, v6
	v_lshlrev_b64 v[8:9], v8, v[2:3]
	v_sub_u32_e32 v6, 29, v6
	v_and_b32_e32 v8, 7, v8
	v_cndmask_b32_e32 v6, v12, v6, vcc
	v_cndmask_b32_e32 v4, v4, v8, vcc
	v_lshlrev_b32_e32 v2, 24, v2
	v_lshlrev_b32_e32 v4, 20, v4
	v_and_b32_e32 v2, 0x80000000, v2
	v_lshl_add_u32 v6, v6, 23, v5
	v_or3_b32 v4, v2, v6, v4
.LBB4_3101:                             ;   in Loop: Header=BB4_2583 Depth=4
	s_or_b64 exec, exec, s[34:35]
.LBB4_3102:                             ;   in Loop: Header=BB4_2583 Depth=4
	s_or_b64 exec, exec, s[30:31]
.LBB4_3103:                             ;   in Loop: Header=BB4_2583 Depth=4
	s_or_b64 exec, exec, s[28:29]
	v_mul_f32_e32 v6, v7, v4
	v_and_b32_e32 v2, 0x7f800000, v6
	v_cmp_ne_u64_e32 vcc, s[62:63], v[2:3]
                                        ; implicit-def: $vgpr38
	s_and_saveexec_b64 s[28:29], vcc
	s_xor_b64 s[30:31], exec, s[28:29]
	s_cbranch_execz .LBB4_3117
; %bb.3104:                             ;   in Loop: Header=BB4_2583 Depth=4
	v_and_b32_e32 v2, 0x7fffffff, v6
	v_cmp_gt_u64_e32 vcc, s[72:73], v[2:3]
	v_and_b32_sdwa v4, v6, s70 dst_sel:DWORD dst_unused:UNUSED_PAD src0_sel:BYTE_3 src1_sel:DWORD
                                        ; implicit-def: $vgpr38
	s_and_saveexec_b64 s[28:29], vcc
	s_xor_b64 s[34:35], exec, s[28:29]
	s_cbranch_execz .LBB4_3114
; %bb.3105:                             ;   in Loop: Header=BB4_2583 Depth=4
	v_mov_b32_e32 v38, 0
	v_cmp_ne_u32_e32 vcc, 0, v6
	s_and_saveexec_b64 s[36:37], vcc
	s_cbranch_execz .LBB4_3113
; %bb.3106:                             ;   in Loop: Header=BB4_2583 Depth=4
	v_and_b32_e32 v2, 0x7fffff, v6
	v_bfe_u32 v6, v6, 23, 8
	v_cmp_gt_u32_e64 s[28:29], s71, v6
	v_sub_u32_e32 v8, 0x79, v6
	v_cmp_eq_u32_e32 vcc, 0, v6
	v_cndmask_b32_e64 v8, 0, v8, s[28:29]
	v_mov_b32_e32 v12, 0x78
	v_cndmask_b32_e32 v14, v8, v12, vcc
	v_or_b32_e32 v9, 0x800000, v2
	v_add_u32_e32 v8, 20, v14
	v_cndmask_b32_e32 v2, v9, v2, vcc
	v_lshlrev_b64 v[8:9], v8, -1
	v_add_u32_e32 v12, 19, v14
	v_lshlrev_b64 v[12:13], v12, 1
	v_bfi_b32 v9, v9, 0, 0
	v_bfi_b32 v8, v8, 0, v2
	v_cmp_eq_u64_e64 s[28:29], v[8:9], v[12:13]
	v_lshrrev_b64 v[8:9], v14, v[2:3]
	v_mov_b32_e32 v13, v9
	v_mov_b32_e32 v12, v8
	s_and_saveexec_b64 s[38:39], s[28:29]
; %bb.3107:                             ;   in Loop: Header=BB4_2583 Depth=4
	v_bfe_u32 v2, v8, 20, 1
	v_add_co_u32_e64 v2, s[28:29], v8, v2
	v_add_co_u32_e64 v12, s[28:29], -1, v2
; %bb.3108:                             ;   in Loop: Header=BB4_2583 Depth=4
	s_or_b64 exec, exec, s[38:39]
	v_add_u32_e32 v2, 0xffffff81, v6
	v_mov_b32_e32 v6, 0xffffff82
	v_cndmask_b32_e32 v2, v2, v6, vcc
	v_lshrrev_b32_e32 v6, 23, v8
	v_add3_u32 v14, v14, v2, v6
	v_add_u32_e32 v13, 6, v14
	v_and_b32_e32 v2, 0xfffff, v12
	v_add_u32_e32 v2, v2, v8
	v_cmp_ne_u32_e32 vcc, 0, v13
                                        ; implicit-def: $vgpr8_vgpr9
                                        ; implicit-def: $vgpr6
	s_and_saveexec_b64 s[28:29], vcc
	s_xor_b64 s[28:29], exec, s[28:29]
; %bb.3109:                             ;   in Loop: Header=BB4_2583 Depth=4
	v_cmp_lt_u64_e32 vcc, s[74:75], v[2:3]
	v_add_u32_e32 v6, 7, v14
	v_cndmask_b32_e64 v8, 0, 1, vcc
	v_lshrrev_b64 v[8:9], v8, v[2:3]
	v_cndmask_b32_e32 v6, v13, v6, vcc
; %bb.3110:                             ;   in Loop: Header=BB4_2583 Depth=4
	s_andn2_saveexec_b64 s[28:29], s[28:29]
; %bb.3111:                             ;   in Loop: Header=BB4_2583 Depth=4
	v_mov_b32_e32 v9, v3
	v_bfe_u32 v6, v2, 23, 1
	v_mov_b32_e32 v8, v2
; %bb.3112:                             ;   in Loop: Header=BB4_2583 Depth=4
	s_or_b64 exec, exec, s[28:29]
	v_lshrrev_b64 v[8:9], 20, v[8:9]
	v_cmp_gt_i32_e32 vcc, 16, v6
	v_cndmask_b32_e32 v9, 0, v9, vcc
	v_cndmask_b32_e32 v8, 7, v8, vcc
	v_min_i32_e32 v2, 15, v6
	v_cmp_eq_u64_e64 s[28:29], 0, v[8:9]
	v_lshlrev_b32_e32 v2, 3, v2
	v_cmp_eq_u32_e32 vcc, 0, v6
	v_and_b32_e32 v2, 0xf8, v2
	v_and_or_b32 v2, v8, 7, v2
	s_and_b64 s[28:29], vcc, s[28:29]
	v_cndmask_b32_e64 v2, v2, 0, s[28:29]
	v_or_b32_e32 v38, v2, v4
.LBB4_3113:                             ;   in Loop: Header=BB4_2583 Depth=4
	s_or_b64 exec, exec, s[36:37]
                                        ; implicit-def: $vgpr4
.LBB4_3114:                             ;   in Loop: Header=BB4_2583 Depth=4
	s_andn2_saveexec_b64 s[28:29], s[34:35]
; %bb.3115:                             ;   in Loop: Header=BB4_2583 Depth=4
	v_or_b32_e32 v38, 0x7e, v4
; %bb.3116:                             ;   in Loop: Header=BB4_2583 Depth=4
	s_or_b64 exec, exec, s[28:29]
                                        ; implicit-def: $vgpr6
.LBB4_3117:                             ;   in Loop: Header=BB4_2583 Depth=4
	s_andn2_saveexec_b64 s[28:29], s[30:31]
; %bb.3118:                             ;   in Loop: Header=BB4_2583 Depth=4
	v_or_b32_sdwa v38, v6, s68 dst_sel:DWORD dst_unused:UNUSED_PAD src0_sel:BYTE_3 src1_sel:DWORD
; %bb.3119:                             ;   in Loop: Header=BB4_2583 Depth=4
	s_or_b64 exec, exec, s[28:29]
	v_cmp_ne_u16_sdwa vcc, v10, v3 src0_sel:BYTE_0 src1_sel:DWORD
	v_mov_b32_e32 v2, 0
	s_and_saveexec_b64 s[28:29], vcc
	s_cbranch_execz .LBB4_3125
; %bb.3120:                             ;   in Loop: Header=BB4_2583 Depth=4
	v_cmp_ne_u16_sdwa vcc, v10, s70 src0_sel:BYTE_0 src1_sel:DWORD
	v_bfrev_b32_e32 v2, 1
	s_and_saveexec_b64 s[30:31], vcc
	s_cbranch_execz .LBB4_3124
; %bb.3121:                             ;   in Loop: Header=BB4_2583 Depth=4
	v_and_b32_e32 v4, 0x7f, v10
	v_cmp_ne_u32_e32 vcc, s68, v4
	v_mov_b32_e32 v2, 0x7f800001
	s_and_saveexec_b64 s[34:35], vcc
	s_cbranch_execz .LBB4_3123
; %bb.3122:                             ;   in Loop: Header=BB4_2583 Depth=4
	v_and_b32_e32 v2, 7, v10
	v_ffbh_u32_e32 v2, v2
	v_min_u32_e32 v2, 32, v2
	v_lshrrev_b32_e32 v6, 3, v4
	v_cmp_gt_u32_e32 vcc, 8, v4
	v_subrev_u32_e32 v4, 28, v2
	v_cndmask_b32_e32 v4, 0, v4, vcc
	v_lshlrev_b64 v[8:9], v4, v[10:11]
	v_sub_u32_e32 v2, 29, v2
	v_cndmask_b32_e32 v2, v6, v2, vcc
	v_lshlrev_b32_e32 v4, 20, v8
	v_lshlrev_b32_e32 v6, 24, v10
	v_and_b32_e32 v4, 0x700000, v4
	v_and_b32_e32 v6, 0x80000000, v6
	v_lshl_add_u32 v2, v2, 23, v5
	v_or3_b32 v2, v6, v2, v4
.LBB4_3123:                             ;   in Loop: Header=BB4_2583 Depth=4
	s_or_b64 exec, exec, s[34:35]
.LBB4_3124:                             ;   in Loop: Header=BB4_2583 Depth=4
	s_or_b64 exec, exec, s[30:31]
.LBB4_3125:                             ;   in Loop: Header=BB4_2583 Depth=4
	s_or_b64 exec, exec, s[28:29]
	v_mul_f32_e32 v6, v7, v2
	v_and_b32_e32 v2, 0x7f800000, v6
	v_cmp_ne_u64_e32 vcc, s[62:63], v[2:3]
                                        ; implicit-def: $vgpr16
	s_and_saveexec_b64 s[28:29], vcc
	s_xor_b64 s[30:31], exec, s[28:29]
	s_cbranch_execz .LBB4_3139
; %bb.3126:                             ;   in Loop: Header=BB4_2583 Depth=4
	v_and_b32_e32 v2, 0x7fffffff, v6
	v_cmp_gt_u64_e32 vcc, s[72:73], v[2:3]
	v_and_b32_sdwa v4, v6, s70 dst_sel:DWORD dst_unused:UNUSED_PAD src0_sel:BYTE_3 src1_sel:DWORD
                                        ; implicit-def: $vgpr16
	s_and_saveexec_b64 s[28:29], vcc
	s_xor_b64 s[34:35], exec, s[28:29]
	s_cbranch_execz .LBB4_3136
; %bb.3127:                             ;   in Loop: Header=BB4_2583 Depth=4
	v_mov_b32_e32 v16, 0
	v_cmp_ne_u32_e32 vcc, 0, v6
	s_and_saveexec_b64 s[36:37], vcc
	s_cbranch_execz .LBB4_3135
; %bb.3128:                             ;   in Loop: Header=BB4_2583 Depth=4
	v_and_b32_e32 v2, 0x7fffff, v6
	v_bfe_u32 v6, v6, 23, 8
	v_cmp_gt_u32_e64 s[28:29], s71, v6
	v_sub_u32_e32 v8, 0x79, v6
	v_cmp_eq_u32_e32 vcc, 0, v6
	v_cndmask_b32_e64 v8, 0, v8, s[28:29]
	v_mov_b32_e32 v12, 0x78
	v_cndmask_b32_e32 v14, v8, v12, vcc
	v_or_b32_e32 v9, 0x800000, v2
	v_add_u32_e32 v8, 20, v14
	v_cndmask_b32_e32 v2, v9, v2, vcc
	v_lshlrev_b64 v[8:9], v8, -1
	v_add_u32_e32 v12, 19, v14
	v_lshlrev_b64 v[12:13], v12, 1
	v_bfi_b32 v9, v9, 0, 0
	v_bfi_b32 v8, v8, 0, v2
	v_cmp_eq_u64_e64 s[28:29], v[8:9], v[12:13]
	v_lshrrev_b64 v[8:9], v14, v[2:3]
	v_mov_b32_e32 v13, v9
	v_mov_b32_e32 v12, v8
	s_and_saveexec_b64 s[38:39], s[28:29]
; %bb.3129:                             ;   in Loop: Header=BB4_2583 Depth=4
	v_bfe_u32 v2, v8, 20, 1
	v_add_co_u32_e64 v2, s[28:29], v8, v2
	v_add_co_u32_e64 v12, s[28:29], -1, v2
; %bb.3130:                             ;   in Loop: Header=BB4_2583 Depth=4
	s_or_b64 exec, exec, s[38:39]
	v_add_u32_e32 v2, 0xffffff81, v6
	v_mov_b32_e32 v6, 0xffffff82
	v_cndmask_b32_e32 v2, v2, v6, vcc
	v_lshrrev_b32_e32 v6, 23, v8
	v_add3_u32 v14, v14, v2, v6
	v_add_u32_e32 v13, 6, v14
	v_and_b32_e32 v2, 0xfffff, v12
	v_add_u32_e32 v2, v2, v8
	v_cmp_ne_u32_e32 vcc, 0, v13
                                        ; implicit-def: $vgpr8_vgpr9
                                        ; implicit-def: $vgpr6
	s_and_saveexec_b64 s[28:29], vcc
	s_xor_b64 s[28:29], exec, s[28:29]
; %bb.3131:                             ;   in Loop: Header=BB4_2583 Depth=4
	v_cmp_lt_u64_e32 vcc, s[74:75], v[2:3]
	v_add_u32_e32 v6, 7, v14
	v_cndmask_b32_e64 v8, 0, 1, vcc
	v_lshrrev_b64 v[8:9], v8, v[2:3]
	v_cndmask_b32_e32 v6, v13, v6, vcc
; %bb.3132:                             ;   in Loop: Header=BB4_2583 Depth=4
	s_andn2_saveexec_b64 s[28:29], s[28:29]
; %bb.3133:                             ;   in Loop: Header=BB4_2583 Depth=4
	v_mov_b32_e32 v9, v3
	v_bfe_u32 v6, v2, 23, 1
	v_mov_b32_e32 v8, v2
; %bb.3134:                             ;   in Loop: Header=BB4_2583 Depth=4
	s_or_b64 exec, exec, s[28:29]
	v_lshrrev_b64 v[8:9], 20, v[8:9]
	v_cmp_gt_i32_e32 vcc, 16, v6
	v_cndmask_b32_e32 v9, 0, v9, vcc
	v_cndmask_b32_e32 v8, 7, v8, vcc
	v_min_i32_e32 v2, 15, v6
	v_cmp_eq_u64_e64 s[28:29], 0, v[8:9]
	v_lshlrev_b32_e32 v2, 3, v2
	v_cmp_eq_u32_e32 vcc, 0, v6
	v_and_b32_e32 v2, 0xf8, v2
	v_and_or_b32 v2, v8, 7, v2
	s_and_b64 s[28:29], vcc, s[28:29]
	v_cndmask_b32_e64 v2, v2, 0, s[28:29]
	v_or_b32_e32 v16, v2, v4
.LBB4_3135:                             ;   in Loop: Header=BB4_2583 Depth=4
	s_or_b64 exec, exec, s[36:37]
                                        ; implicit-def: $vgpr4
.LBB4_3136:                             ;   in Loop: Header=BB4_2583 Depth=4
	s_andn2_saveexec_b64 s[28:29], s[34:35]
; %bb.3137:                             ;   in Loop: Header=BB4_2583 Depth=4
	v_or_b32_e32 v16, 0x7e, v4
; %bb.3138:                             ;   in Loop: Header=BB4_2583 Depth=4
	s_or_b64 exec, exec, s[28:29]
                                        ; implicit-def: $vgpr6
.LBB4_3139:                             ;   in Loop: Header=BB4_2583 Depth=4
	s_andn2_saveexec_b64 s[28:29], s[30:31]
; %bb.3140:                             ;   in Loop: Header=BB4_2583 Depth=4
	v_or_b32_sdwa v16, v6, s68 dst_sel:DWORD dst_unused:UNUSED_PAD src0_sel:BYTE_3 src1_sel:DWORD
; %bb.3141:                             ;   in Loop: Header=BB4_2583 Depth=4
	s_or_b64 exec, exec, s[28:29]
	v_lshrrev_b16_e32 v2, 8, v10
	v_cmp_ne_u16_e32 vcc, 0, v2
	v_mov_b32_e32 v4, 0
	s_and_saveexec_b64 s[28:29], vcc
	s_cbranch_execz .LBB4_3147
; %bb.3142:                             ;   in Loop: Header=BB4_2583 Depth=4
	v_cmp_ne_u16_e32 vcc, s70, v2
	v_bfrev_b32_e32 v4, 1
	s_and_saveexec_b64 s[30:31], vcc
	s_cbranch_execz .LBB4_3146
; %bb.3143:                             ;   in Loop: Header=BB4_2583 Depth=4
	v_and_b32_e32 v6, 0x7f, v2
	v_cmp_ne_u32_e32 vcc, s68, v6
	v_mov_b32_e32 v4, 0x7f800001
	s_and_saveexec_b64 s[34:35], vcc
	s_cbranch_execz .LBB4_3145
; %bb.3144:                             ;   in Loop: Header=BB4_2583 Depth=4
	v_and_b32_e32 v4, 7, v2
	v_lshrrev_b32_e32 v12, 3, v6
	v_cmp_gt_u32_e32 vcc, 8, v6
	v_ffbh_u32_e32 v6, v4
	v_min_u32_e32 v6, 32, v6
	v_subrev_u32_e32 v8, 28, v6
	v_lshlrev_b64 v[8:9], v8, v[2:3]
	v_sub_u32_e32 v2, 29, v6
	v_and_b32_e32 v6, 7, v8
	v_cndmask_b32_e32 v2, v12, v2, vcc
	v_cndmask_b32_e32 v4, v4, v6, vcc
	v_lshlrev_b32_e32 v6, 16, v10
	v_lshlrev_b32_e32 v4, 20, v4
	v_and_b32_e32 v6, 0x80000000, v6
	v_lshl_add_u32 v2, v2, 23, v5
	v_or3_b32 v4, v6, v2, v4
.LBB4_3145:                             ;   in Loop: Header=BB4_2583 Depth=4
	s_or_b64 exec, exec, s[34:35]
.LBB4_3146:                             ;   in Loop: Header=BB4_2583 Depth=4
	s_or_b64 exec, exec, s[30:31]
.LBB4_3147:                             ;   in Loop: Header=BB4_2583 Depth=4
	s_or_b64 exec, exec, s[28:29]
	v_mul_f32_e32 v6, v7, v4
	v_and_b32_e32 v2, 0x7f800000, v6
	v_cmp_ne_u64_e32 vcc, s[62:63], v[2:3]
                                        ; implicit-def: $vgpr27
	s_and_saveexec_b64 s[28:29], vcc
	s_xor_b64 s[30:31], exec, s[28:29]
	s_cbranch_execz .LBB4_3161
; %bb.3148:                             ;   in Loop: Header=BB4_2583 Depth=4
	v_and_b32_e32 v2, 0x7fffffff, v6
	v_cmp_gt_u64_e32 vcc, s[72:73], v[2:3]
	v_and_b32_sdwa v4, v6, s70 dst_sel:DWORD dst_unused:UNUSED_PAD src0_sel:BYTE_3 src1_sel:DWORD
                                        ; implicit-def: $vgpr27
	s_and_saveexec_b64 s[28:29], vcc
	s_xor_b64 s[34:35], exec, s[28:29]
	s_cbranch_execz .LBB4_3158
; %bb.3149:                             ;   in Loop: Header=BB4_2583 Depth=4
	v_mov_b32_e32 v27, 0
	v_cmp_ne_u32_e32 vcc, 0, v6
	s_and_saveexec_b64 s[36:37], vcc
	s_cbranch_execz .LBB4_3157
; %bb.3150:                             ;   in Loop: Header=BB4_2583 Depth=4
	v_and_b32_e32 v2, 0x7fffff, v6
	v_bfe_u32 v6, v6, 23, 8
	v_cmp_gt_u32_e64 s[28:29], s71, v6
	v_sub_u32_e32 v8, 0x79, v6
	v_cmp_eq_u32_e32 vcc, 0, v6
	v_cndmask_b32_e64 v8, 0, v8, s[28:29]
	v_mov_b32_e32 v12, 0x78
	v_cndmask_b32_e32 v14, v8, v12, vcc
	v_or_b32_e32 v9, 0x800000, v2
	v_add_u32_e32 v8, 20, v14
	v_cndmask_b32_e32 v2, v9, v2, vcc
	v_lshlrev_b64 v[8:9], v8, -1
	v_add_u32_e32 v12, 19, v14
	v_lshlrev_b64 v[12:13], v12, 1
	v_bfi_b32 v9, v9, 0, 0
	v_bfi_b32 v8, v8, 0, v2
	v_cmp_eq_u64_e64 s[28:29], v[8:9], v[12:13]
	v_lshrrev_b64 v[8:9], v14, v[2:3]
	v_mov_b32_e32 v13, v9
	v_mov_b32_e32 v12, v8
	s_and_saveexec_b64 s[38:39], s[28:29]
; %bb.3151:                             ;   in Loop: Header=BB4_2583 Depth=4
	v_bfe_u32 v2, v8, 20, 1
	v_add_co_u32_e64 v2, s[28:29], v8, v2
	v_add_co_u32_e64 v12, s[28:29], -1, v2
; %bb.3152:                             ;   in Loop: Header=BB4_2583 Depth=4
	s_or_b64 exec, exec, s[38:39]
	v_add_u32_e32 v2, 0xffffff81, v6
	v_mov_b32_e32 v6, 0xffffff82
	v_cndmask_b32_e32 v2, v2, v6, vcc
	v_lshrrev_b32_e32 v6, 23, v8
	v_add3_u32 v14, v14, v2, v6
	v_add_u32_e32 v13, 6, v14
	v_and_b32_e32 v2, 0xfffff, v12
	v_add_u32_e32 v2, v2, v8
	v_cmp_ne_u32_e32 vcc, 0, v13
                                        ; implicit-def: $vgpr8_vgpr9
                                        ; implicit-def: $vgpr6
	s_and_saveexec_b64 s[28:29], vcc
	s_xor_b64 s[28:29], exec, s[28:29]
; %bb.3153:                             ;   in Loop: Header=BB4_2583 Depth=4
	v_cmp_lt_u64_e32 vcc, s[74:75], v[2:3]
	v_add_u32_e32 v6, 7, v14
	v_cndmask_b32_e64 v8, 0, 1, vcc
	v_lshrrev_b64 v[8:9], v8, v[2:3]
	v_cndmask_b32_e32 v6, v13, v6, vcc
; %bb.3154:                             ;   in Loop: Header=BB4_2583 Depth=4
	s_andn2_saveexec_b64 s[28:29], s[28:29]
; %bb.3155:                             ;   in Loop: Header=BB4_2583 Depth=4
	v_mov_b32_e32 v9, v3
	v_bfe_u32 v6, v2, 23, 1
	v_mov_b32_e32 v8, v2
; %bb.3156:                             ;   in Loop: Header=BB4_2583 Depth=4
	s_or_b64 exec, exec, s[28:29]
	v_lshrrev_b64 v[8:9], 20, v[8:9]
	v_cmp_gt_i32_e32 vcc, 16, v6
	v_cndmask_b32_e32 v9, 0, v9, vcc
	v_cndmask_b32_e32 v8, 7, v8, vcc
	v_min_i32_e32 v2, 15, v6
	v_cmp_eq_u64_e64 s[28:29], 0, v[8:9]
	v_lshlrev_b32_e32 v2, 3, v2
	v_cmp_eq_u32_e32 vcc, 0, v6
	v_and_b32_e32 v2, 0xf8, v2
	v_and_or_b32 v2, v8, 7, v2
	s_and_b64 s[28:29], vcc, s[28:29]
	v_cndmask_b32_e64 v2, v2, 0, s[28:29]
	v_or_b32_e32 v27, v2, v4
.LBB4_3157:                             ;   in Loop: Header=BB4_2583 Depth=4
	s_or_b64 exec, exec, s[36:37]
                                        ; implicit-def: $vgpr4
.LBB4_3158:                             ;   in Loop: Header=BB4_2583 Depth=4
	s_andn2_saveexec_b64 s[28:29], s[34:35]
; %bb.3159:                             ;   in Loop: Header=BB4_2583 Depth=4
	v_or_b32_e32 v27, 0x7e, v4
; %bb.3160:                             ;   in Loop: Header=BB4_2583 Depth=4
	s_or_b64 exec, exec, s[28:29]
                                        ; implicit-def: $vgpr6
.LBB4_3161:                             ;   in Loop: Header=BB4_2583 Depth=4
	s_andn2_saveexec_b64 s[28:29], s[30:31]
; %bb.3162:                             ;   in Loop: Header=BB4_2583 Depth=4
	v_or_b32_sdwa v27, v6, s68 dst_sel:DWORD dst_unused:UNUSED_PAD src0_sel:BYTE_3 src1_sel:DWORD
; %bb.3163:                             ;   in Loop: Header=BB4_2583 Depth=4
	s_or_b64 exec, exec, s[28:29]
	v_lshrrev_b32_e32 v2, 16, v10
	v_cmp_ne_u16_sdwa vcc, v2, v3 src0_sel:BYTE_0 src1_sel:DWORD
	v_mov_b32_e32 v4, 0
	s_and_saveexec_b64 s[28:29], vcc
	s_cbranch_execz .LBB4_3169
; %bb.3164:                             ;   in Loop: Header=BB4_2583 Depth=4
	v_cmp_ne_u16_sdwa vcc, v2, s70 src0_sel:BYTE_0 src1_sel:DWORD
	v_bfrev_b32_e32 v4, 1
	s_and_saveexec_b64 s[30:31], vcc
	s_cbranch_execz .LBB4_3168
; %bb.3165:                             ;   in Loop: Header=BB4_2583 Depth=4
	v_bfe_u32 v6, v10, 16, 7
	v_cmp_ne_u32_e32 vcc, s68, v6
	v_mov_b32_e32 v4, 0x7f800001
	s_and_saveexec_b64 s[34:35], vcc
	s_cbranch_execz .LBB4_3167
; %bb.3166:                             ;   in Loop: Header=BB4_2583 Depth=4
	v_and_b32_e32 v4, 7, v2
	v_lshrrev_b32_e32 v12, 3, v6
	v_cmp_gt_u32_e32 vcc, 8, v6
	v_ffbh_u32_e32 v6, v4
	v_min_u32_e32 v6, 32, v6
	v_subrev_u32_e32 v8, 28, v6
	v_lshlrev_b64 v[8:9], v8, v[2:3]
	v_sub_u32_e32 v6, 29, v6
	v_and_b32_e32 v8, 7, v8
	v_cndmask_b32_e32 v6, v12, v6, vcc
	v_cndmask_b32_e32 v4, v4, v8, vcc
	v_lshlrev_b32_e32 v2, 24, v2
	v_lshlrev_b32_e32 v4, 20, v4
	v_and_b32_e32 v2, 0x80000000, v2
	v_lshl_add_u32 v6, v6, 23, v5
	v_or3_b32 v4, v2, v6, v4
.LBB4_3167:                             ;   in Loop: Header=BB4_2583 Depth=4
	s_or_b64 exec, exec, s[34:35]
.LBB4_3168:                             ;   in Loop: Header=BB4_2583 Depth=4
	s_or_b64 exec, exec, s[30:31]
.LBB4_3169:                             ;   in Loop: Header=BB4_2583 Depth=4
	s_or_b64 exec, exec, s[28:29]
	v_mul_f32_e32 v6, v7, v4
	v_and_b32_e32 v2, 0x7f800000, v6
	v_cmp_ne_u64_e32 vcc, s[62:63], v[2:3]
                                        ; implicit-def: $vgpr24
	s_and_saveexec_b64 s[28:29], vcc
	s_xor_b64 s[30:31], exec, s[28:29]
	s_cbranch_execz .LBB4_3183
; %bb.3170:                             ;   in Loop: Header=BB4_2583 Depth=4
	v_and_b32_e32 v2, 0x7fffffff, v6
	v_cmp_gt_u64_e32 vcc, s[72:73], v[2:3]
	v_and_b32_sdwa v4, v6, s70 dst_sel:DWORD dst_unused:UNUSED_PAD src0_sel:BYTE_3 src1_sel:DWORD
                                        ; implicit-def: $vgpr24
	s_and_saveexec_b64 s[28:29], vcc
	s_xor_b64 s[34:35], exec, s[28:29]
	s_cbranch_execz .LBB4_3180
; %bb.3171:                             ;   in Loop: Header=BB4_2583 Depth=4
	v_mov_b32_e32 v24, 0
	v_cmp_ne_u32_e32 vcc, 0, v6
	s_and_saveexec_b64 s[36:37], vcc
	s_cbranch_execz .LBB4_3179
; %bb.3172:                             ;   in Loop: Header=BB4_2583 Depth=4
	v_and_b32_e32 v2, 0x7fffff, v6
	v_bfe_u32 v6, v6, 23, 8
	v_cmp_gt_u32_e64 s[28:29], s71, v6
	v_sub_u32_e32 v8, 0x79, v6
	v_cmp_eq_u32_e32 vcc, 0, v6
	v_cndmask_b32_e64 v8, 0, v8, s[28:29]
	v_mov_b32_e32 v12, 0x78
	v_cndmask_b32_e32 v14, v8, v12, vcc
	v_or_b32_e32 v9, 0x800000, v2
	v_add_u32_e32 v8, 20, v14
	v_cndmask_b32_e32 v2, v9, v2, vcc
	v_lshlrev_b64 v[8:9], v8, -1
	v_add_u32_e32 v12, 19, v14
	v_lshlrev_b64 v[12:13], v12, 1
	v_bfi_b32 v9, v9, 0, 0
	v_bfi_b32 v8, v8, 0, v2
	v_cmp_eq_u64_e64 s[28:29], v[8:9], v[12:13]
	v_lshrrev_b64 v[8:9], v14, v[2:3]
	v_mov_b32_e32 v13, v9
	v_mov_b32_e32 v12, v8
	s_and_saveexec_b64 s[38:39], s[28:29]
; %bb.3173:                             ;   in Loop: Header=BB4_2583 Depth=4
	v_bfe_u32 v2, v8, 20, 1
	v_add_co_u32_e64 v2, s[28:29], v8, v2
	v_add_co_u32_e64 v12, s[28:29], -1, v2
; %bb.3174:                             ;   in Loop: Header=BB4_2583 Depth=4
	s_or_b64 exec, exec, s[38:39]
	v_add_u32_e32 v2, 0xffffff81, v6
	v_mov_b32_e32 v6, 0xffffff82
	v_cndmask_b32_e32 v2, v2, v6, vcc
	v_lshrrev_b32_e32 v6, 23, v8
	v_add3_u32 v14, v14, v2, v6
	v_add_u32_e32 v13, 6, v14
	v_and_b32_e32 v2, 0xfffff, v12
	v_add_u32_e32 v2, v2, v8
	v_cmp_ne_u32_e32 vcc, 0, v13
                                        ; implicit-def: $vgpr8_vgpr9
                                        ; implicit-def: $vgpr6
	s_and_saveexec_b64 s[28:29], vcc
	s_xor_b64 s[28:29], exec, s[28:29]
; %bb.3175:                             ;   in Loop: Header=BB4_2583 Depth=4
	v_cmp_lt_u64_e32 vcc, s[74:75], v[2:3]
	v_add_u32_e32 v6, 7, v14
	v_cndmask_b32_e64 v8, 0, 1, vcc
	v_lshrrev_b64 v[8:9], v8, v[2:3]
	v_cndmask_b32_e32 v6, v13, v6, vcc
; %bb.3176:                             ;   in Loop: Header=BB4_2583 Depth=4
	s_andn2_saveexec_b64 s[28:29], s[28:29]
; %bb.3177:                             ;   in Loop: Header=BB4_2583 Depth=4
	v_mov_b32_e32 v9, v3
	v_bfe_u32 v6, v2, 23, 1
	v_mov_b32_e32 v8, v2
; %bb.3178:                             ;   in Loop: Header=BB4_2583 Depth=4
	s_or_b64 exec, exec, s[28:29]
	v_lshrrev_b64 v[8:9], 20, v[8:9]
	v_cmp_gt_i32_e32 vcc, 16, v6
	v_cndmask_b32_e32 v9, 0, v9, vcc
	v_cndmask_b32_e32 v8, 7, v8, vcc
	v_min_i32_e32 v2, 15, v6
	v_cmp_eq_u64_e64 s[28:29], 0, v[8:9]
	v_lshlrev_b32_e32 v2, 3, v2
	v_cmp_eq_u32_e32 vcc, 0, v6
	v_and_b32_e32 v2, 0xf8, v2
	v_and_or_b32 v2, v8, 7, v2
	s_and_b64 s[28:29], vcc, s[28:29]
	v_cndmask_b32_e64 v2, v2, 0, s[28:29]
	v_or_b32_e32 v24, v2, v4
.LBB4_3179:                             ;   in Loop: Header=BB4_2583 Depth=4
	s_or_b64 exec, exec, s[36:37]
                                        ; implicit-def: $vgpr4
.LBB4_3180:                             ;   in Loop: Header=BB4_2583 Depth=4
	s_andn2_saveexec_b64 s[28:29], s[34:35]
; %bb.3181:                             ;   in Loop: Header=BB4_2583 Depth=4
	v_or_b32_e32 v24, 0x7e, v4
; %bb.3182:                             ;   in Loop: Header=BB4_2583 Depth=4
	s_or_b64 exec, exec, s[28:29]
                                        ; implicit-def: $vgpr6
.LBB4_3183:                             ;   in Loop: Header=BB4_2583 Depth=4
	s_andn2_saveexec_b64 s[28:29], s[30:31]
; %bb.3184:                             ;   in Loop: Header=BB4_2583 Depth=4
	v_or_b32_sdwa v24, v6, s68 dst_sel:DWORD dst_unused:UNUSED_PAD src0_sel:BYTE_3 src1_sel:DWORD
; %bb.3185:                             ;   in Loop: Header=BB4_2583 Depth=4
	s_or_b64 exec, exec, s[28:29]
	v_cmp_lt_u32_e32 vcc, s57, v10
	v_mov_b32_e32 v4, 0
	s_and_saveexec_b64 s[28:29], vcc
	s_cbranch_execz .LBB4_3191
; %bb.3186:                             ;   in Loop: Header=BB4_2583 Depth=4
	v_lshrrev_b32_e32 v2, 24, v10
	v_cmp_ne_u32_e32 vcc, s70, v2
	v_bfrev_b32_e32 v4, 1
	s_and_saveexec_b64 s[30:31], vcc
	s_cbranch_execz .LBB4_3190
; %bb.3187:                             ;   in Loop: Header=BB4_2583 Depth=4
	v_bfe_u32 v6, v10, 24, 7
	v_cmp_ne_u32_e32 vcc, s68, v6
	v_mov_b32_e32 v4, 0x7f800001
	s_and_saveexec_b64 s[34:35], vcc
	s_cbranch_execz .LBB4_3189
; %bb.3188:                             ;   in Loop: Header=BB4_2583 Depth=4
	v_and_b32_e32 v4, 7, v2
	v_lshrrev_b32_e32 v12, 3, v6
	v_cmp_gt_u32_e32 vcc, 8, v6
	v_ffbh_u32_e32 v6, v4
	v_min_u32_e32 v6, 32, v6
	v_subrev_u32_e32 v8, 28, v6
	v_lshlrev_b64 v[8:9], v8, v[2:3]
	v_sub_u32_e32 v6, 29, v6
	v_and_b32_e32 v8, 7, v8
	v_cndmask_b32_e32 v6, v12, v6, vcc
	v_cndmask_b32_e32 v4, v4, v8, vcc
	v_lshlrev_b32_e32 v2, 24, v2
	v_lshlrev_b32_e32 v4, 20, v4
	v_and_b32_e32 v2, 0x80000000, v2
	v_lshl_add_u32 v6, v6, 23, v5
	v_or3_b32 v4, v2, v6, v4
.LBB4_3189:                             ;   in Loop: Header=BB4_2583 Depth=4
	s_or_b64 exec, exec, s[34:35]
.LBB4_3190:                             ;   in Loop: Header=BB4_2583 Depth=4
	s_or_b64 exec, exec, s[30:31]
.LBB4_3191:                             ;   in Loop: Header=BB4_2583 Depth=4
	s_or_b64 exec, exec, s[28:29]
	v_mul_f32_e32 v8, v7, v4
	v_and_b32_e32 v2, 0x7f800000, v8
	v_cmp_ne_u64_e32 vcc, s[62:63], v[2:3]
                                        ; implicit-def: $vgpr4
	s_and_saveexec_b64 s[28:29], vcc
	s_xor_b64 s[30:31], exec, s[28:29]
	s_cbranch_execz .LBB4_3205
; %bb.3192:                             ;   in Loop: Header=BB4_2583 Depth=4
	v_and_b32_e32 v2, 0x7fffffff, v8
	v_cmp_gt_u64_e32 vcc, s[72:73], v[2:3]
	v_and_b32_sdwa v6, v8, s70 dst_sel:DWORD dst_unused:UNUSED_PAD src0_sel:BYTE_3 src1_sel:DWORD
                                        ; implicit-def: $vgpr4
	s_and_saveexec_b64 s[28:29], vcc
	s_xor_b64 s[34:35], exec, s[28:29]
	s_cbranch_execz .LBB4_3202
; %bb.3193:                             ;   in Loop: Header=BB4_2583 Depth=4
	v_mov_b32_e32 v4, 0
	v_cmp_ne_u32_e32 vcc, 0, v8
	s_and_saveexec_b64 s[36:37], vcc
	s_cbranch_execz .LBB4_3201
; %bb.3194:                             ;   in Loop: Header=BB4_2583 Depth=4
	v_bfe_u32 v4, v8, 23, 8
	v_and_b32_e32 v2, 0x7fffff, v8
	v_cmp_gt_u32_e64 s[28:29], s71, v4
	v_sub_u32_e32 v8, 0x79, v4
	v_cmp_eq_u32_e32 vcc, 0, v4
	v_cndmask_b32_e64 v8, 0, v8, s[28:29]
	v_mov_b32_e32 v12, 0x78
	v_cndmask_b32_e32 v14, v8, v12, vcc
	v_or_b32_e32 v9, 0x800000, v2
	v_add_u32_e32 v8, 20, v14
	v_cndmask_b32_e32 v2, v9, v2, vcc
	v_lshlrev_b64 v[8:9], v8, -1
	v_add_u32_e32 v12, 19, v14
	v_lshlrev_b64 v[12:13], v12, 1
	v_bfi_b32 v9, v9, 0, 0
	v_bfi_b32 v8, v8, 0, v2
	v_cmp_eq_u64_e64 s[28:29], v[8:9], v[12:13]
	v_lshrrev_b64 v[8:9], v14, v[2:3]
	v_mov_b32_e32 v13, v9
	v_mov_b32_e32 v12, v8
	s_and_saveexec_b64 s[38:39], s[28:29]
; %bb.3195:                             ;   in Loop: Header=BB4_2583 Depth=4
	v_bfe_u32 v2, v8, 20, 1
	v_add_co_u32_e64 v2, s[28:29], v8, v2
	v_add_co_u32_e64 v12, s[28:29], -1, v2
; %bb.3196:                             ;   in Loop: Header=BB4_2583 Depth=4
	s_or_b64 exec, exec, s[38:39]
	v_add_u32_e32 v2, 0xffffff81, v4
	v_mov_b32_e32 v4, 0xffffff82
	v_cndmask_b32_e32 v2, v2, v4, vcc
	v_lshrrev_b32_e32 v4, 23, v8
	v_add3_u32 v14, v14, v2, v4
	v_add_u32_e32 v13, 6, v14
	v_and_b32_e32 v2, 0xfffff, v12
	v_add_u32_e32 v2, v2, v8
	v_cmp_ne_u32_e32 vcc, 0, v13
                                        ; implicit-def: $vgpr8_vgpr9
                                        ; implicit-def: $vgpr4
	s_and_saveexec_b64 s[28:29], vcc
	s_xor_b64 s[28:29], exec, s[28:29]
; %bb.3197:                             ;   in Loop: Header=BB4_2583 Depth=4
	v_cmp_lt_u64_e32 vcc, s[74:75], v[2:3]
	v_add_u32_e32 v4, 7, v14
	v_cndmask_b32_e64 v8, 0, 1, vcc
	v_lshrrev_b64 v[8:9], v8, v[2:3]
	v_cndmask_b32_e32 v4, v13, v4, vcc
; %bb.3198:                             ;   in Loop: Header=BB4_2583 Depth=4
	s_andn2_saveexec_b64 s[28:29], s[28:29]
; %bb.3199:                             ;   in Loop: Header=BB4_2583 Depth=4
	v_mov_b32_e32 v9, v3
	v_bfe_u32 v4, v2, 23, 1
	v_mov_b32_e32 v8, v2
; %bb.3200:                             ;   in Loop: Header=BB4_2583 Depth=4
	s_or_b64 exec, exec, s[28:29]
	v_lshrrev_b64 v[8:9], 20, v[8:9]
	v_cmp_gt_i32_e32 vcc, 16, v4
	v_cndmask_b32_e32 v9, 0, v9, vcc
	v_cndmask_b32_e32 v8, 7, v8, vcc
	v_min_i32_e32 v2, 15, v4
	v_cmp_eq_u64_e64 s[28:29], 0, v[8:9]
	v_lshlrev_b32_e32 v2, 3, v2
	v_cmp_eq_u32_e32 vcc, 0, v4
	v_and_b32_e32 v2, 0xf8, v2
	v_and_or_b32 v2, v8, 7, v2
	s_and_b64 s[28:29], vcc, s[28:29]
	v_cndmask_b32_e64 v2, v2, 0, s[28:29]
	v_or_b32_e32 v4, v2, v6
.LBB4_3201:                             ;   in Loop: Header=BB4_2583 Depth=4
	s_or_b64 exec, exec, s[36:37]
                                        ; implicit-def: $vgpr6
.LBB4_3202:                             ;   in Loop: Header=BB4_2583 Depth=4
	s_andn2_saveexec_b64 s[28:29], s[34:35]
; %bb.3203:                             ;   in Loop: Header=BB4_2583 Depth=4
	v_or_b32_e32 v4, 0x7e, v6
; %bb.3204:                             ;   in Loop: Header=BB4_2583 Depth=4
	s_or_b64 exec, exec, s[28:29]
                                        ; implicit-def: $vgpr8
.LBB4_3205:                             ;   in Loop: Header=BB4_2583 Depth=4
	s_andn2_saveexec_b64 s[28:29], s[30:31]
; %bb.3206:                             ;   in Loop: Header=BB4_2583 Depth=4
	v_or_b32_sdwa v4, v8, s68 dst_sel:DWORD dst_unused:UNUSED_PAD src0_sel:BYTE_3 src1_sel:DWORD
; %bb.3207:                             ;   in Loop: Header=BB4_2583 Depth=4
	s_or_b64 exec, exec, s[28:29]
	v_mov_b32_e32 v2, v11
	v_cmp_ne_u16_sdwa vcc, v11, v3 src0_sel:BYTE_0 src1_sel:DWORD
	v_mov_b32_e32 v6, 0
	s_and_saveexec_b64 s[28:29], vcc
	s_cbranch_execz .LBB4_3213
; %bb.3208:                             ;   in Loop: Header=BB4_2583 Depth=4
	v_cmp_ne_u16_sdwa vcc, v11, s70 src0_sel:BYTE_0 src1_sel:DWORD
	v_bfrev_b32_e32 v6, 1
	s_and_saveexec_b64 s[30:31], vcc
	s_cbranch_execz .LBB4_3212
; %bb.3209:                             ;   in Loop: Header=BB4_2583 Depth=4
	v_and_b32_e32 v8, 0x7f, v11
	v_cmp_ne_u32_e32 vcc, s68, v8
	v_mov_b32_e32 v6, 0x7f800001
	s_and_saveexec_b64 s[34:35], vcc
	s_cbranch_execz .LBB4_3211
; %bb.3210:                             ;   in Loop: Header=BB4_2583 Depth=4
	v_and_b32_e32 v6, 7, v11
	v_ffbh_u32_e32 v6, v6
	v_min_u32_e32 v6, 32, v6
	v_lshrrev_b32_e32 v9, 3, v8
	v_cmp_gt_u32_e32 vcc, 8, v8
	v_subrev_u32_e32 v8, 28, v6
	v_sub_u32_e32 v6, 29, v6
	v_cndmask_b32_e32 v8, 0, v8, vcc
	v_cndmask_b32_e32 v6, v9, v6, vcc
	v_lshlrev_b64 v[8:9], v8, v[2:3]
	v_lshlrev_b32_e32 v9, 24, v2
	v_lshlrev_b32_e32 v8, 20, v8
	v_and_b32_e32 v8, 0x700000, v8
	v_and_b32_e32 v9, 0x80000000, v9
	v_lshl_add_u32 v6, v6, 23, v5
	v_or3_b32 v6, v9, v6, v8
.LBB4_3211:                             ;   in Loop: Header=BB4_2583 Depth=4
	s_or_b64 exec, exec, s[34:35]
.LBB4_3212:                             ;   in Loop: Header=BB4_2583 Depth=4
	s_or_b64 exec, exec, s[30:31]
.LBB4_3213:                             ;   in Loop: Header=BB4_2583 Depth=4
	s_or_b64 exec, exec, s[28:29]
	v_mul_f32_e32 v8, v7, v6
	v_and_b32_e32 v12, 0x7f800000, v8
	v_mov_b32_e32 v13, v3
	v_cmp_ne_u64_e32 vcc, s[62:63], v[12:13]
                                        ; implicit-def: $vgpr6
	s_and_saveexec_b64 s[28:29], vcc
	s_xor_b64 s[30:31], exec, s[28:29]
	s_cbranch_execz .LBB4_3227
; %bb.3214:                             ;   in Loop: Header=BB4_2583 Depth=4
	v_and_b32_e32 v12, 0x7fffffff, v8
	v_mov_b32_e32 v13, v3
	v_cmp_gt_u64_e32 vcc, s[72:73], v[12:13]
	v_and_b32_sdwa v14, v8, s70 dst_sel:DWORD dst_unused:UNUSED_PAD src0_sel:BYTE_3 src1_sel:DWORD
                                        ; implicit-def: $vgpr6
	s_and_saveexec_b64 s[28:29], vcc
	s_xor_b64 s[34:35], exec, s[28:29]
	s_cbranch_execz .LBB4_3224
; %bb.3215:                             ;   in Loop: Header=BB4_2583 Depth=4
	v_mov_b32_e32 v6, 0
	v_cmp_ne_u32_e32 vcc, 0, v8
	s_and_saveexec_b64 s[36:37], vcc
	s_cbranch_execz .LBB4_3223
; %bb.3216:                             ;   in Loop: Header=BB4_2583 Depth=4
	v_bfe_u32 v6, v8, 23, 8
	v_and_b32_e32 v9, 0x7fffff, v8
	v_cmp_gt_u32_e64 s[28:29], s71, v6
	v_sub_u32_e32 v8, 0x79, v6
	v_cmp_eq_u32_e32 vcc, 0, v6
	v_cndmask_b32_e64 v8, 0, v8, s[28:29]
	v_mov_b32_e32 v13, 0x78
	v_or_b32_e32 v12, 0x800000, v9
	v_cndmask_b32_e32 v15, v8, v13, vcc
	v_cndmask_b32_e32 v8, v12, v9, vcc
	v_add_u32_e32 v12, 20, v15
	v_lshlrev_b64 v[12:13], v12, -1
	v_mov_b32_e32 v9, v3
	v_add_u32_e32 v18, 19, v15
	v_bfi_b32 v12, v12, 0, v8
	v_lshlrev_b64 v[58:59], v18, 1
	v_lshrrev_b64 v[8:9], v15, v[8:9]
	v_bfi_b32 v13, v13, 0, 0
	v_cmp_eq_u64_e64 s[28:29], v[12:13], v[58:59]
	v_mov_b32_e32 v13, v9
	v_mov_b32_e32 v12, v8
	s_and_saveexec_b64 s[38:39], s[28:29]
; %bb.3217:                             ;   in Loop: Header=BB4_2583 Depth=4
	v_bfe_u32 v9, v8, 20, 1
	v_add_co_u32_e64 v9, s[28:29], v8, v9
	v_add_co_u32_e64 v12, s[28:29], -1, v9
; %bb.3218:                             ;   in Loop: Header=BB4_2583 Depth=4
	s_or_b64 exec, exec, s[38:39]
	v_add_u32_e32 v6, 0xffffff81, v6
	v_mov_b32_e32 v9, 0xffffff82
	v_cndmask_b32_e32 v6, v6, v9, vcc
	v_lshrrev_b32_e32 v9, 23, v8
	v_add3_u32 v15, v15, v6, v9
	v_add_u32_e32 v13, 6, v15
	v_and_b32_e32 v6, 0xfffff, v12
	v_add_u32_e32 v8, v6, v8
	v_mov_b32_e32 v9, v3
	v_cmp_ne_u32_e32 vcc, 0, v13
                                        ; implicit-def: $vgpr6
	s_and_saveexec_b64 s[28:29], vcc
	s_xor_b64 s[28:29], exec, s[28:29]
; %bb.3219:                             ;   in Loop: Header=BB4_2583 Depth=4
	v_cmp_lt_u64_e32 vcc, s[74:75], v[8:9]
	v_add_u32_e32 v6, 7, v15
	v_cndmask_b32_e64 v12, 0, 1, vcc
	v_lshrrev_b64 v[8:9], v12, v[8:9]
	v_cndmask_b32_e32 v6, v13, v6, vcc
; %bb.3220:                             ;   in Loop: Header=BB4_2583 Depth=4
	s_andn2_saveexec_b64 s[28:29], s[28:29]
; %bb.3221:                             ;   in Loop: Header=BB4_2583 Depth=4
	v_bfe_u32 v6, v8, 23, 1
; %bb.3222:                             ;   in Loop: Header=BB4_2583 Depth=4
	s_or_b64 exec, exec, s[28:29]
	v_lshrrev_b64 v[8:9], 20, v[8:9]
	v_cmp_gt_i32_e32 vcc, 16, v6
	v_cndmask_b32_e32 v9, 0, v9, vcc
	v_cndmask_b32_e32 v8, 7, v8, vcc
	v_cmp_eq_u32_e32 vcc, 0, v6
	v_min_i32_e32 v6, 15, v6
	v_cmp_eq_u64_e64 s[28:29], 0, v[8:9]
	v_lshlrev_b32_e32 v6, 3, v6
	v_and_b32_e32 v6, 0xf8, v6
	v_and_or_b32 v6, v8, 7, v6
	s_and_b64 s[28:29], vcc, s[28:29]
	v_cndmask_b32_e64 v6, v6, 0, s[28:29]
	v_or_b32_e32 v6, v6, v14
.LBB4_3223:                             ;   in Loop: Header=BB4_2583 Depth=4
	s_or_b64 exec, exec, s[36:37]
                                        ; implicit-def: $vgpr14
.LBB4_3224:                             ;   in Loop: Header=BB4_2583 Depth=4
	s_andn2_saveexec_b64 s[28:29], s[34:35]
; %bb.3225:                             ;   in Loop: Header=BB4_2583 Depth=4
	v_or_b32_e32 v6, 0x7e, v14
; %bb.3226:                             ;   in Loop: Header=BB4_2583 Depth=4
	s_or_b64 exec, exec, s[28:29]
                                        ; implicit-def: $vgpr8
.LBB4_3227:                             ;   in Loop: Header=BB4_2583 Depth=4
	s_andn2_saveexec_b64 s[28:29], s[30:31]
; %bb.3228:                             ;   in Loop: Header=BB4_2583 Depth=4
	v_or_b32_sdwa v6, v8, s68 dst_sel:DWORD dst_unused:UNUSED_PAD src0_sel:BYTE_3 src1_sel:DWORD
; %bb.3229:                             ;   in Loop: Header=BB4_2583 Depth=4
	s_or_b64 exec, exec, s[28:29]
	v_lshrrev_b16_e32 v8, 8, v2
	v_cmp_ne_u16_e32 vcc, 0, v8
	v_mov_b32_e32 v9, 0
	s_and_saveexec_b64 s[28:29], vcc
	s_cbranch_execz .LBB4_3235
; %bb.3230:                             ;   in Loop: Header=BB4_2583 Depth=4
	v_cmp_ne_u16_e32 vcc, s70, v8
	v_bfrev_b32_e32 v9, 1
	s_and_saveexec_b64 s[30:31], vcc
	s_cbranch_execz .LBB4_3234
; %bb.3231:                             ;   in Loop: Header=BB4_2583 Depth=4
	v_and_b32_e32 v12, 0x7f, v8
	v_cmp_ne_u32_e32 vcc, s68, v12
	v_mov_b32_e32 v9, 0x7f800001
	s_and_saveexec_b64 s[34:35], vcc
	s_cbranch_execz .LBB4_3233
; %bb.3232:                             ;   in Loop: Header=BB4_2583 Depth=4
	v_and_b32_e32 v13, 7, v8
	v_ffbh_u32_e32 v9, v13
	v_lshrrev_b32_e32 v14, 3, v12
	v_cmp_gt_u32_e32 vcc, 8, v12
	v_min_u32_e32 v12, 32, v9
	v_subrev_u32_e32 v9, 28, v12
	v_lshlrev_b64 v[8:9], v9, v[8:9]
	v_sub_u32_e32 v9, 29, v12
	v_and_b32_e32 v8, 7, v8
	v_cndmask_b32_e32 v9, v14, v9, vcc
	v_cndmask_b32_e32 v8, v13, v8, vcc
	v_lshlrev_b32_e32 v2, 16, v2
	v_lshlrev_b32_e32 v8, 20, v8
	v_and_b32_e32 v2, 0x80000000, v2
	v_lshl_add_u32 v9, v9, 23, v5
	v_or3_b32 v9, v2, v9, v8
.LBB4_3233:                             ;   in Loop: Header=BB4_2583 Depth=4
	s_or_b64 exec, exec, s[34:35]
.LBB4_3234:                             ;   in Loop: Header=BB4_2583 Depth=4
	s_or_b64 exec, exec, s[30:31]
.LBB4_3235:                             ;   in Loop: Header=BB4_2583 Depth=4
	s_or_b64 exec, exec, s[28:29]
	v_mul_f32_e32 v8, v7, v9
	v_and_b32_e32 v2, 0x7f800000, v8
	v_cmp_ne_u64_e32 vcc, s[62:63], v[2:3]
                                        ; implicit-def: $vgpr18
	s_and_saveexec_b64 s[28:29], vcc
	s_xor_b64 s[30:31], exec, s[28:29]
	s_cbranch_execz .LBB4_3249
; %bb.3236:                             ;   in Loop: Header=BB4_2583 Depth=4
	v_and_b32_e32 v2, 0x7fffffff, v8
	v_cmp_gt_u64_e32 vcc, s[72:73], v[2:3]
	v_and_b32_sdwa v14, v8, s70 dst_sel:DWORD dst_unused:UNUSED_PAD src0_sel:BYTE_3 src1_sel:DWORD
                                        ; implicit-def: $vgpr18
	s_and_saveexec_b64 s[28:29], vcc
	s_xor_b64 s[34:35], exec, s[28:29]
	s_cbranch_execz .LBB4_3246
; %bb.3237:                             ;   in Loop: Header=BB4_2583 Depth=4
	v_mov_b32_e32 v18, 0
	v_cmp_ne_u32_e32 vcc, 0, v8
	s_and_saveexec_b64 s[36:37], vcc
	s_cbranch_execz .LBB4_3245
; %bb.3238:                             ;   in Loop: Header=BB4_2583 Depth=4
	v_bfe_u32 v15, v8, 23, 8
	v_and_b32_e32 v2, 0x7fffff, v8
	v_cmp_gt_u32_e64 s[28:29], s71, v15
	v_sub_u32_e32 v8, 0x79, v15
	v_cmp_eq_u32_e32 vcc, 0, v15
	v_cndmask_b32_e64 v8, 0, v8, s[28:29]
	v_mov_b32_e32 v12, 0x78
	v_cndmask_b32_e32 v18, v8, v12, vcc
	v_or_b32_e32 v9, 0x800000, v2
	v_add_u32_e32 v8, 20, v18
	v_cndmask_b32_e32 v2, v9, v2, vcc
	v_lshlrev_b64 v[8:9], v8, -1
	v_add_u32_e32 v12, 19, v18
	v_lshlrev_b64 v[12:13], v12, 1
	v_bfi_b32 v9, v9, 0, 0
	v_bfi_b32 v8, v8, 0, v2
	v_cmp_eq_u64_e64 s[28:29], v[8:9], v[12:13]
	v_lshrrev_b64 v[8:9], v18, v[2:3]
	v_mov_b32_e32 v13, v9
	v_mov_b32_e32 v12, v8
	s_and_saveexec_b64 s[38:39], s[28:29]
; %bb.3239:                             ;   in Loop: Header=BB4_2583 Depth=4
	v_bfe_u32 v2, v8, 20, 1
	v_add_co_u32_e64 v2, s[28:29], v8, v2
	v_add_co_u32_e64 v12, s[28:29], -1, v2
; %bb.3240:                             ;   in Loop: Header=BB4_2583 Depth=4
	s_or_b64 exec, exec, s[38:39]
	v_add_u32_e32 v2, 0xffffff81, v15
	v_mov_b32_e32 v9, 0xffffff82
	v_cndmask_b32_e32 v2, v2, v9, vcc
	v_lshrrev_b32_e32 v9, 23, v8
	v_add3_u32 v15, v18, v2, v9
	v_add_u32_e32 v13, 6, v15
	v_and_b32_e32 v2, 0xfffff, v12
	v_add_u32_e32 v2, v2, v8
	v_cmp_ne_u32_e32 vcc, 0, v13
                                        ; implicit-def: $vgpr8_vgpr9
                                        ; implicit-def: $vgpr12
	s_and_saveexec_b64 s[28:29], vcc
	s_xor_b64 s[28:29], exec, s[28:29]
; %bb.3241:                             ;   in Loop: Header=BB4_2583 Depth=4
	v_cmp_lt_u64_e32 vcc, s[74:75], v[2:3]
	v_add_u32_e32 v8, 7, v15
	v_cndmask_b32_e32 v12, v13, v8, vcc
	v_cndmask_b32_e64 v8, 0, 1, vcc
	v_lshrrev_b64 v[8:9], v8, v[2:3]
; %bb.3242:                             ;   in Loop: Header=BB4_2583 Depth=4
	s_andn2_saveexec_b64 s[28:29], s[28:29]
; %bb.3243:                             ;   in Loop: Header=BB4_2583 Depth=4
	v_mov_b32_e32 v9, v3
	v_bfe_u32 v12, v2, 23, 1
	v_mov_b32_e32 v8, v2
; %bb.3244:                             ;   in Loop: Header=BB4_2583 Depth=4
	s_or_b64 exec, exec, s[28:29]
	v_lshrrev_b64 v[8:9], 20, v[8:9]
	v_cmp_gt_i32_e32 vcc, 16, v12
	v_cndmask_b32_e32 v9, 0, v9, vcc
	v_cndmask_b32_e32 v8, 7, v8, vcc
	v_min_i32_e32 v2, 15, v12
	v_cmp_eq_u64_e64 s[28:29], 0, v[8:9]
	v_lshlrev_b32_e32 v2, 3, v2
	v_cmp_eq_u32_e32 vcc, 0, v12
	v_and_b32_e32 v2, 0xf8, v2
	v_and_or_b32 v2, v8, 7, v2
	s_and_b64 s[28:29], vcc, s[28:29]
	v_cndmask_b32_e64 v2, v2, 0, s[28:29]
	v_or_b32_e32 v18, v2, v14
.LBB4_3245:                             ;   in Loop: Header=BB4_2583 Depth=4
	s_or_b64 exec, exec, s[36:37]
                                        ; implicit-def: $vgpr14
.LBB4_3246:                             ;   in Loop: Header=BB4_2583 Depth=4
	s_andn2_saveexec_b64 s[28:29], s[34:35]
; %bb.3247:                             ;   in Loop: Header=BB4_2583 Depth=4
	v_or_b32_e32 v18, 0x7e, v14
; %bb.3248:                             ;   in Loop: Header=BB4_2583 Depth=4
	s_or_b64 exec, exec, s[28:29]
                                        ; implicit-def: $vgpr8
.LBB4_3249:                             ;   in Loop: Header=BB4_2583 Depth=4
	s_andn2_saveexec_b64 s[28:29], s[30:31]
; %bb.3250:                             ;   in Loop: Header=BB4_2583 Depth=4
	v_or_b32_sdwa v18, v8, s68 dst_sel:DWORD dst_unused:UNUSED_PAD src0_sel:BYTE_3 src1_sel:DWORD
; %bb.3251:                             ;   in Loop: Header=BB4_2583 Depth=4
	s_or_b64 exec, exec, s[28:29]
	v_lshrrev_b32_e32 v2, 16, v11
	v_cmp_ne_u16_sdwa vcc, v2, v3 src0_sel:BYTE_0 src1_sel:DWORD
	v_mov_b32_e32 v8, 0
	s_and_saveexec_b64 s[28:29], vcc
	s_cbranch_execz .LBB4_3257
; %bb.3252:                             ;   in Loop: Header=BB4_2583 Depth=4
	v_cmp_ne_u16_sdwa vcc, v2, s70 src0_sel:BYTE_0 src1_sel:DWORD
	v_bfrev_b32_e32 v8, 1
	s_and_saveexec_b64 s[30:31], vcc
	s_cbranch_execz .LBB4_3256
; %bb.3253:                             ;   in Loop: Header=BB4_2583 Depth=4
	v_bfe_u32 v9, v11, 16, 7
	v_cmp_ne_u32_e32 vcc, s68, v9
	v_mov_b32_e32 v8, 0x7f800001
	s_and_saveexec_b64 s[34:35], vcc
	s_cbranch_execz .LBB4_3255
; %bb.3254:                             ;   in Loop: Header=BB4_2583 Depth=4
	v_and_b32_e32 v12, 7, v2
	v_ffbh_u32_e32 v8, v12
	v_min_u32_e32 v14, 32, v8
	v_subrev_u32_e32 v8, 28, v14
	v_lshrrev_b32_e32 v13, 3, v9
	v_cmp_gt_u32_e32 vcc, 8, v9
	v_lshlrev_b64 v[8:9], v8, v[2:3]
	v_sub_u32_e32 v9, 29, v14
	v_and_b32_e32 v8, 7, v8
	v_cndmask_b32_e32 v9, v13, v9, vcc
	v_cndmask_b32_e32 v8, v12, v8, vcc
	v_lshlrev_b32_e32 v2, 24, v2
	v_lshlrev_b32_e32 v8, 20, v8
	v_and_b32_e32 v2, 0x80000000, v2
	v_lshl_add_u32 v9, v9, 23, v5
	v_or3_b32 v8, v2, v9, v8
.LBB4_3255:                             ;   in Loop: Header=BB4_2583 Depth=4
	s_or_b64 exec, exec, s[34:35]
.LBB4_3256:                             ;   in Loop: Header=BB4_2583 Depth=4
	s_or_b64 exec, exec, s[30:31]
.LBB4_3257:                             ;   in Loop: Header=BB4_2583 Depth=4
	s_or_b64 exec, exec, s[28:29]
	v_mul_f32_e32 v8, v7, v8
	v_and_b32_e32 v2, 0x7f800000, v8
	v_cmp_ne_u64_e32 vcc, s[62:63], v[2:3]
                                        ; implicit-def: $vgpr31
	s_and_saveexec_b64 s[28:29], vcc
	s_xor_b64 s[30:31], exec, s[28:29]
	s_cbranch_execz .LBB4_3271
; %bb.3258:                             ;   in Loop: Header=BB4_2583 Depth=4
	v_and_b32_e32 v2, 0x7fffffff, v8
	v_cmp_gt_u64_e32 vcc, s[72:73], v[2:3]
	v_and_b32_sdwa v14, v8, s70 dst_sel:DWORD dst_unused:UNUSED_PAD src0_sel:BYTE_3 src1_sel:DWORD
                                        ; implicit-def: $vgpr31
	s_and_saveexec_b64 s[28:29], vcc
	s_xor_b64 s[34:35], exec, s[28:29]
	s_cbranch_execz .LBB4_3268
; %bb.3259:                             ;   in Loop: Header=BB4_2583 Depth=4
	v_mov_b32_e32 v31, 0
	v_cmp_ne_u32_e32 vcc, 0, v8
	s_and_saveexec_b64 s[36:37], vcc
	s_cbranch_execz .LBB4_3267
; %bb.3260:                             ;   in Loop: Header=BB4_2583 Depth=4
	v_bfe_u32 v15, v8, 23, 8
	v_and_b32_e32 v2, 0x7fffff, v8
	v_cmp_gt_u32_e64 s[28:29], s71, v15
	v_sub_u32_e32 v8, 0x79, v15
	v_cmp_eq_u32_e32 vcc, 0, v15
	v_cndmask_b32_e64 v8, 0, v8, s[28:29]
	v_mov_b32_e32 v12, 0x78
	v_cndmask_b32_e32 v25, v8, v12, vcc
	v_or_b32_e32 v9, 0x800000, v2
	v_add_u32_e32 v8, 20, v25
	v_cndmask_b32_e32 v2, v9, v2, vcc
	v_lshlrev_b64 v[8:9], v8, -1
	v_add_u32_e32 v12, 19, v25
	v_lshlrev_b64 v[12:13], v12, 1
	v_bfi_b32 v9, v9, 0, 0
	v_bfi_b32 v8, v8, 0, v2
	v_cmp_eq_u64_e64 s[28:29], v[8:9], v[12:13]
	v_lshrrev_b64 v[8:9], v25, v[2:3]
	v_mov_b32_e32 v13, v9
	v_mov_b32_e32 v12, v8
	s_and_saveexec_b64 s[38:39], s[28:29]
; %bb.3261:                             ;   in Loop: Header=BB4_2583 Depth=4
	v_bfe_u32 v2, v8, 20, 1
	v_add_co_u32_e64 v2, s[28:29], v8, v2
	v_add_co_u32_e64 v12, s[28:29], -1, v2
; %bb.3262:                             ;   in Loop: Header=BB4_2583 Depth=4
	s_or_b64 exec, exec, s[38:39]
	v_add_u32_e32 v2, 0xffffff81, v15
	v_mov_b32_e32 v9, 0xffffff82
	v_cndmask_b32_e32 v2, v2, v9, vcc
	v_lshrrev_b32_e32 v9, 23, v8
	v_add3_u32 v15, v25, v2, v9
	v_add_u32_e32 v13, 6, v15
	v_and_b32_e32 v2, 0xfffff, v12
	v_add_u32_e32 v2, v2, v8
	v_cmp_ne_u32_e32 vcc, 0, v13
                                        ; implicit-def: $vgpr8_vgpr9
                                        ; implicit-def: $vgpr12
	s_and_saveexec_b64 s[28:29], vcc
	s_xor_b64 s[28:29], exec, s[28:29]
; %bb.3263:                             ;   in Loop: Header=BB4_2583 Depth=4
	v_cmp_lt_u64_e32 vcc, s[74:75], v[2:3]
	v_add_u32_e32 v8, 7, v15
	v_cndmask_b32_e32 v12, v13, v8, vcc
	v_cndmask_b32_e64 v8, 0, 1, vcc
	v_lshrrev_b64 v[8:9], v8, v[2:3]
; %bb.3264:                             ;   in Loop: Header=BB4_2583 Depth=4
	s_andn2_saveexec_b64 s[28:29], s[28:29]
; %bb.3265:                             ;   in Loop: Header=BB4_2583 Depth=4
	v_mov_b32_e32 v9, v3
	v_bfe_u32 v12, v2, 23, 1
	v_mov_b32_e32 v8, v2
; %bb.3266:                             ;   in Loop: Header=BB4_2583 Depth=4
	s_or_b64 exec, exec, s[28:29]
	v_lshrrev_b64 v[8:9], 20, v[8:9]
	v_cmp_gt_i32_e32 vcc, 16, v12
	v_cndmask_b32_e32 v9, 0, v9, vcc
	v_cndmask_b32_e32 v8, 7, v8, vcc
	v_min_i32_e32 v2, 15, v12
	v_cmp_eq_u64_e64 s[28:29], 0, v[8:9]
	v_lshlrev_b32_e32 v2, 3, v2
	v_cmp_eq_u32_e32 vcc, 0, v12
	v_and_b32_e32 v2, 0xf8, v2
	v_and_or_b32 v2, v8, 7, v2
	s_and_b64 s[28:29], vcc, s[28:29]
	v_cndmask_b32_e64 v2, v2, 0, s[28:29]
	v_or_b32_e32 v31, v2, v14
.LBB4_3267:                             ;   in Loop: Header=BB4_2583 Depth=4
	s_or_b64 exec, exec, s[36:37]
                                        ; implicit-def: $vgpr14
.LBB4_3268:                             ;   in Loop: Header=BB4_2583 Depth=4
	s_andn2_saveexec_b64 s[28:29], s[34:35]
; %bb.3269:                             ;   in Loop: Header=BB4_2583 Depth=4
	v_or_b32_e32 v31, 0x7e, v14
; %bb.3270:                             ;   in Loop: Header=BB4_2583 Depth=4
	s_or_b64 exec, exec, s[28:29]
                                        ; implicit-def: $vgpr8
.LBB4_3271:                             ;   in Loop: Header=BB4_2583 Depth=4
	s_andn2_saveexec_b64 s[28:29], s[30:31]
; %bb.3272:                             ;   in Loop: Header=BB4_2583 Depth=4
	v_or_b32_sdwa v31, v8, s68 dst_sel:DWORD dst_unused:UNUSED_PAD src0_sel:BYTE_3 src1_sel:DWORD
; %bb.3273:                             ;   in Loop: Header=BB4_2583 Depth=4
	s_or_b64 exec, exec, s[28:29]
	v_cmp_lt_u64_e32 vcc, s[56:57], v[10:11]
	v_mov_b32_e32 v8, 0
	s_and_saveexec_b64 s[28:29], vcc
	s_cbranch_execz .LBB4_3279
; %bb.3274:                             ;   in Loop: Header=BB4_2583 Depth=4
	v_lshrrev_b32_e32 v2, 24, v11
	v_cmp_ne_u32_e32 vcc, s70, v2
	v_bfrev_b32_e32 v8, 1
	s_and_saveexec_b64 s[30:31], vcc
	s_cbranch_execz .LBB4_3278
; %bb.3275:                             ;   in Loop: Header=BB4_2583 Depth=4
	v_bfe_u32 v9, v11, 24, 7
	v_cmp_ne_u32_e32 vcc, s68, v9
	v_mov_b32_e32 v8, 0x7f800001
	s_and_saveexec_b64 s[34:35], vcc
	s_cbranch_execz .LBB4_3277
; %bb.3276:                             ;   in Loop: Header=BB4_2583 Depth=4
	v_and_b32_e32 v10, 7, v2
	v_ffbh_u32_e32 v8, v10
	v_min_u32_e32 v12, 32, v8
	v_subrev_u32_e32 v8, 28, v12
	v_lshrrev_b32_e32 v11, 3, v9
	v_cmp_gt_u32_e32 vcc, 8, v9
	v_lshlrev_b64 v[8:9], v8, v[2:3]
	v_sub_u32_e32 v9, 29, v12
	v_and_b32_e32 v8, 7, v8
	v_cndmask_b32_e32 v9, v11, v9, vcc
	v_cndmask_b32_e32 v8, v10, v8, vcc
	v_lshlrev_b32_e32 v2, 24, v2
	v_lshlrev_b32_e32 v8, 20, v8
	v_and_b32_e32 v2, 0x80000000, v2
	v_lshl_add_u32 v9, v9, 23, v5
	v_or3_b32 v8, v2, v9, v8
.LBB4_3277:                             ;   in Loop: Header=BB4_2583 Depth=4
	s_or_b64 exec, exec, s[34:35]
.LBB4_3278:                             ;   in Loop: Header=BB4_2583 Depth=4
	s_or_b64 exec, exec, s[30:31]
.LBB4_3279:                             ;   in Loop: Header=BB4_2583 Depth=4
	s_or_b64 exec, exec, s[28:29]
	v_mul_f32_e32 v8, v7, v8
	v_and_b32_e32 v2, 0x7f800000, v8
	v_cmp_ne_u64_e32 vcc, s[62:63], v[2:3]
                                        ; implicit-def: $vgpr25
	s_and_saveexec_b64 s[28:29], vcc
	s_xor_b64 s[30:31], exec, s[28:29]
	s_cbranch_execz .LBB4_3293
; %bb.3280:                             ;   in Loop: Header=BB4_2583 Depth=4
	v_and_b32_e32 v2, 0x7fffffff, v8
	v_cmp_gt_u64_e32 vcc, s[72:73], v[2:3]
	v_and_b32_sdwa v7, v8, s70 dst_sel:DWORD dst_unused:UNUSED_PAD src0_sel:BYTE_3 src1_sel:DWORD
                                        ; implicit-def: $vgpr25
	s_and_saveexec_b64 s[28:29], vcc
	s_xor_b64 s[34:35], exec, s[28:29]
	s_cbranch_execz .LBB4_3290
; %bb.3281:                             ;   in Loop: Header=BB4_2583 Depth=4
	v_mov_b32_e32 v25, 0
	v_cmp_ne_u32_e32 vcc, 0, v8
	s_and_saveexec_b64 s[36:37], vcc
	s_cbranch_execz .LBB4_3289
; %bb.3282:                             ;   in Loop: Header=BB4_2583 Depth=4
	v_bfe_u32 v11, v8, 23, 8
	v_and_b32_e32 v2, 0x7fffff, v8
	v_cmp_gt_u32_e64 s[28:29], s71, v11
	v_sub_u32_e32 v8, 0x79, v11
	v_cmp_eq_u32_e32 vcc, 0, v11
	v_cndmask_b32_e64 v8, 0, v8, s[28:29]
	v_mov_b32_e32 v10, 0x78
	v_cndmask_b32_e32 v12, v8, v10, vcc
	v_or_b32_e32 v9, 0x800000, v2
	v_add_u32_e32 v8, 20, v12
	v_cndmask_b32_e32 v2, v9, v2, vcc
	v_lshlrev_b64 v[8:9], v8, -1
	v_add_u32_e32 v10, 19, v12
	v_lshlrev_b64 v[13:14], v10, 1
	v_bfi_b32 v9, v9, 0, 0
	v_bfi_b32 v8, v8, 0, v2
	v_cmp_eq_u64_e64 s[28:29], v[8:9], v[13:14]
	v_lshrrev_b64 v[8:9], v12, v[2:3]
	v_mov_b32_e32 v10, v9
	v_mov_b32_e32 v9, v8
	s_and_saveexec_b64 s[38:39], s[28:29]
; %bb.3283:                             ;   in Loop: Header=BB4_2583 Depth=4
	v_bfe_u32 v2, v8, 20, 1
	v_add_co_u32_e64 v2, s[28:29], v8, v2
	v_add_co_u32_e64 v9, s[28:29], -1, v2
; %bb.3284:                             ;   in Loop: Header=BB4_2583 Depth=4
	s_or_b64 exec, exec, s[38:39]
	v_add_u32_e32 v2, 0xffffff81, v11
	v_mov_b32_e32 v10, 0xffffff82
	v_cndmask_b32_e32 v2, v2, v10, vcc
	v_lshrrev_b32_e32 v10, 23, v8
	v_add3_u32 v12, v12, v2, v10
	v_add_u32_e32 v11, 6, v12
	v_and_b32_e32 v2, 0xfffff, v9
	v_add_u32_e32 v2, v2, v8
	v_cmp_ne_u32_e32 vcc, 0, v11
                                        ; implicit-def: $vgpr8_vgpr9
                                        ; implicit-def: $vgpr10
	s_and_saveexec_b64 s[28:29], vcc
	s_xor_b64 s[28:29], exec, s[28:29]
; %bb.3285:                             ;   in Loop: Header=BB4_2583 Depth=4
	v_cmp_lt_u64_e32 vcc, s[74:75], v[2:3]
	v_add_u32_e32 v8, 7, v12
	v_cndmask_b32_e32 v10, v11, v8, vcc
	v_cndmask_b32_e64 v8, 0, 1, vcc
	v_lshrrev_b64 v[8:9], v8, v[2:3]
; %bb.3286:                             ;   in Loop: Header=BB4_2583 Depth=4
	s_andn2_saveexec_b64 s[28:29], s[28:29]
; %bb.3287:                             ;   in Loop: Header=BB4_2583 Depth=4
	v_mov_b32_e32 v9, v3
	v_bfe_u32 v10, v2, 23, 1
	v_mov_b32_e32 v8, v2
; %bb.3288:                             ;   in Loop: Header=BB4_2583 Depth=4
	s_or_b64 exec, exec, s[28:29]
	v_lshrrev_b64 v[8:9], 20, v[8:9]
	v_cmp_gt_i32_e32 vcc, 16, v10
	v_cndmask_b32_e32 v9, 0, v9, vcc
	v_cndmask_b32_e32 v8, 7, v8, vcc
	v_min_i32_e32 v2, 15, v10
	v_cmp_eq_u64_e64 s[28:29], 0, v[8:9]
	v_lshlrev_b32_e32 v2, 3, v2
	v_cmp_eq_u32_e32 vcc, 0, v10
	v_and_b32_e32 v2, 0xf8, v2
	v_and_or_b32 v2, v8, 7, v2
	s_and_b64 s[28:29], vcc, s[28:29]
	v_cndmask_b32_e64 v2, v2, 0, s[28:29]
	v_or_b32_e32 v25, v2, v7
.LBB4_3289:                             ;   in Loop: Header=BB4_2583 Depth=4
	s_or_b64 exec, exec, s[36:37]
                                        ; implicit-def: $vgpr7
.LBB4_3290:                             ;   in Loop: Header=BB4_2583 Depth=4
	s_andn2_saveexec_b64 s[28:29], s[34:35]
; %bb.3291:                             ;   in Loop: Header=BB4_2583 Depth=4
	v_or_b32_e32 v25, 0x7e, v7
; %bb.3292:                             ;   in Loop: Header=BB4_2583 Depth=4
	s_or_b64 exec, exec, s[28:29]
                                        ; implicit-def: $vgpr8
.LBB4_3293:                             ;   in Loop: Header=BB4_2583 Depth=4
	s_andn2_saveexec_b64 s[28:29], s[30:31]
; %bb.3294:                             ;   in Loop: Header=BB4_2583 Depth=4
	v_or_b32_sdwa v25, v8, s68 dst_sel:DWORD dst_unused:UNUSED_PAD src0_sel:BYTE_3 src1_sel:DWORD
; %bb.3295:                             ;   in Loop: Header=BB4_2583 Depth=4
	s_or_b64 exec, exec, s[28:29]
	global_load_dwordx4 v[12:15], v[46:47], off glc slc
	global_load_dwordx4 v[8:11], v[46:47], off offset:1024 glc slc
	v_lshl_or_b32 v7, v26, 8, v1
	v_lshlrev_b32_e32 v2, 16, v30
	v_lshlrev_b32_e32 v22, 24, v29
	v_or3_b32 v2, v2, v22, v7
	v_cmp_ne_u32_e32 vcc, 0, v1
	v_mov_b32_e32 v26, 0
	v_mov_b32_e32 v29, 0
	s_and_saveexec_b64 s[28:29], vcc
	s_cbranch_execz .LBB4_3301
; %bb.3296:                             ;   in Loop: Header=BB4_2583 Depth=4
	v_cmp_ne_u32_e32 vcc, s70, v1
	v_bfrev_b32_e32 v29, 1
	s_and_saveexec_b64 s[30:31], vcc
	s_cbranch_execz .LBB4_3300
; %bb.3297:                             ;   in Loop: Header=BB4_2583 Depth=4
	v_and_b32_e32 v30, 0x7f, v1
	v_cmp_ne_u32_e32 vcc, s68, v30
	v_mov_b32_e32 v29, 0x7f800001
	s_and_saveexec_b64 s[34:35], vcc
	s_cbranch_execz .LBB4_3299
; %bb.3298:                             ;   in Loop: Header=BB4_2583 Depth=4
	v_and_b32_e32 v1, 7, v1
	v_ffbh_u32_e32 v1, v1
	v_min_u32_e32 v1, 32, v1
	v_lshrrev_b32_e32 v22, 3, v30
	v_cmp_gt_u32_e32 vcc, 8, v30
	v_subrev_u32_e32 v23, 28, v1
	v_sub_u32_e32 v1, 29, v1
	v_cndmask_b32_e32 v1, v22, v1, vcc
	v_cndmask_b32_e32 v22, 0, v23, vcc
	v_lshlrev_b64 v[29:30], v22, v[2:3]
	v_lshlrev_b32_e32 v23, 24, v2
	v_lshlrev_b32_e32 v22, 20, v29
	v_and_b32_e32 v22, 0x700000, v22
	v_and_b32_e32 v23, 0x80000000, v23
	v_lshl_add_u32 v1, v1, 23, v5
	v_or3_b32 v29, v23, v1, v22
.LBB4_3299:                             ;   in Loop: Header=BB4_2583 Depth=4
	s_or_b64 exec, exec, s[34:35]
.LBB4_3300:                             ;   in Loop: Header=BB4_2583 Depth=4
	s_or_b64 exec, exec, s[30:31]
.LBB4_3301:                             ;   in Loop: Header=BB4_2583 Depth=4
	s_or_b64 exec, exec, s[28:29]
	s_waitcnt vmcnt(1)
	v_cmp_ne_u16_sdwa vcc, v12, v3 src0_sel:BYTE_0 src1_sel:DWORD
	s_and_saveexec_b64 s[28:29], vcc
	s_cbranch_execz .LBB4_3307
; %bb.3302:                             ;   in Loop: Header=BB4_2583 Depth=4
	v_cmp_ne_u16_sdwa vcc, v12, s70 src0_sel:BYTE_0 src1_sel:DWORD
	v_bfrev_b32_e32 v26, 1
	s_and_saveexec_b64 s[30:31], vcc
	s_cbranch_execz .LBB4_3306
; %bb.3303:                             ;   in Loop: Header=BB4_2583 Depth=4
	v_and_b32_e32 v1, 0x7f, v12
	v_cmp_ne_u32_e32 vcc, s68, v1
	v_mov_b32_e32 v26, 0x7f800001
	s_and_saveexec_b64 s[34:35], vcc
	s_cbranch_execz .LBB4_3305
; %bb.3304:                             ;   in Loop: Header=BB4_2583 Depth=4
	v_and_b32_e32 v22, 7, v12
	v_lshrrev_b32_e32 v23, 3, v1
	v_cmp_gt_u32_e32 vcc, 8, v1
	v_ffbh_u32_e32 v1, v22
	v_min_u32_e32 v1, 32, v1
	v_subrev_u32_e32 v22, 28, v1
	v_cndmask_b32_e32 v22, 0, v22, vcc
	v_lshlrev_b64 v[58:59], v22, v[12:13]
	v_sub_u32_e32 v1, 29, v1
	v_cndmask_b32_e32 v1, v23, v1, vcc
	v_lshlrev_b32_e32 v22, 20, v58
	v_lshlrev_b32_e32 v23, 24, v12
	v_and_b32_e32 v22, 0x700000, v22
	v_and_b32_e32 v23, 0x80000000, v23
	v_lshl_add_u32 v1, v1, 23, v5
	v_or3_b32 v26, v23, v1, v22
.LBB4_3305:                             ;   in Loop: Header=BB4_2583 Depth=4
	s_or_b64 exec, exec, s[34:35]
.LBB4_3306:                             ;   in Loop: Header=BB4_2583 Depth=4
	s_or_b64 exec, exec, s[30:31]
.LBB4_3307:                             ;   in Loop: Header=BB4_2583 Depth=4
	s_or_b64 exec, exec, s[28:29]
	v_add_f32_e32 v29, v29, v26
	v_and_b32_e32 v58, 0x7f800000, v29
	v_mov_b32_e32 v59, v3
	v_cmp_ne_u64_e32 vcc, s[62:63], v[58:59]
                                        ; implicit-def: $vgpr1
	s_and_saveexec_b64 s[28:29], vcc
	s_xor_b64 s[30:31], exec, s[28:29]
	s_cbranch_execz .LBB4_3321
; %bb.3308:                             ;   in Loop: Header=BB4_2583 Depth=4
	v_and_b32_e32 v58, 0x7fffffff, v29
	v_mov_b32_e32 v59, v3
	v_cmp_gt_u64_e32 vcc, s[72:73], v[58:59]
	v_and_b32_sdwa v26, v29, s70 dst_sel:DWORD dst_unused:UNUSED_PAD src0_sel:BYTE_3 src1_sel:DWORD
                                        ; implicit-def: $vgpr1
	s_and_saveexec_b64 s[28:29], vcc
	s_xor_b64 s[34:35], exec, s[28:29]
	s_cbranch_execz .LBB4_3318
; %bb.3309:                             ;   in Loop: Header=BB4_2583 Depth=4
	v_mov_b32_e32 v1, 0
	v_cmp_ne_u32_e32 vcc, 0, v29
	s_and_saveexec_b64 s[36:37], vcc
	s_cbranch_execz .LBB4_3317
; %bb.3310:                             ;   in Loop: Header=BB4_2583 Depth=4
	v_bfe_u32 v1, v29, 23, 8
	v_cmp_gt_u32_e64 s[28:29], s71, v1
	v_sub_u32_e32 v23, 0x79, v1
	v_and_b32_e32 v22, 0x7fffff, v29
	v_cmp_eq_u32_e32 vcc, 0, v1
	v_cndmask_b32_e64 v23, 0, v23, s[28:29]
	v_mov_b32_e32 v29, 0x78
	v_or_b32_e32 v30, 0x800000, v22
	v_cndmask_b32_e32 v29, v23, v29, vcc
	v_cndmask_b32_e32 v58, v30, v22, vcc
	v_add_u32_e32 v22, 20, v29
	v_lshlrev_b64 v[22:23], v22, -1
	v_mov_b32_e32 v59, v3
	v_add_u32_e32 v30, 19, v29
	v_bfi_b32 v22, v22, 0, v58
	v_lshlrev_b64 v[32:33], v30, 1
	v_lshrrev_b64 v[58:59], v29, v[58:59]
	v_bfi_b32 v23, v23, 0, 0
	v_cmp_eq_u64_e64 s[28:29], v[22:23], v[32:33]
	v_mov_b32_e32 v60, v59
	v_mov_b32_e32 v59, v58
	s_and_saveexec_b64 s[38:39], s[28:29]
; %bb.3311:                             ;   in Loop: Header=BB4_2583 Depth=4
	v_bfe_u32 v22, v58, 20, 1
	v_add_co_u32_e64 v22, s[28:29], v58, v22
	v_add_co_u32_e64 v59, s[28:29], -1, v22
; %bb.3312:                             ;   in Loop: Header=BB4_2583 Depth=4
	s_or_b64 exec, exec, s[38:39]
	v_add_u32_e32 v1, 0xffffff81, v1
	v_mov_b32_e32 v22, 0xffffff82
	v_cndmask_b32_e32 v1, v1, v22, vcc
	v_lshrrev_b32_e32 v22, 23, v58
	v_add3_u32 v30, v29, v1, v22
	v_add_u32_e32 v29, 6, v30
	v_and_b32_e32 v1, 0xfffff, v59
	v_add_u32_e32 v58, v1, v58
	v_mov_b32_e32 v59, v3
	v_cmp_ne_u32_e32 vcc, 0, v29
                                        ; implicit-def: $vgpr1
	s_and_saveexec_b64 s[28:29], vcc
	s_xor_b64 s[28:29], exec, s[28:29]
; %bb.3313:                             ;   in Loop: Header=BB4_2583 Depth=4
	v_cmp_lt_u64_e32 vcc, s[74:75], v[58:59]
	v_add_u32_e32 v1, 7, v30
	v_cndmask_b32_e64 v22, 0, 1, vcc
	v_cndmask_b32_e32 v1, v29, v1, vcc
	v_lshrrev_b64 v[58:59], v22, v[58:59]
; %bb.3314:                             ;   in Loop: Header=BB4_2583 Depth=4
	s_andn2_saveexec_b64 s[28:29], s[28:29]
; %bb.3315:                             ;   in Loop: Header=BB4_2583 Depth=4
	v_bfe_u32 v1, v58, 23, 1
; %bb.3316:                             ;   in Loop: Header=BB4_2583 Depth=4
	s_or_b64 exec, exec, s[28:29]
	v_lshrrev_b64 v[22:23], 20, v[58:59]
	v_cmp_gt_i32_e32 vcc, 16, v1
	v_cndmask_b32_e32 v23, 0, v23, vcc
	v_cndmask_b32_e32 v22, 7, v22, vcc
	v_cmp_eq_u32_e32 vcc, 0, v1
	v_min_i32_e32 v1, 15, v1
	v_cmp_eq_u64_e64 s[28:29], 0, v[22:23]
	v_lshlrev_b32_e32 v1, 3, v1
	v_and_b32_e32 v1, 0xf8, v1
	v_and_or_b32 v1, v22, 7, v1
	s_and_b64 s[28:29], vcc, s[28:29]
	v_cndmask_b32_e64 v1, v1, 0, s[28:29]
	v_or_b32_e32 v1, v1, v26
.LBB4_3317:                             ;   in Loop: Header=BB4_2583 Depth=4
	s_or_b64 exec, exec, s[36:37]
                                        ; implicit-def: $vgpr26
.LBB4_3318:                             ;   in Loop: Header=BB4_2583 Depth=4
	s_andn2_saveexec_b64 s[28:29], s[34:35]
; %bb.3319:                             ;   in Loop: Header=BB4_2583 Depth=4
	v_or_b32_e32 v1, 0x7e, v26
; %bb.3320:                             ;   in Loop: Header=BB4_2583 Depth=4
	s_or_b64 exec, exec, s[28:29]
                                        ; implicit-def: $vgpr29
.LBB4_3321:                             ;   in Loop: Header=BB4_2583 Depth=4
	s_andn2_saveexec_b64 s[28:29], s[30:31]
; %bb.3322:                             ;   in Loop: Header=BB4_2583 Depth=4
	v_or_b32_sdwa v1, v29, s68 dst_sel:DWORD dst_unused:UNUSED_PAD src0_sel:BYTE_3 src1_sel:DWORD
; %bb.3323:                             ;   in Loop: Header=BB4_2583 Depth=4
	s_or_b64 exec, exec, s[28:29]
	v_lshrrev_b16_e32 v30, 8, v7
	v_cmp_ne_u16_e32 vcc, 0, v30
	v_mov_b32_e32 v26, 0
	v_mov_b32_e32 v29, 0
	s_and_saveexec_b64 s[28:29], vcc
	s_cbranch_execz .LBB4_3329
; %bb.3324:                             ;   in Loop: Header=BB4_2583 Depth=4
	v_cmp_ne_u16_e32 vcc, s70, v30
	v_bfrev_b32_e32 v29, 1
	s_and_saveexec_b64 s[30:31], vcc
	s_cbranch_execz .LBB4_3328
; %bb.3325:                             ;   in Loop: Header=BB4_2583 Depth=4
	v_and_b32_e32 v34, 0x7f, v30
	v_cmp_ne_u32_e32 vcc, s68, v34
	v_mov_b32_e32 v29, 0x7f800001
	s_and_saveexec_b64 s[34:35], vcc
	s_cbranch_execz .LBB4_3327
; %bb.3326:                             ;   in Loop: Header=BB4_2583 Depth=4
	v_and_b32_e32 v29, 7, v30
	v_ffbh_u32_e32 v22, v29
	v_min_u32_e32 v33, 32, v22
	v_subrev_u32_e32 v22, 28, v33
	v_lshlrev_b64 v[22:23], v22, v[30:31]
	v_lshrrev_b32_e32 v32, 3, v34
	v_cmp_gt_u32_e32 vcc, 8, v34
	v_sub_u32_e32 v23, 29, v33
	v_and_b32_e32 v22, 7, v22
	v_cndmask_b32_e32 v23, v32, v23, vcc
	v_cndmask_b32_e32 v22, v29, v22, vcc
	v_lshlrev_b32_e32 v7, 16, v7
	v_lshlrev_b32_e32 v22, 20, v22
	v_and_b32_e32 v7, 0x80000000, v7
	v_lshl_add_u32 v23, v23, 23, v5
	v_or3_b32 v29, v7, v23, v22
.LBB4_3327:                             ;   in Loop: Header=BB4_2583 Depth=4
	s_or_b64 exec, exec, s[34:35]
.LBB4_3328:                             ;   in Loop: Header=BB4_2583 Depth=4
	s_or_b64 exec, exec, s[30:31]
.LBB4_3329:                             ;   in Loop: Header=BB4_2583 Depth=4
	s_or_b64 exec, exec, s[28:29]
	v_lshrrev_b16_e32 v30, 8, v12
	v_cmp_ne_u16_e32 vcc, 0, v30
	s_and_saveexec_b64 s[28:29], vcc
	s_cbranch_execz .LBB4_3335
; %bb.3330:                             ;   in Loop: Header=BB4_2583 Depth=4
	v_cmp_ne_u16_e32 vcc, s70, v30
	v_bfrev_b32_e32 v26, 1
	s_and_saveexec_b64 s[30:31], vcc
	s_cbranch_execz .LBB4_3334
; %bb.3331:                             ;   in Loop: Header=BB4_2583 Depth=4
	v_and_b32_e32 v7, 0x7f, v30
	v_cmp_ne_u32_e32 vcc, s68, v7
	v_mov_b32_e32 v26, 0x7f800001
	s_and_saveexec_b64 s[34:35], vcc
	s_cbranch_execz .LBB4_3333
; %bb.3332:                             ;   in Loop: Header=BB4_2583 Depth=4
	v_and_b32_e32 v26, 7, v30
	v_lshrrev_b32_e32 v32, 3, v7
	v_cmp_gt_u32_e32 vcc, 8, v7
	v_ffbh_u32_e32 v7, v26
	v_min_u32_e32 v7, 32, v7
	v_subrev_u32_e32 v22, 28, v7
	v_lshlrev_b64 v[22:23], v22, v[30:31]
	v_sub_u32_e32 v7, 29, v7
	v_and_b32_e32 v22, 7, v22
	v_cndmask_b32_e32 v7, v32, v7, vcc
	v_cndmask_b32_e32 v22, v26, v22, vcc
	v_lshlrev_b32_e32 v23, 16, v12
	v_lshlrev_b32_e32 v22, 20, v22
	v_and_b32_e32 v23, 0x80000000, v23
	v_lshl_add_u32 v7, v7, 23, v5
	v_or3_b32 v26, v23, v7, v22
.LBB4_3333:                             ;   in Loop: Header=BB4_2583 Depth=4
	s_or_b64 exec, exec, s[34:35]
.LBB4_3334:                             ;   in Loop: Header=BB4_2583 Depth=4
	s_or_b64 exec, exec, s[30:31]
.LBB4_3335:                             ;   in Loop: Header=BB4_2583 Depth=4
	s_or_b64 exec, exec, s[28:29]
	v_add_f32_e32 v29, v29, v26
	v_and_b32_e32 v22, 0x7f800000, v29
	v_mov_b32_e32 v23, v3
	v_cmp_ne_u64_e32 vcc, s[62:63], v[22:23]
                                        ; implicit-def: $vgpr7
	s_and_saveexec_b64 s[28:29], vcc
	s_xor_b64 s[30:31], exec, s[28:29]
	s_cbranch_execz .LBB4_3349
; %bb.3336:                             ;   in Loop: Header=BB4_2583 Depth=4
	v_and_b32_e32 v22, 0x7fffffff, v29
	v_mov_b32_e32 v23, v3
	v_cmp_gt_u64_e32 vcc, s[72:73], v[22:23]
	v_and_b32_sdwa v26, v29, s70 dst_sel:DWORD dst_unused:UNUSED_PAD src0_sel:BYTE_3 src1_sel:DWORD
                                        ; implicit-def: $vgpr7
	s_and_saveexec_b64 s[28:29], vcc
	s_xor_b64 s[34:35], exec, s[28:29]
	s_cbranch_execz .LBB4_3346
; %bb.3337:                             ;   in Loop: Header=BB4_2583 Depth=4
	v_mov_b32_e32 v7, 0
	v_cmp_ne_u32_e32 vcc, 0, v29
	s_and_saveexec_b64 s[36:37], vcc
	s_cbranch_execz .LBB4_3345
; %bb.3338:                             ;   in Loop: Header=BB4_2583 Depth=4
	v_bfe_u32 v7, v29, 23, 8
	v_cmp_gt_u32_e64 s[28:29], s71, v7
	v_sub_u32_e32 v23, 0x79, v7
	v_and_b32_e32 v22, 0x7fffff, v29
	v_cmp_eq_u32_e32 vcc, 0, v7
	v_cndmask_b32_e64 v23, 0, v23, s[28:29]
	v_mov_b32_e32 v29, 0x78
	v_or_b32_e32 v30, 0x800000, v22
	v_cndmask_b32_e32 v29, v23, v29, vcc
	v_cndmask_b32_e32 v22, v30, v22, vcc
	v_add_u32_e32 v30, 20, v29
	v_lshlrev_b64 v[32:33], v30, -1
	v_add_u32_e32 v30, 19, v29
	v_lshlrev_b64 v[58:59], v30, 1
	v_mov_b32_e32 v23, v3
	v_bfi_b32 v33, v33, 0, 0
	v_bfi_b32 v32, v32, 0, v22
	v_cmp_eq_u64_e64 s[28:29], v[32:33], v[58:59]
	v_lshrrev_b64 v[58:59], v29, v[22:23]
	v_mov_b32_e32 v60, v59
	v_mov_b32_e32 v59, v58
	s_and_saveexec_b64 s[38:39], s[28:29]
; %bb.3339:                             ;   in Loop: Header=BB4_2583 Depth=4
	v_bfe_u32 v22, v58, 20, 1
	v_add_co_u32_e64 v22, s[28:29], v58, v22
	v_add_co_u32_e64 v59, s[28:29], -1, v22
; %bb.3340:                             ;   in Loop: Header=BB4_2583 Depth=4
	s_or_b64 exec, exec, s[38:39]
	v_add_u32_e32 v7, 0xffffff81, v7
	v_mov_b32_e32 v22, 0xffffff82
	v_cndmask_b32_e32 v7, v7, v22, vcc
	v_lshrrev_b32_e32 v22, 23, v58
	v_add3_u32 v30, v29, v7, v22
	v_add_u32_e32 v29, 6, v30
	v_and_b32_e32 v7, 0xfffff, v59
	v_add_u32_e32 v58, v7, v58
	v_mov_b32_e32 v59, v3
	v_cmp_ne_u32_e32 vcc, 0, v29
                                        ; implicit-def: $vgpr7
	s_and_saveexec_b64 s[28:29], vcc
	s_xor_b64 s[28:29], exec, s[28:29]
; %bb.3341:                             ;   in Loop: Header=BB4_2583 Depth=4
	v_cmp_lt_u64_e32 vcc, s[74:75], v[58:59]
	v_add_u32_e32 v7, 7, v30
	v_cndmask_b32_e64 v22, 0, 1, vcc
	v_cndmask_b32_e32 v7, v29, v7, vcc
	v_lshrrev_b64 v[58:59], v22, v[58:59]
; %bb.3342:                             ;   in Loop: Header=BB4_2583 Depth=4
	s_andn2_saveexec_b64 s[28:29], s[28:29]
; %bb.3343:                             ;   in Loop: Header=BB4_2583 Depth=4
	v_bfe_u32 v7, v58, 23, 1
; %bb.3344:                             ;   in Loop: Header=BB4_2583 Depth=4
	s_or_b64 exec, exec, s[28:29]
	v_lshrrev_b64 v[22:23], 20, v[58:59]
	v_cmp_gt_i32_e32 vcc, 16, v7
	v_cndmask_b32_e32 v23, 0, v23, vcc
	v_cndmask_b32_e32 v22, 7, v22, vcc
	v_cmp_eq_u32_e32 vcc, 0, v7
	v_min_i32_e32 v7, 15, v7
	v_cmp_eq_u64_e64 s[28:29], 0, v[22:23]
	v_lshlrev_b32_e32 v7, 3, v7
	v_and_b32_e32 v7, 0xf8, v7
	v_and_or_b32 v7, v22, 7, v7
	s_and_b64 s[28:29], vcc, s[28:29]
	v_cndmask_b32_e64 v7, v7, 0, s[28:29]
	v_or_b32_e32 v7, v7, v26
.LBB4_3345:                             ;   in Loop: Header=BB4_2583 Depth=4
	s_or_b64 exec, exec, s[36:37]
                                        ; implicit-def: $vgpr26
.LBB4_3346:                             ;   in Loop: Header=BB4_2583 Depth=4
	s_andn2_saveexec_b64 s[28:29], s[34:35]
; %bb.3347:                             ;   in Loop: Header=BB4_2583 Depth=4
	v_or_b32_e32 v7, 0x7e, v26
; %bb.3348:                             ;   in Loop: Header=BB4_2583 Depth=4
	s_or_b64 exec, exec, s[28:29]
                                        ; implicit-def: $vgpr29
.LBB4_3349:                             ;   in Loop: Header=BB4_2583 Depth=4
	s_andn2_saveexec_b64 s[28:29], s[30:31]
; %bb.3350:                             ;   in Loop: Header=BB4_2583 Depth=4
	v_or_b32_sdwa v7, v29, s68 dst_sel:DWORD dst_unused:UNUSED_PAD src0_sel:BYTE_3 src1_sel:DWORD
; %bb.3351:                             ;   in Loop: Header=BB4_2583 Depth=4
	s_or_b64 exec, exec, s[28:29]
	v_lshrrev_b32_e32 v30, 16, v2
	v_cmp_ne_u16_sdwa vcc, v30, v3 src0_sel:BYTE_0 src1_sel:DWORD
	v_mov_b32_e32 v26, 0
	v_mov_b32_e32 v29, 0
	s_and_saveexec_b64 s[28:29], vcc
	s_cbranch_execz .LBB4_3357
; %bb.3352:                             ;   in Loop: Header=BB4_2583 Depth=4
	v_cmp_ne_u16_sdwa vcc, v30, s70 src0_sel:BYTE_0 src1_sel:DWORD
	v_bfrev_b32_e32 v29, 1
	s_and_saveexec_b64 s[30:31], vcc
	s_cbranch_execz .LBB4_3356
; %bb.3353:                             ;   in Loop: Header=BB4_2583 Depth=4
	v_bfe_u32 v34, v2, 16, 7
	v_cmp_ne_u32_e32 vcc, s68, v34
	v_mov_b32_e32 v29, 0x7f800001
	s_and_saveexec_b64 s[34:35], vcc
	s_cbranch_execz .LBB4_3355
; %bb.3354:                             ;   in Loop: Header=BB4_2583 Depth=4
	v_and_b32_e32 v29, 7, v30
	v_ffbh_u32_e32 v22, v29
	v_min_u32_e32 v33, 32, v22
	v_subrev_u32_e32 v22, 28, v33
	v_lshlrev_b64 v[22:23], v22, v[30:31]
	v_lshrrev_b32_e32 v32, 3, v34
	v_cmp_gt_u32_e32 vcc, 8, v34
	v_sub_u32_e32 v23, 29, v33
	v_and_b32_e32 v22, 7, v22
	v_cndmask_b32_e32 v23, v32, v23, vcc
	v_cndmask_b32_e32 v22, v29, v22, vcc
	v_lshlrev_b32_e32 v29, 24, v30
	v_lshlrev_b32_e32 v22, 20, v22
	v_and_b32_e32 v29, 0x80000000, v29
	v_lshl_add_u32 v23, v23, 23, v5
	v_or3_b32 v29, v29, v23, v22
.LBB4_3355:                             ;   in Loop: Header=BB4_2583 Depth=4
	s_or_b64 exec, exec, s[34:35]
.LBB4_3356:                             ;   in Loop: Header=BB4_2583 Depth=4
	s_or_b64 exec, exec, s[30:31]
.LBB4_3357:                             ;   in Loop: Header=BB4_2583 Depth=4
	s_or_b64 exec, exec, s[28:29]
	v_lshrrev_b32_e32 v30, 16, v12
	v_cmp_ne_u16_sdwa vcc, v30, v3 src0_sel:BYTE_0 src1_sel:DWORD
	s_and_saveexec_b64 s[28:29], vcc
	s_cbranch_execz .LBB4_3363
; %bb.3358:                             ;   in Loop: Header=BB4_2583 Depth=4
	v_cmp_ne_u16_sdwa vcc, v30, s70 src0_sel:BYTE_0 src1_sel:DWORD
	v_bfrev_b32_e32 v26, 1
	s_and_saveexec_b64 s[30:31], vcc
	s_cbranch_execz .LBB4_3362
; %bb.3359:                             ;   in Loop: Header=BB4_2583 Depth=4
	v_bfe_u32 v34, v12, 16, 7
	v_cmp_ne_u32_e32 vcc, s68, v34
	v_mov_b32_e32 v26, 0x7f800001
	s_and_saveexec_b64 s[34:35], vcc
	s_cbranch_execz .LBB4_3361
; %bb.3360:                             ;   in Loop: Header=BB4_2583 Depth=4
	v_and_b32_e32 v26, 7, v30
	v_ffbh_u32_e32 v22, v26
	v_min_u32_e32 v33, 32, v22
	v_subrev_u32_e32 v22, 28, v33
	v_lshlrev_b64 v[22:23], v22, v[30:31]
	v_lshrrev_b32_e32 v32, 3, v34
	v_cmp_gt_u32_e32 vcc, 8, v34
	v_sub_u32_e32 v23, 29, v33
	v_and_b32_e32 v22, 7, v22
	v_cndmask_b32_e32 v23, v32, v23, vcc
	v_cndmask_b32_e32 v22, v26, v22, vcc
	v_lshlrev_b32_e32 v26, 8, v12
	v_lshlrev_b32_e32 v22, 20, v22
	v_and_b32_e32 v26, 0x80000000, v26
	v_lshl_add_u32 v23, v23, 23, v5
	v_or3_b32 v26, v26, v23, v22
.LBB4_3361:                             ;   in Loop: Header=BB4_2583 Depth=4
	s_or_b64 exec, exec, s[34:35]
.LBB4_3362:                             ;   in Loop: Header=BB4_2583 Depth=4
	s_or_b64 exec, exec, s[30:31]
.LBB4_3363:                             ;   in Loop: Header=BB4_2583 Depth=4
	s_or_b64 exec, exec, s[28:29]
	v_add_f32_e32 v30, v29, v26
	v_and_b32_e32 v22, 0x7f800000, v30
	v_mov_b32_e32 v23, v3
	v_cmp_ne_u64_e32 vcc, s[62:63], v[22:23]
                                        ; implicit-def: $vgpr26
	s_and_saveexec_b64 s[28:29], vcc
	s_xor_b64 s[30:31], exec, s[28:29]
	s_cbranch_execz .LBB4_3377
; %bb.3364:                             ;   in Loop: Header=BB4_2583 Depth=4
	v_and_b32_e32 v22, 0x7fffffff, v30
	v_mov_b32_e32 v23, v3
	v_cmp_gt_u64_e32 vcc, s[72:73], v[22:23]
	v_and_b32_sdwa v29, v30, s70 dst_sel:DWORD dst_unused:UNUSED_PAD src0_sel:BYTE_3 src1_sel:DWORD
                                        ; implicit-def: $vgpr26
	s_and_saveexec_b64 s[28:29], vcc
	s_xor_b64 s[34:35], exec, s[28:29]
	s_cbranch_execz .LBB4_3374
; %bb.3365:                             ;   in Loop: Header=BB4_2583 Depth=4
	v_mov_b32_e32 v26, 0
	v_cmp_ne_u32_e32 vcc, 0, v30
	s_and_saveexec_b64 s[36:37], vcc
	s_cbranch_execz .LBB4_3373
; %bb.3366:                             ;   in Loop: Header=BB4_2583 Depth=4
	v_bfe_u32 v26, v30, 23, 8
	v_cmp_gt_u32_e64 s[28:29], s71, v26
	v_sub_u32_e32 v23, 0x79, v26
	v_and_b32_e32 v22, 0x7fffff, v30
	v_cmp_eq_u32_e32 vcc, 0, v26
	v_cndmask_b32_e64 v23, 0, v23, s[28:29]
	v_mov_b32_e32 v30, 0x78
	v_or_b32_e32 v32, 0x800000, v22
	v_cndmask_b32_e32 v30, v23, v30, vcc
	v_cndmask_b32_e32 v22, v32, v22, vcc
	v_add_u32_e32 v32, 20, v30
	v_lshlrev_b64 v[32:33], v32, -1
	v_add_u32_e32 v34, 19, v30
	v_lshlrev_b64 v[58:59], v34, 1
	v_mov_b32_e32 v23, v3
	v_bfi_b32 v33, v33, 0, 0
	v_bfi_b32 v32, v32, 0, v22
	v_cmp_eq_u64_e64 s[28:29], v[32:33], v[58:59]
	v_lshrrev_b64 v[58:59], v30, v[22:23]
	v_mov_b32_e32 v60, v59
	v_mov_b32_e32 v59, v58
	s_and_saveexec_b64 s[38:39], s[28:29]
; %bb.3367:                             ;   in Loop: Header=BB4_2583 Depth=4
	v_bfe_u32 v22, v58, 20, 1
	v_add_co_u32_e64 v22, s[28:29], v58, v22
	v_add_co_u32_e64 v59, s[28:29], -1, v22
; %bb.3368:                             ;   in Loop: Header=BB4_2583 Depth=4
	s_or_b64 exec, exec, s[38:39]
	v_add_u32_e32 v22, 0xffffff81, v26
	v_mov_b32_e32 v23, 0xffffff82
	v_cndmask_b32_e32 v22, v22, v23, vcc
	v_lshrrev_b32_e32 v23, 23, v58
	v_add3_u32 v34, v30, v22, v23
	v_add_u32_e32 v30, 6, v34
	v_and_b32_e32 v22, 0xfffff, v59
	v_add_u32_e32 v58, v22, v58
	v_mov_b32_e32 v59, v3
	v_cmp_ne_u32_e32 vcc, 0, v30
                                        ; implicit-def: $vgpr26
	s_and_saveexec_b64 s[28:29], vcc
	s_xor_b64 s[28:29], exec, s[28:29]
; %bb.3369:                             ;   in Loop: Header=BB4_2583 Depth=4
	v_cmp_lt_u64_e32 vcc, s[74:75], v[58:59]
	v_add_u32_e32 v22, 7, v34
	v_cndmask_b32_e32 v26, v30, v22, vcc
	v_cndmask_b32_e64 v22, 0, 1, vcc
	v_lshrrev_b64 v[58:59], v22, v[58:59]
; %bb.3370:                             ;   in Loop: Header=BB4_2583 Depth=4
	s_andn2_saveexec_b64 s[28:29], s[28:29]
; %bb.3371:                             ;   in Loop: Header=BB4_2583 Depth=4
	v_bfe_u32 v26, v58, 23, 1
; %bb.3372:                             ;   in Loop: Header=BB4_2583 Depth=4
	s_or_b64 exec, exec, s[28:29]
	v_lshrrev_b64 v[22:23], 20, v[58:59]
	v_cmp_gt_i32_e32 vcc, 16, v26
	v_cndmask_b32_e32 v23, 0, v23, vcc
	v_cndmask_b32_e32 v22, 7, v22, vcc
	v_cmp_eq_u64_e64 s[28:29], 0, v[22:23]
	v_min_i32_e32 v23, 15, v26
	v_lshlrev_b32_e32 v23, 3, v23
	v_cmp_eq_u32_e32 vcc, 0, v26
	v_and_b32_e32 v23, 0xf8, v23
	v_and_or_b32 v22, v22, 7, v23
	s_and_b64 s[28:29], vcc, s[28:29]
	v_cndmask_b32_e64 v22, v22, 0, s[28:29]
	v_or_b32_e32 v26, v22, v29
.LBB4_3373:                             ;   in Loop: Header=BB4_2583 Depth=4
	s_or_b64 exec, exec, s[36:37]
                                        ; implicit-def: $vgpr29
.LBB4_3374:                             ;   in Loop: Header=BB4_2583 Depth=4
	s_andn2_saveexec_b64 s[28:29], s[34:35]
; %bb.3375:                             ;   in Loop: Header=BB4_2583 Depth=4
	v_or_b32_e32 v26, 0x7e, v29
; %bb.3376:                             ;   in Loop: Header=BB4_2583 Depth=4
	s_or_b64 exec, exec, s[28:29]
                                        ; implicit-def: $vgpr30
.LBB4_3377:                             ;   in Loop: Header=BB4_2583 Depth=4
	s_andn2_saveexec_b64 s[28:29], s[30:31]
; %bb.3378:                             ;   in Loop: Header=BB4_2583 Depth=4
	v_or_b32_sdwa v26, v30, s68 dst_sel:DWORD dst_unused:UNUSED_PAD src0_sel:BYTE_3 src1_sel:DWORD
; %bb.3379:                             ;   in Loop: Header=BB4_2583 Depth=4
	s_or_b64 exec, exec, s[28:29]
	v_cmp_lt_u32_e32 vcc, s57, v2
	v_mov_b32_e32 v29, 0
	v_mov_b32_e32 v34, 0
	s_and_saveexec_b64 s[28:29], vcc
	s_cbranch_execz .LBB4_3385
; %bb.3380:                             ;   in Loop: Header=BB4_2583 Depth=4
	v_lshrrev_b32_e32 v30, 24, v2
	v_cmp_ne_u32_sdwa vcc, v2, s70 src0_sel:BYTE_3 src1_sel:DWORD
	v_bfrev_b32_e32 v34, 1
	s_and_saveexec_b64 s[30:31], vcc
	s_cbranch_execz .LBB4_3384
; %bb.3381:                             ;   in Loop: Header=BB4_2583 Depth=4
	v_bfe_u32 v58, v2, 24, 7
	v_cmp_ne_u32_e32 vcc, s68, v58
	v_mov_b32_e32 v34, 0x7f800001
	s_and_saveexec_b64 s[34:35], vcc
	s_cbranch_execz .LBB4_3383
; %bb.3382:                             ;   in Loop: Header=BB4_2583 Depth=4
	v_and_b32_e32 v32, 7, v30
	v_ffbh_u32_e32 v22, v32
	v_min_u32_e32 v34, 32, v22
	v_subrev_u32_e32 v22, 28, v34
	v_lshlrev_b64 v[22:23], v22, v[30:31]
	v_lshrrev_b32_e32 v33, 3, v58
	v_cmp_gt_u32_e32 vcc, 8, v58
	v_sub_u32_e32 v23, 29, v34
	v_and_b32_e32 v22, 7, v22
	v_mov_b32_e32 v30, 24
	v_cndmask_b32_e32 v23, v33, v23, vcc
	v_cndmask_b32_e32 v22, v32, v22, vcc
	v_lshlrev_b32_sdwa v2, v30, v2 dst_sel:DWORD dst_unused:UNUSED_PAD src0_sel:DWORD src1_sel:BYTE_3
	v_lshlrev_b32_e32 v22, 20, v22
	v_and_b32_e32 v2, 0x80000000, v2
	v_lshl_add_u32 v23, v23, 23, v5
	v_or3_b32 v34, v2, v23, v22
.LBB4_3383:                             ;   in Loop: Header=BB4_2583 Depth=4
	s_or_b64 exec, exec, s[34:35]
.LBB4_3384:                             ;   in Loop: Header=BB4_2583 Depth=4
	s_or_b64 exec, exec, s[30:31]
.LBB4_3385:                             ;   in Loop: Header=BB4_2583 Depth=4
	s_or_b64 exec, exec, s[28:29]
	v_cmp_lt_u32_e32 vcc, s57, v12
	s_and_saveexec_b64 s[28:29], vcc
	s_cbranch_execz .LBB4_3391
; %bb.3386:                             ;   in Loop: Header=BB4_2583 Depth=4
	v_lshrrev_b32_e32 v2, 24, v12
	v_cmp_ne_u32_e32 vcc, s70, v2
	v_bfrev_b32_e32 v29, 1
	s_and_saveexec_b64 s[30:31], vcc
	s_cbranch_execz .LBB4_3390
; %bb.3387:                             ;   in Loop: Header=BB4_2583 Depth=4
	v_bfe_u32 v30, v12, 24, 7
	v_cmp_ne_u32_e32 vcc, s68, v30
	v_mov_b32_e32 v29, 0x7f800001
	s_and_saveexec_b64 s[34:35], vcc
	s_cbranch_execz .LBB4_3389
; %bb.3388:                             ;   in Loop: Header=BB4_2583 Depth=4
	v_and_b32_e32 v29, 7, v2
	v_ffbh_u32_e32 v22, v29
	v_lshrrev_b32_e32 v32, 3, v30
	v_cmp_gt_u32_e32 vcc, 8, v30
	v_min_u32_e32 v30, 32, v22
	v_subrev_u32_e32 v22, 28, v30
	v_lshlrev_b64 v[22:23], v22, v[2:3]
	v_sub_u32_e32 v23, 29, v30
	v_and_b32_e32 v22, 7, v22
	v_cndmask_b32_e32 v23, v32, v23, vcc
	v_cndmask_b32_e32 v22, v29, v22, vcc
	v_lshlrev_b32_e32 v2, 24, v2
	v_lshlrev_b32_e32 v22, 20, v22
	v_and_b32_e32 v2, 0x80000000, v2
	v_lshl_add_u32 v23, v23, 23, v5
	v_or3_b32 v29, v2, v23, v22
.LBB4_3389:                             ;   in Loop: Header=BB4_2583 Depth=4
	s_or_b64 exec, exec, s[34:35]
.LBB4_3390:                             ;   in Loop: Header=BB4_2583 Depth=4
	s_or_b64 exec, exec, s[30:31]
.LBB4_3391:                             ;   in Loop: Header=BB4_2583 Depth=4
	s_or_b64 exec, exec, s[28:29]
	v_add_f32_e32 v30, v34, v29
	v_and_b32_e32 v2, 0x7f800000, v30
	v_cmp_ne_u64_e32 vcc, s[62:63], v[2:3]
                                        ; implicit-def: $vgpr34
	s_and_saveexec_b64 s[28:29], vcc
	s_xor_b64 s[30:31], exec, s[28:29]
	s_cbranch_execz .LBB4_3405
; %bb.3392:                             ;   in Loop: Header=BB4_2583 Depth=4
	v_and_b32_e32 v2, 0x7fffffff, v30
	v_cmp_gt_u64_e32 vcc, s[72:73], v[2:3]
	v_and_b32_sdwa v29, v30, s70 dst_sel:DWORD dst_unused:UNUSED_PAD src0_sel:BYTE_3 src1_sel:DWORD
                                        ; implicit-def: $vgpr34
	s_and_saveexec_b64 s[28:29], vcc
	s_xor_b64 s[34:35], exec, s[28:29]
	s_cbranch_execz .LBB4_3402
; %bb.3393:                             ;   in Loop: Header=BB4_2583 Depth=4
	v_mov_b32_e32 v34, 0
	v_cmp_ne_u32_e32 vcc, 0, v30
	s_and_saveexec_b64 s[36:37], vcc
	s_cbranch_execz .LBB4_3401
; %bb.3394:                             ;   in Loop: Header=BB4_2583 Depth=4
	v_and_b32_e32 v2, 0x7fffff, v30
	v_bfe_u32 v30, v30, 23, 8
	v_cmp_gt_u32_e64 s[28:29], s71, v30
	v_sub_u32_e32 v22, 0x79, v30
	v_cmp_eq_u32_e32 vcc, 0, v30
	v_cndmask_b32_e64 v22, 0, v22, s[28:29]
	v_mov_b32_e32 v32, 0x78
	v_cndmask_b32_e32 v34, v22, v32, vcc
	v_or_b32_e32 v23, 0x800000, v2
	v_add_u32_e32 v22, 20, v34
	v_cndmask_b32_e32 v2, v23, v2, vcc
	v_lshlrev_b64 v[22:23], v22, -1
	v_add_u32_e32 v32, 19, v34
	v_lshlrev_b64 v[32:33], v32, 1
	v_lshrrev_b64 v[58:59], v34, v[2:3]
	v_bfi_b32 v23, v23, 0, 0
	v_bfi_b32 v22, v22, 0, v2
	v_cmp_eq_u64_e64 s[28:29], v[22:23], v[32:33]
	v_mov_b32_e32 v60, v59
	v_mov_b32_e32 v59, v58
	s_and_saveexec_b64 s[38:39], s[28:29]
; %bb.3395:                             ;   in Loop: Header=BB4_2583 Depth=4
	v_bfe_u32 v2, v58, 20, 1
	v_add_co_u32_e64 v2, s[28:29], v58, v2
	v_add_co_u32_e64 v59, s[28:29], -1, v2
; %bb.3396:                             ;   in Loop: Header=BB4_2583 Depth=4
	s_or_b64 exec, exec, s[38:39]
	v_add_u32_e32 v2, 0xffffff81, v30
	v_mov_b32_e32 v22, 0xffffff82
	v_cndmask_b32_e32 v2, v2, v22, vcc
	v_lshrrev_b32_e32 v22, 23, v58
	v_add3_u32 v60, v34, v2, v22
	v_add_u32_e32 v34, 6, v60
	v_and_b32_e32 v2, 0xfffff, v59
	v_add_u32_e32 v2, v2, v58
	v_cmp_ne_u32_e32 vcc, 0, v34
                                        ; implicit-def: $vgpr58_vgpr59
                                        ; implicit-def: $vgpr30
	s_and_saveexec_b64 s[28:29], vcc
	s_xor_b64 s[28:29], exec, s[28:29]
; %bb.3397:                             ;   in Loop: Header=BB4_2583 Depth=4
	v_cmp_lt_u64_e32 vcc, s[74:75], v[2:3]
	v_add_u32_e32 v22, 7, v60
	v_cndmask_b32_e32 v30, v34, v22, vcc
	v_cndmask_b32_e64 v22, 0, 1, vcc
	v_lshrrev_b64 v[58:59], v22, v[2:3]
; %bb.3398:                             ;   in Loop: Header=BB4_2583 Depth=4
	s_andn2_saveexec_b64 s[28:29], s[28:29]
; %bb.3399:                             ;   in Loop: Header=BB4_2583 Depth=4
	v_mov_b32_e32 v59, v3
	v_bfe_u32 v30, v2, 23, 1
	v_mov_b32_e32 v58, v2
; %bb.3400:                             ;   in Loop: Header=BB4_2583 Depth=4
	s_or_b64 exec, exec, s[28:29]
	v_lshrrev_b64 v[22:23], 20, v[58:59]
	v_cmp_gt_i32_e32 vcc, 16, v30
	v_cndmask_b32_e32 v23, 0, v23, vcc
	v_cndmask_b32_e32 v22, 7, v22, vcc
	v_min_i32_e32 v2, 15, v30
	v_cmp_eq_u64_e64 s[28:29], 0, v[22:23]
	v_lshlrev_b32_e32 v2, 3, v2
	v_cmp_eq_u32_e32 vcc, 0, v30
	v_and_b32_e32 v2, 0xf8, v2
	v_and_or_b32 v2, v22, 7, v2
	s_and_b64 s[28:29], vcc, s[28:29]
	v_cndmask_b32_e64 v2, v2, 0, s[28:29]
	v_or_b32_e32 v34, v2, v29
.LBB4_3401:                             ;   in Loop: Header=BB4_2583 Depth=4
	s_or_b64 exec, exec, s[36:37]
                                        ; implicit-def: $vgpr29
.LBB4_3402:                             ;   in Loop: Header=BB4_2583 Depth=4
	s_andn2_saveexec_b64 s[28:29], s[34:35]
; %bb.3403:                             ;   in Loop: Header=BB4_2583 Depth=4
	v_or_b32_e32 v34, 0x7e, v29
; %bb.3404:                             ;   in Loop: Header=BB4_2583 Depth=4
	s_or_b64 exec, exec, s[28:29]
                                        ; implicit-def: $vgpr30
.LBB4_3405:                             ;   in Loop: Header=BB4_2583 Depth=4
	s_andn2_saveexec_b64 s[28:29], s[30:31]
; %bb.3406:                             ;   in Loop: Header=BB4_2583 Depth=4
	v_or_b32_sdwa v34, v30, s68 dst_sel:DWORD dst_unused:UNUSED_PAD src0_sel:BYTE_3 src1_sel:DWORD
; %bb.3407:                             ;   in Loop: Header=BB4_2583 Depth=4
	s_or_b64 exec, exec, s[28:29]
	v_lshl_or_b32 v29, v61, 8, v53
	v_lshlrev_b32_e32 v2, 16, v36
	v_lshlrev_b32_e32 v22, 24, v28
	v_or3_b32 v2, v2, v22, v29
	v_cmp_ne_u32_e32 vcc, 0, v53
	v_mov_b32_e32 v30, 0
	v_mov_b32_e32 v28, 0
	s_and_saveexec_b64 s[28:29], vcc
	s_cbranch_execz .LBB4_3413
; %bb.3408:                             ;   in Loop: Header=BB4_2583 Depth=4
	v_cmp_ne_u32_e32 vcc, s70, v53
	v_bfrev_b32_e32 v28, 1
	s_and_saveexec_b64 s[30:31], vcc
	s_cbranch_execz .LBB4_3412
; %bb.3409:                             ;   in Loop: Header=BB4_2583 Depth=4
	v_and_b32_e32 v36, 0x7f, v53
	v_cmp_ne_u32_e32 vcc, s68, v36
	v_mov_b32_e32 v28, 0x7f800001
	s_and_saveexec_b64 s[34:35], vcc
	s_cbranch_execz .LBB4_3411
; %bb.3410:                             ;   in Loop: Header=BB4_2583 Depth=4
	v_and_b32_e32 v22, 7, v53
	v_ffbh_u32_e32 v22, v22
	v_min_u32_e32 v22, 32, v22
	v_lshrrev_b32_e32 v23, 3, v36
	v_cmp_gt_u32_e32 vcc, 8, v36
	v_subrev_u32_e32 v28, 28, v22
	v_sub_u32_e32 v22, 29, v22
	v_cndmask_b32_e32 v32, v23, v22, vcc
	v_cndmask_b32_e32 v22, 0, v28, vcc
	v_lshlrev_b64 v[22:23], v22, v[2:3]
	v_lshlrev_b32_e32 v23, 24, v2
	v_lshlrev_b32_e32 v22, 20, v22
	v_and_b32_e32 v22, 0x700000, v22
	v_and_b32_e32 v23, 0x80000000, v23
	v_lshl_add_u32 v28, v32, 23, v5
	v_or3_b32 v28, v23, v28, v22
.LBB4_3411:                             ;   in Loop: Header=BB4_2583 Depth=4
	s_or_b64 exec, exec, s[34:35]
.LBB4_3412:                             ;   in Loop: Header=BB4_2583 Depth=4
	s_or_b64 exec, exec, s[30:31]
.LBB4_3413:                             ;   in Loop: Header=BB4_2583 Depth=4
	s_or_b64 exec, exec, s[28:29]
	v_cmp_ne_u16_sdwa vcc, v13, v3 src0_sel:BYTE_0 src1_sel:DWORD
	s_and_saveexec_b64 s[28:29], vcc
	s_cbranch_execz .LBB4_3419
; %bb.3414:                             ;   in Loop: Header=BB4_2583 Depth=4
	v_cmp_ne_u16_sdwa vcc, v13, s70 src0_sel:BYTE_0 src1_sel:DWORD
	v_bfrev_b32_e32 v30, 1
	s_and_saveexec_b64 s[30:31], vcc
	s_cbranch_execz .LBB4_3418
; %bb.3415:                             ;   in Loop: Header=BB4_2583 Depth=4
	v_and_b32_e32 v36, 0x7f, v13
	v_cmp_ne_u32_e32 vcc, s68, v36
	v_mov_b32_e32 v30, 0x7f800001
	s_and_saveexec_b64 s[34:35], vcc
	s_cbranch_execz .LBB4_3417
; %bb.3416:                             ;   in Loop: Header=BB4_2583 Depth=4
	v_and_b32_e32 v30, 7, v13
	v_ffbh_u32_e32 v30, v30
	v_min_u32_e32 v30, 32, v30
	v_lshrrev_b32_e32 v32, 3, v36
	v_cmp_gt_u32_e32 vcc, 8, v36
	v_subrev_u32_e32 v33, 28, v30
	v_sub_u32_e32 v30, 29, v30
	v_mov_b32_e32 v22, v13
	v_mov_b32_e32 v23, v3
	v_cndmask_b32_e32 v30, v32, v30, vcc
	v_cndmask_b32_e32 v32, 0, v33, vcc
	v_lshlrev_b64 v[32:33], v32, v[22:23]
	v_lshlrev_b32_e32 v22, 24, v22
	v_lshlrev_b32_e32 v23, 20, v32
	v_and_b32_e32 v23, 0x700000, v23
	v_and_b32_e32 v22, 0x80000000, v22
	v_lshl_add_u32 v30, v30, 23, v5
	v_or3_b32 v30, v22, v30, v23
.LBB4_3417:                             ;   in Loop: Header=BB4_2583 Depth=4
	s_or_b64 exec, exec, s[34:35]
.LBB4_3418:                             ;   in Loop: Header=BB4_2583 Depth=4
	s_or_b64 exec, exec, s[30:31]
.LBB4_3419:                             ;   in Loop: Header=BB4_2583 Depth=4
	s_or_b64 exec, exec, s[28:29]
	v_add_f32_e32 v30, v28, v30
	v_and_b32_e32 v22, 0x7f800000, v30
	v_mov_b32_e32 v23, v3
	v_cmp_ne_u64_e32 vcc, s[62:63], v[22:23]
                                        ; implicit-def: $vgpr53
	s_and_saveexec_b64 s[28:29], vcc
	s_xor_b64 s[30:31], exec, s[28:29]
	s_cbranch_execz .LBB4_3433
; %bb.3420:                             ;   in Loop: Header=BB4_2583 Depth=4
	v_and_b32_e32 v22, 0x7fffffff, v30
	v_mov_b32_e32 v23, v3
	v_cmp_gt_u64_e32 vcc, s[72:73], v[22:23]
	v_and_b32_sdwa v28, v30, s70 dst_sel:DWORD dst_unused:UNUSED_PAD src0_sel:BYTE_3 src1_sel:DWORD
                                        ; implicit-def: $vgpr53
	s_and_saveexec_b64 s[28:29], vcc
	s_xor_b64 s[34:35], exec, s[28:29]
	s_cbranch_execz .LBB4_3430
; %bb.3421:                             ;   in Loop: Header=BB4_2583 Depth=4
	v_mov_b32_e32 v53, 0
	v_cmp_ne_u32_e32 vcc, 0, v30
	s_and_saveexec_b64 s[36:37], vcc
	s_cbranch_execz .LBB4_3429
; %bb.3422:                             ;   in Loop: Header=BB4_2583 Depth=4
	v_and_b32_e32 v22, 0x7fffff, v30
	v_bfe_u32 v30, v30, 23, 8
	v_cmp_gt_u32_e64 s[28:29], s71, v30
	v_sub_u32_e32 v23, 0x79, v30
	v_cmp_eq_u32_e32 vcc, 0, v30
	v_cndmask_b32_e64 v23, 0, v23, s[28:29]
	v_mov_b32_e32 v33, 0x78
	v_or_b32_e32 v32, 0x800000, v22
	v_cndmask_b32_e32 v36, v23, v33, vcc
	v_cndmask_b32_e32 v22, v32, v22, vcc
	v_add_u32_e32 v32, 20, v36
	v_lshlrev_b64 v[32:33], v32, -1
	v_add_u32_e32 v53, 19, v36
	v_lshlrev_b64 v[58:59], v53, 1
	v_mov_b32_e32 v23, v3
	v_bfi_b32 v33, v33, 0, 0
	v_bfi_b32 v32, v32, 0, v22
	v_cmp_eq_u64_e64 s[28:29], v[32:33], v[58:59]
	v_lshrrev_b64 v[58:59], v36, v[22:23]
	v_mov_b32_e32 v60, v59
	v_mov_b32_e32 v59, v58
	s_and_saveexec_b64 s[38:39], s[28:29]
; %bb.3423:                             ;   in Loop: Header=BB4_2583 Depth=4
	v_bfe_u32 v22, v58, 20, 1
	v_add_co_u32_e64 v22, s[28:29], v58, v22
	v_add_co_u32_e64 v59, s[28:29], -1, v22
; %bb.3424:                             ;   in Loop: Header=BB4_2583 Depth=4
	s_or_b64 exec, exec, s[38:39]
	v_add_u32_e32 v22, 0xffffff81, v30
	v_mov_b32_e32 v23, 0xffffff82
	v_cndmask_b32_e32 v22, v22, v23, vcc
	v_lshrrev_b32_e32 v23, 23, v58
	v_add3_u32 v53, v36, v22, v23
	v_add_u32_e32 v36, 6, v53
	v_and_b32_e32 v22, 0xfffff, v59
	v_add_u32_e32 v58, v22, v58
	v_mov_b32_e32 v59, v3
	v_cmp_ne_u32_e32 vcc, 0, v36
                                        ; implicit-def: $vgpr30
	s_and_saveexec_b64 s[28:29], vcc
	s_xor_b64 s[28:29], exec, s[28:29]
; %bb.3425:                             ;   in Loop: Header=BB4_2583 Depth=4
	v_cmp_lt_u64_e32 vcc, s[74:75], v[58:59]
	v_add_u32_e32 v22, 7, v53
	v_cndmask_b32_e32 v30, v36, v22, vcc
	v_cndmask_b32_e64 v22, 0, 1, vcc
	v_lshrrev_b64 v[58:59], v22, v[58:59]
; %bb.3426:                             ;   in Loop: Header=BB4_2583 Depth=4
	s_andn2_saveexec_b64 s[28:29], s[28:29]
; %bb.3427:                             ;   in Loop: Header=BB4_2583 Depth=4
	v_bfe_u32 v30, v58, 23, 1
; %bb.3428:                             ;   in Loop: Header=BB4_2583 Depth=4
	s_or_b64 exec, exec, s[28:29]
	v_lshrrev_b64 v[22:23], 20, v[58:59]
	v_cmp_gt_i32_e32 vcc, 16, v30
	v_cndmask_b32_e32 v23, 0, v23, vcc
	v_cndmask_b32_e32 v22, 7, v22, vcc
	v_cmp_eq_u64_e64 s[28:29], 0, v[22:23]
	v_min_i32_e32 v23, 15, v30
	v_lshlrev_b32_e32 v23, 3, v23
	v_cmp_eq_u32_e32 vcc, 0, v30
	v_and_b32_e32 v23, 0xf8, v23
	v_and_or_b32 v22, v22, 7, v23
	s_and_b64 s[28:29], vcc, s[28:29]
	v_cndmask_b32_e64 v22, v22, 0, s[28:29]
	v_or_b32_e32 v53, v22, v28
.LBB4_3429:                             ;   in Loop: Header=BB4_2583 Depth=4
	s_or_b64 exec, exec, s[36:37]
                                        ; implicit-def: $vgpr28
.LBB4_3430:                             ;   in Loop: Header=BB4_2583 Depth=4
	s_andn2_saveexec_b64 s[28:29], s[34:35]
; %bb.3431:                             ;   in Loop: Header=BB4_2583 Depth=4
	v_or_b32_e32 v53, 0x7e, v28
; %bb.3432:                             ;   in Loop: Header=BB4_2583 Depth=4
	s_or_b64 exec, exec, s[28:29]
                                        ; implicit-def: $vgpr30
.LBB4_3433:                             ;   in Loop: Header=BB4_2583 Depth=4
	s_andn2_saveexec_b64 s[28:29], s[30:31]
; %bb.3434:                             ;   in Loop: Header=BB4_2583 Depth=4
	v_or_b32_sdwa v53, v30, s68 dst_sel:DWORD dst_unused:UNUSED_PAD src0_sel:BYTE_3 src1_sel:DWORD
; %bb.3435:                             ;   in Loop: Header=BB4_2583 Depth=4
	s_or_b64 exec, exec, s[28:29]
	v_lshrrev_b16_e32 v30, 8, v29
	v_cmp_ne_u16_e32 vcc, 0, v30
	v_mov_b32_e32 v28, 0
	v_mov_b32_e32 v36, 0
	s_and_saveexec_b64 s[28:29], vcc
	s_cbranch_execz .LBB4_3441
; %bb.3436:                             ;   in Loop: Header=BB4_2583 Depth=4
	v_cmp_ne_u16_e32 vcc, s70, v30
	v_bfrev_b32_e32 v36, 1
	s_and_saveexec_b64 s[30:31], vcc
	s_cbranch_execz .LBB4_3440
; %bb.3437:                             ;   in Loop: Header=BB4_2583 Depth=4
	v_and_b32_e32 v58, 0x7f, v30
	v_cmp_ne_u32_e32 vcc, s68, v58
	v_mov_b32_e32 v36, 0x7f800001
	s_and_saveexec_b64 s[34:35], vcc
	s_cbranch_execz .LBB4_3439
; %bb.3438:                             ;   in Loop: Header=BB4_2583 Depth=4
	v_and_b32_e32 v32, 7, v30
	v_ffbh_u32_e32 v22, v32
	v_min_u32_e32 v36, 32, v22
	v_subrev_u32_e32 v22, 28, v36
	v_lshlrev_b64 v[22:23], v22, v[30:31]
	v_lshrrev_b32_e32 v33, 3, v58
	v_cmp_gt_u32_e32 vcc, 8, v58
	v_sub_u32_e32 v23, 29, v36
	v_and_b32_e32 v22, 7, v22
	v_cndmask_b32_e32 v23, v33, v23, vcc
	v_cndmask_b32_e32 v22, v32, v22, vcc
	v_lshlrev_b32_e32 v29, 16, v29
	v_lshlrev_b32_e32 v22, 20, v22
	v_and_b32_e32 v29, 0x80000000, v29
	v_lshl_add_u32 v23, v23, 23, v5
	v_or3_b32 v36, v29, v23, v22
.LBB4_3439:                             ;   in Loop: Header=BB4_2583 Depth=4
	s_or_b64 exec, exec, s[34:35]
.LBB4_3440:                             ;   in Loop: Header=BB4_2583 Depth=4
	s_or_b64 exec, exec, s[30:31]
.LBB4_3441:                             ;   in Loop: Header=BB4_2583 Depth=4
	s_or_b64 exec, exec, s[28:29]
	v_lshrrev_b16_e32 v30, 8, v13
	v_cmp_ne_u16_e32 vcc, 0, v30
	s_and_saveexec_b64 s[28:29], vcc
	s_cbranch_execz .LBB4_3447
; %bb.3442:                             ;   in Loop: Header=BB4_2583 Depth=4
	v_cmp_ne_u16_e32 vcc, s70, v30
	v_bfrev_b32_e32 v28, 1
	s_and_saveexec_b64 s[30:31], vcc
	s_cbranch_execz .LBB4_3446
; %bb.3443:                             ;   in Loop: Header=BB4_2583 Depth=4
	v_and_b32_e32 v29, 0x7f, v30
	v_cmp_ne_u32_e32 vcc, s68, v29
	v_mov_b32_e32 v28, 0x7f800001
	s_and_saveexec_b64 s[34:35], vcc
	s_cbranch_execz .LBB4_3445
; %bb.3444:                             ;   in Loop: Header=BB4_2583 Depth=4
	v_and_b32_e32 v28, 7, v30
	v_ffbh_u32_e32 v22, v28
	v_lshrrev_b32_e32 v32, 3, v29
	v_cmp_gt_u32_e32 vcc, 8, v29
	v_min_u32_e32 v29, 32, v22
	v_subrev_u32_e32 v22, 28, v29
	v_lshlrev_b64 v[22:23], v22, v[30:31]
	v_sub_u32_e32 v23, 29, v29
	v_and_b32_e32 v22, 7, v22
	v_cndmask_b32_e32 v23, v32, v23, vcc
	v_cndmask_b32_e32 v22, v28, v22, vcc
	v_lshlrev_b32_e32 v28, 16, v13
	v_lshlrev_b32_e32 v22, 20, v22
	v_and_b32_e32 v28, 0x80000000, v28
	v_lshl_add_u32 v23, v23, 23, v5
	v_or3_b32 v28, v28, v23, v22
.LBB4_3445:                             ;   in Loop: Header=BB4_2583 Depth=4
	s_or_b64 exec, exec, s[34:35]
.LBB4_3446:                             ;   in Loop: Header=BB4_2583 Depth=4
	s_or_b64 exec, exec, s[30:31]
.LBB4_3447:                             ;   in Loop: Header=BB4_2583 Depth=4
	s_or_b64 exec, exec, s[28:29]
	v_add_f32_e32 v29, v36, v28
	v_and_b32_e32 v22, 0x7f800000, v29
	v_mov_b32_e32 v23, v3
	v_cmp_ne_u64_e32 vcc, s[62:63], v[22:23]
                                        ; implicit-def: $vgpr61
	s_and_saveexec_b64 s[28:29], vcc
	s_xor_b64 s[30:31], exec, s[28:29]
	s_cbranch_execz .LBB4_3461
; %bb.3448:                             ;   in Loop: Header=BB4_2583 Depth=4
	v_and_b32_e32 v22, 0x7fffffff, v29
	v_mov_b32_e32 v23, v3
	v_cmp_gt_u64_e32 vcc, s[72:73], v[22:23]
	v_and_b32_sdwa v28, v29, s70 dst_sel:DWORD dst_unused:UNUSED_PAD src0_sel:BYTE_3 src1_sel:DWORD
                                        ; implicit-def: $vgpr61
	s_and_saveexec_b64 s[28:29], vcc
	s_xor_b64 s[34:35], exec, s[28:29]
	s_cbranch_execz .LBB4_3458
; %bb.3449:                             ;   in Loop: Header=BB4_2583 Depth=4
	v_mov_b32_e32 v61, 0
	v_cmp_ne_u32_e32 vcc, 0, v29
	s_and_saveexec_b64 s[36:37], vcc
	s_cbranch_execz .LBB4_3457
; %bb.3450:                             ;   in Loop: Header=BB4_2583 Depth=4
	v_and_b32_e32 v22, 0x7fffff, v29
	v_bfe_u32 v29, v29, 23, 8
	v_cmp_gt_u32_e64 s[28:29], s71, v29
	v_sub_u32_e32 v23, 0x79, v29
	v_cmp_eq_u32_e32 vcc, 0, v29
	v_cndmask_b32_e64 v23, 0, v23, s[28:29]
	v_mov_b32_e32 v30, 0x78
	v_or_b32_e32 v32, 0x800000, v22
	v_cndmask_b32_e32 v30, v23, v30, vcc
	v_cndmask_b32_e32 v22, v32, v22, vcc
	v_add_u32_e32 v32, 20, v30
	v_lshlrev_b64 v[32:33], v32, -1
	v_add_u32_e32 v36, 19, v30
	v_lshlrev_b64 v[58:59], v36, 1
	v_mov_b32_e32 v23, v3
	v_bfi_b32 v33, v33, 0, 0
	v_bfi_b32 v32, v32, 0, v22
	v_cmp_eq_u64_e64 s[28:29], v[32:33], v[58:59]
	v_lshrrev_b64 v[58:59], v30, v[22:23]
	v_mov_b32_e32 v60, v59
	v_mov_b32_e32 v59, v58
	s_and_saveexec_b64 s[38:39], s[28:29]
; %bb.3451:                             ;   in Loop: Header=BB4_2583 Depth=4
	v_bfe_u32 v22, v58, 20, 1
	v_add_co_u32_e64 v22, s[28:29], v58, v22
	v_add_co_u32_e64 v59, s[28:29], -1, v22
; %bb.3452:                             ;   in Loop: Header=BB4_2583 Depth=4
	s_or_b64 exec, exec, s[38:39]
	v_add_u32_e32 v22, 0xffffff81, v29
	v_mov_b32_e32 v23, 0xffffff82
	v_cndmask_b32_e32 v22, v22, v23, vcc
	v_lshrrev_b32_e32 v23, 23, v58
	v_add3_u32 v36, v30, v22, v23
	v_add_u32_e32 v30, 6, v36
	v_and_b32_e32 v22, 0xfffff, v59
	v_add_u32_e32 v58, v22, v58
	v_mov_b32_e32 v59, v3
	v_cmp_ne_u32_e32 vcc, 0, v30
                                        ; implicit-def: $vgpr29
	s_and_saveexec_b64 s[28:29], vcc
	s_xor_b64 s[28:29], exec, s[28:29]
; %bb.3453:                             ;   in Loop: Header=BB4_2583 Depth=4
	v_cmp_lt_u64_e32 vcc, s[74:75], v[58:59]
	v_add_u32_e32 v22, 7, v36
	v_cndmask_b32_e32 v29, v30, v22, vcc
	v_cndmask_b32_e64 v22, 0, 1, vcc
	v_lshrrev_b64 v[58:59], v22, v[58:59]
; %bb.3454:                             ;   in Loop: Header=BB4_2583 Depth=4
	s_andn2_saveexec_b64 s[28:29], s[28:29]
; %bb.3455:                             ;   in Loop: Header=BB4_2583 Depth=4
	v_bfe_u32 v29, v58, 23, 1
; %bb.3456:                             ;   in Loop: Header=BB4_2583 Depth=4
	s_or_b64 exec, exec, s[28:29]
	v_lshrrev_b64 v[22:23], 20, v[58:59]
	v_cmp_gt_i32_e32 vcc, 16, v29
	v_cndmask_b32_e32 v23, 0, v23, vcc
	v_cndmask_b32_e32 v22, 7, v22, vcc
	v_cmp_eq_u64_e64 s[28:29], 0, v[22:23]
	v_min_i32_e32 v23, 15, v29
	v_lshlrev_b32_e32 v23, 3, v23
	v_cmp_eq_u32_e32 vcc, 0, v29
	v_and_b32_e32 v23, 0xf8, v23
	v_and_or_b32 v22, v22, 7, v23
	s_and_b64 s[28:29], vcc, s[28:29]
	v_cndmask_b32_e64 v22, v22, 0, s[28:29]
	v_or_b32_e32 v61, v22, v28
.LBB4_3457:                             ;   in Loop: Header=BB4_2583 Depth=4
	s_or_b64 exec, exec, s[36:37]
                                        ; implicit-def: $vgpr28
.LBB4_3458:                             ;   in Loop: Header=BB4_2583 Depth=4
	s_andn2_saveexec_b64 s[28:29], s[34:35]
; %bb.3459:                             ;   in Loop: Header=BB4_2583 Depth=4
	v_or_b32_e32 v61, 0x7e, v28
; %bb.3460:                             ;   in Loop: Header=BB4_2583 Depth=4
	s_or_b64 exec, exec, s[28:29]
                                        ; implicit-def: $vgpr29
.LBB4_3461:                             ;   in Loop: Header=BB4_2583 Depth=4
	s_andn2_saveexec_b64 s[28:29], s[30:31]
; %bb.3462:                             ;   in Loop: Header=BB4_2583 Depth=4
	v_or_b32_sdwa v61, v29, s68 dst_sel:DWORD dst_unused:UNUSED_PAD src0_sel:BYTE_3 src1_sel:DWORD
; %bb.3463:                             ;   in Loop: Header=BB4_2583 Depth=4
	s_or_b64 exec, exec, s[28:29]
	v_lshrrev_b32_e32 v30, 16, v2
	v_cmp_ne_u16_sdwa vcc, v30, v3 src0_sel:BYTE_0 src1_sel:DWORD
	v_mov_b32_e32 v28, 0
	v_mov_b32_e32 v29, 0
	s_and_saveexec_b64 s[28:29], vcc
	s_cbranch_execz .LBB4_3469
; %bb.3464:                             ;   in Loop: Header=BB4_2583 Depth=4
	v_cmp_ne_u16_sdwa vcc, v30, s70 src0_sel:BYTE_0 src1_sel:DWORD
	v_bfrev_b32_e32 v29, 1
	s_and_saveexec_b64 s[30:31], vcc
	s_cbranch_execz .LBB4_3468
; %bb.3465:                             ;   in Loop: Header=BB4_2583 Depth=4
	v_bfe_u32 v36, v2, 16, 7
	v_cmp_ne_u32_e32 vcc, s68, v36
	v_mov_b32_e32 v29, 0x7f800001
	s_and_saveexec_b64 s[34:35], vcc
	s_cbranch_execz .LBB4_3467
; %bb.3466:                             ;   in Loop: Header=BB4_2583 Depth=4
	v_and_b32_e32 v29, 7, v30
	v_ffbh_u32_e32 v22, v29
	v_min_u32_e32 v33, 32, v22
	v_subrev_u32_e32 v22, 28, v33
	v_lshlrev_b64 v[22:23], v22, v[30:31]
	v_lshrrev_b32_e32 v32, 3, v36
	v_cmp_gt_u32_e32 vcc, 8, v36
	v_sub_u32_e32 v23, 29, v33
	v_and_b32_e32 v22, 7, v22
	v_cndmask_b32_e32 v23, v32, v23, vcc
	v_cndmask_b32_e32 v22, v29, v22, vcc
	v_lshlrev_b32_e32 v29, 24, v30
	v_lshlrev_b32_e32 v22, 20, v22
	v_and_b32_e32 v29, 0x80000000, v29
	v_lshl_add_u32 v23, v23, 23, v5
	v_or3_b32 v29, v29, v23, v22
.LBB4_3467:                             ;   in Loop: Header=BB4_2583 Depth=4
	s_or_b64 exec, exec, s[34:35]
.LBB4_3468:                             ;   in Loop: Header=BB4_2583 Depth=4
	s_or_b64 exec, exec, s[30:31]
.LBB4_3469:                             ;   in Loop: Header=BB4_2583 Depth=4
	s_or_b64 exec, exec, s[28:29]
	v_lshrrev_b32_e32 v30, 16, v13
	v_cmp_ne_u16_sdwa vcc, v30, v3 src0_sel:BYTE_0 src1_sel:DWORD
	s_and_saveexec_b64 s[28:29], vcc
	s_cbranch_execz .LBB4_3475
; %bb.3470:                             ;   in Loop: Header=BB4_2583 Depth=4
	v_cmp_ne_u16_sdwa vcc, v30, s70 src0_sel:BYTE_0 src1_sel:DWORD
	v_bfrev_b32_e32 v28, 1
	s_and_saveexec_b64 s[30:31], vcc
	s_cbranch_execz .LBB4_3474
; %bb.3471:                             ;   in Loop: Header=BB4_2583 Depth=4
	v_bfe_u32 v36, v13, 16, 7
	v_cmp_ne_u32_e32 vcc, s68, v36
	v_mov_b32_e32 v28, 0x7f800001
	s_and_saveexec_b64 s[34:35], vcc
	s_cbranch_execz .LBB4_3473
; %bb.3472:                             ;   in Loop: Header=BB4_2583 Depth=4
	v_and_b32_e32 v28, 7, v30
	v_ffbh_u32_e32 v22, v28
	v_min_u32_e32 v33, 32, v22
	v_subrev_u32_e32 v22, 28, v33
	v_lshlrev_b64 v[22:23], v22, v[30:31]
	v_lshrrev_b32_e32 v32, 3, v36
	v_cmp_gt_u32_e32 vcc, 8, v36
	v_sub_u32_e32 v23, 29, v33
	v_and_b32_e32 v22, 7, v22
	v_cndmask_b32_e32 v23, v32, v23, vcc
	v_cndmask_b32_e32 v22, v28, v22, vcc
	v_lshlrev_b32_e32 v28, 8, v13
	v_lshlrev_b32_e32 v22, 20, v22
	v_and_b32_e32 v28, 0x80000000, v28
	v_lshl_add_u32 v23, v23, 23, v5
	v_or3_b32 v28, v28, v23, v22
.LBB4_3473:                             ;   in Loop: Header=BB4_2583 Depth=4
	s_or_b64 exec, exec, s[34:35]
.LBB4_3474:                             ;   in Loop: Header=BB4_2583 Depth=4
	s_or_b64 exec, exec, s[30:31]
.LBB4_3475:                             ;   in Loop: Header=BB4_2583 Depth=4
	s_or_b64 exec, exec, s[28:29]
	v_add_f32_e32 v29, v29, v28
	v_and_b32_e32 v22, 0x7f800000, v29
	v_mov_b32_e32 v23, v3
	v_cmp_ne_u64_e32 vcc, s[62:63], v[22:23]
                                        ; implicit-def: $vgpr60
	s_and_saveexec_b64 s[28:29], vcc
	s_xor_b64 s[30:31], exec, s[28:29]
	s_cbranch_execz .LBB4_3489
; %bb.3476:                             ;   in Loop: Header=BB4_2583 Depth=4
	v_and_b32_e32 v22, 0x7fffffff, v29
	v_mov_b32_e32 v23, v3
	v_cmp_gt_u64_e32 vcc, s[72:73], v[22:23]
	v_and_b32_sdwa v28, v29, s70 dst_sel:DWORD dst_unused:UNUSED_PAD src0_sel:BYTE_3 src1_sel:DWORD
                                        ; implicit-def: $vgpr60
	s_and_saveexec_b64 s[28:29], vcc
	s_xor_b64 s[34:35], exec, s[28:29]
	s_cbranch_execz .LBB4_3486
; %bb.3477:                             ;   in Loop: Header=BB4_2583 Depth=4
	v_mov_b32_e32 v60, 0
	v_cmp_ne_u32_e32 vcc, 0, v29
	s_and_saveexec_b64 s[36:37], vcc
	s_cbranch_execz .LBB4_3485
; %bb.3478:                             ;   in Loop: Header=BB4_2583 Depth=4
	v_and_b32_e32 v22, 0x7fffff, v29
	v_bfe_u32 v29, v29, 23, 8
	v_cmp_gt_u32_e64 s[28:29], s71, v29
	v_sub_u32_e32 v23, 0x79, v29
	v_cmp_eq_u32_e32 vcc, 0, v29
	v_cndmask_b32_e64 v23, 0, v23, s[28:29]
	v_mov_b32_e32 v30, 0x78
	v_or_b32_e32 v32, 0x800000, v22
	v_cndmask_b32_e32 v30, v23, v30, vcc
	v_cndmask_b32_e32 v22, v32, v22, vcc
	v_add_u32_e32 v32, 20, v30
	v_lshlrev_b64 v[32:33], v32, -1
	v_add_u32_e32 v36, 19, v30
	v_lshlrev_b64 v[58:59], v36, 1
	v_mov_b32_e32 v23, v3
	v_bfi_b32 v33, v33, 0, 0
	v_bfi_b32 v32, v32, 0, v22
	v_cmp_eq_u64_e64 s[28:29], v[32:33], v[58:59]
	v_lshrrev_b64 v[58:59], v30, v[22:23]
	v_mov_b32_e32 v60, v59
	v_mov_b32_e32 v59, v58
	s_and_saveexec_b64 s[38:39], s[28:29]
; %bb.3479:                             ;   in Loop: Header=BB4_2583 Depth=4
	v_bfe_u32 v22, v58, 20, 1
	v_add_co_u32_e64 v22, s[28:29], v58, v22
	v_add_co_u32_e64 v59, s[28:29], -1, v22
; %bb.3480:                             ;   in Loop: Header=BB4_2583 Depth=4
	s_or_b64 exec, exec, s[38:39]
	v_add_u32_e32 v22, 0xffffff81, v29
	v_mov_b32_e32 v23, 0xffffff82
	v_cndmask_b32_e32 v22, v22, v23, vcc
	v_lshrrev_b32_e32 v23, 23, v58
	v_add3_u32 v36, v30, v22, v23
	v_add_u32_e32 v30, 6, v36
	v_and_b32_e32 v22, 0xfffff, v59
	v_add_u32_e32 v58, v22, v58
	v_mov_b32_e32 v59, v3
	v_cmp_ne_u32_e32 vcc, 0, v30
                                        ; implicit-def: $vgpr29
	s_and_saveexec_b64 s[28:29], vcc
	s_xor_b64 s[28:29], exec, s[28:29]
; %bb.3481:                             ;   in Loop: Header=BB4_2583 Depth=4
	v_cmp_lt_u64_e32 vcc, s[74:75], v[58:59]
	v_add_u32_e32 v22, 7, v36
	v_cndmask_b32_e32 v29, v30, v22, vcc
	v_cndmask_b32_e64 v22, 0, 1, vcc
	v_lshrrev_b64 v[58:59], v22, v[58:59]
; %bb.3482:                             ;   in Loop: Header=BB4_2583 Depth=4
	s_andn2_saveexec_b64 s[28:29], s[28:29]
; %bb.3483:                             ;   in Loop: Header=BB4_2583 Depth=4
	v_bfe_u32 v29, v58, 23, 1
; %bb.3484:                             ;   in Loop: Header=BB4_2583 Depth=4
	s_or_b64 exec, exec, s[28:29]
	v_lshrrev_b64 v[22:23], 20, v[58:59]
	v_cmp_gt_i32_e32 vcc, 16, v29
	v_cndmask_b32_e32 v23, 0, v23, vcc
	v_cndmask_b32_e32 v22, 7, v22, vcc
	v_cmp_eq_u64_e64 s[28:29], 0, v[22:23]
	v_min_i32_e32 v23, 15, v29
	v_lshlrev_b32_e32 v23, 3, v23
	v_cmp_eq_u32_e32 vcc, 0, v29
	v_and_b32_e32 v23, 0xf8, v23
	v_and_or_b32 v22, v22, 7, v23
	s_and_b64 s[28:29], vcc, s[28:29]
	v_cndmask_b32_e64 v22, v22, 0, s[28:29]
	v_or_b32_e32 v60, v22, v28
.LBB4_3485:                             ;   in Loop: Header=BB4_2583 Depth=4
	s_or_b64 exec, exec, s[36:37]
                                        ; implicit-def: $vgpr28
.LBB4_3486:                             ;   in Loop: Header=BB4_2583 Depth=4
	s_andn2_saveexec_b64 s[28:29], s[34:35]
; %bb.3487:                             ;   in Loop: Header=BB4_2583 Depth=4
	v_or_b32_e32 v60, 0x7e, v28
; %bb.3488:                             ;   in Loop: Header=BB4_2583 Depth=4
	s_or_b64 exec, exec, s[28:29]
                                        ; implicit-def: $vgpr29
.LBB4_3489:                             ;   in Loop: Header=BB4_2583 Depth=4
	s_andn2_saveexec_b64 s[28:29], s[30:31]
; %bb.3490:                             ;   in Loop: Header=BB4_2583 Depth=4
	v_or_b32_sdwa v60, v29, s68 dst_sel:DWORD dst_unused:UNUSED_PAD src0_sel:BYTE_3 src1_sel:DWORD
; %bb.3491:                             ;   in Loop: Header=BB4_2583 Depth=4
	s_or_b64 exec, exec, s[28:29]
	v_cmp_lt_u32_e32 vcc, s57, v2
	v_mov_b32_e32 v28, 0
	v_mov_b32_e32 v29, 0
	s_and_saveexec_b64 s[28:29], vcc
	s_cbranch_execz .LBB4_3497
; %bb.3492:                             ;   in Loop: Header=BB4_2583 Depth=4
	v_lshrrev_b32_e32 v30, 24, v2
	v_cmp_ne_u32_sdwa vcc, v2, s70 src0_sel:BYTE_3 src1_sel:DWORD
	v_bfrev_b32_e32 v29, 1
	s_and_saveexec_b64 s[30:31], vcc
	s_cbranch_execz .LBB4_3496
; %bb.3493:                             ;   in Loop: Header=BB4_2583 Depth=4
	v_bfe_u32 v36, v2, 24, 7
	v_cmp_ne_u32_e32 vcc, s68, v36
	v_mov_b32_e32 v29, 0x7f800001
	s_and_saveexec_b64 s[34:35], vcc
	s_cbranch_execz .LBB4_3495
; %bb.3494:                             ;   in Loop: Header=BB4_2583 Depth=4
	v_and_b32_e32 v29, 7, v30
	v_ffbh_u32_e32 v22, v29
	v_min_u32_e32 v33, 32, v22
	v_subrev_u32_e32 v22, 28, v33
	v_lshlrev_b64 v[22:23], v22, v[30:31]
	v_cmp_gt_u32_e32 vcc, 8, v36
	v_and_b32_e32 v22, 7, v22
	v_lshrrev_b32_e32 v32, 3, v36
	v_sub_u32_e32 v23, 29, v33
	v_cndmask_b32_e32 v22, v29, v22, vcc
	v_mov_b32_e32 v29, 24
	v_cndmask_b32_e32 v23, v32, v23, vcc
	v_lshlrev_b32_sdwa v2, v29, v2 dst_sel:DWORD dst_unused:UNUSED_PAD src0_sel:DWORD src1_sel:BYTE_3
	v_lshlrev_b32_e32 v22, 20, v22
	v_and_b32_e32 v2, 0x80000000, v2
	v_lshl_add_u32 v23, v23, 23, v5
	v_or3_b32 v29, v2, v23, v22
.LBB4_3495:                             ;   in Loop: Header=BB4_2583 Depth=4
	s_or_b64 exec, exec, s[34:35]
.LBB4_3496:                             ;   in Loop: Header=BB4_2583 Depth=4
	s_or_b64 exec, exec, s[30:31]
.LBB4_3497:                             ;   in Loop: Header=BB4_2583 Depth=4
	s_or_b64 exec, exec, s[28:29]
	v_cmp_lt_u64_e32 vcc, s[56:57], v[12:13]
	s_and_saveexec_b64 s[28:29], vcc
	s_cbranch_execz .LBB4_3503
; %bb.3498:                             ;   in Loop: Header=BB4_2583 Depth=4
	v_lshrrev_b32_e32 v2, 24, v13
	v_cmp_ne_u32_e32 vcc, s70, v2
	v_bfrev_b32_e32 v28, 1
	s_and_saveexec_b64 s[30:31], vcc
	s_cbranch_execz .LBB4_3502
; %bb.3499:                             ;   in Loop: Header=BB4_2583 Depth=4
	v_bfe_u32 v12, v13, 24, 7
	v_cmp_ne_u32_e32 vcc, s68, v12
	v_mov_b32_e32 v28, 0x7f800001
	s_and_saveexec_b64 s[34:35], vcc
	s_cbranch_execz .LBB4_3501
; %bb.3500:                             ;   in Loop: Header=BB4_2583 Depth=4
	v_and_b32_e32 v22, 7, v2
	v_lshrrev_b32_e32 v23, 3, v12
	v_cmp_gt_u32_e32 vcc, 8, v12
	v_ffbh_u32_e32 v12, v22
	v_min_u32_e32 v28, 32, v12
	v_subrev_u32_e32 v12, 28, v28
	v_lshlrev_b64 v[12:13], v12, v[2:3]
	v_sub_u32_e32 v13, 29, v28
	v_and_b32_e32 v12, 7, v12
	v_cndmask_b32_e32 v13, v23, v13, vcc
	v_cndmask_b32_e32 v12, v22, v12, vcc
	v_lshlrev_b32_e32 v2, 24, v2
	v_lshlrev_b32_e32 v12, 20, v12
	v_and_b32_e32 v2, 0x80000000, v2
	v_lshl_add_u32 v13, v13, 23, v5
	v_or3_b32 v28, v2, v13, v12
.LBB4_3501:                             ;   in Loop: Header=BB4_2583 Depth=4
	s_or_b64 exec, exec, s[34:35]
.LBB4_3502:                             ;   in Loop: Header=BB4_2583 Depth=4
	s_or_b64 exec, exec, s[30:31]
.LBB4_3503:                             ;   in Loop: Header=BB4_2583 Depth=4
	s_or_b64 exec, exec, s[28:29]
	v_add_f32_e32 v12, v29, v28
	v_and_b32_e32 v2, 0x7f800000, v12
	v_cmp_ne_u64_e32 vcc, s[62:63], v[2:3]
                                        ; implicit-def: $vgpr30
	s_and_saveexec_b64 s[28:29], vcc
	s_xor_b64 s[30:31], exec, s[28:29]
	s_cbranch_execz .LBB4_3517
; %bb.3504:                             ;   in Loop: Header=BB4_2583 Depth=4
	v_and_b32_e32 v2, 0x7fffffff, v12
	v_cmp_gt_u64_e32 vcc, s[72:73], v[2:3]
	v_and_b32_sdwa v28, v12, s70 dst_sel:DWORD dst_unused:UNUSED_PAD src0_sel:BYTE_3 src1_sel:DWORD
                                        ; implicit-def: $vgpr30
	s_and_saveexec_b64 s[28:29], vcc
	s_xor_b64 s[34:35], exec, s[28:29]
	s_cbranch_execz .LBB4_3514
; %bb.3505:                             ;   in Loop: Header=BB4_2583 Depth=4
	v_mov_b32_e32 v30, 0
	v_cmp_ne_u32_e32 vcc, 0, v12
	s_and_saveexec_b64 s[36:37], vcc
	s_cbranch_execz .LBB4_3513
; %bb.3506:                             ;   in Loop: Header=BB4_2583 Depth=4
	v_bfe_u32 v29, v12, 23, 8
	v_and_b32_e32 v2, 0x7fffff, v12
	v_cmp_gt_u32_e64 s[28:29], s71, v29
	v_sub_u32_e32 v12, 0x79, v29
	v_cmp_eq_u32_e32 vcc, 0, v29
	v_cndmask_b32_e64 v12, 0, v12, s[28:29]
	v_mov_b32_e32 v22, 0x78
	v_cndmask_b32_e32 v30, v12, v22, vcc
	v_or_b32_e32 v13, 0x800000, v2
	v_add_u32_e32 v12, 20, v30
	v_cndmask_b32_e32 v2, v13, v2, vcc
	v_lshlrev_b64 v[12:13], v12, -1
	v_add_u32_e32 v22, 19, v30
	v_lshlrev_b64 v[22:23], v22, 1
	v_bfi_b32 v13, v13, 0, 0
	v_bfi_b32 v12, v12, 0, v2
	v_cmp_eq_u64_e64 s[28:29], v[12:13], v[22:23]
	v_lshrrev_b64 v[12:13], v30, v[2:3]
	v_mov_b32_e32 v59, v13
	v_mov_b32_e32 v58, v12
	s_and_saveexec_b64 s[38:39], s[28:29]
; %bb.3507:                             ;   in Loop: Header=BB4_2583 Depth=4
	v_bfe_u32 v2, v12, 20, 1
	v_add_co_u32_e64 v2, s[28:29], v12, v2
	v_add_co_u32_e64 v58, s[28:29], -1, v2
; %bb.3508:                             ;   in Loop: Header=BB4_2583 Depth=4
	s_or_b64 exec, exec, s[38:39]
	v_add_u32_e32 v2, 0xffffff81, v29
	v_mov_b32_e32 v13, 0xffffff82
	v_cndmask_b32_e32 v2, v2, v13, vcc
	v_lshrrev_b32_e32 v13, 23, v12
	v_add3_u32 v36, v30, v2, v13
	v_add_u32_e32 v30, 6, v36
	v_and_b32_e32 v2, 0xfffff, v58
	v_add_u32_e32 v2, v2, v12
	v_cmp_ne_u32_e32 vcc, 0, v30
                                        ; implicit-def: $vgpr12_vgpr13
                                        ; implicit-def: $vgpr29
	s_and_saveexec_b64 s[28:29], vcc
	s_xor_b64 s[28:29], exec, s[28:29]
; %bb.3509:                             ;   in Loop: Header=BB4_2583 Depth=4
	v_cmp_lt_u64_e32 vcc, s[74:75], v[2:3]
	v_add_u32_e32 v12, 7, v36
	v_cndmask_b32_e32 v29, v30, v12, vcc
	v_cndmask_b32_e64 v12, 0, 1, vcc
	v_lshrrev_b64 v[12:13], v12, v[2:3]
; %bb.3510:                             ;   in Loop: Header=BB4_2583 Depth=4
	s_andn2_saveexec_b64 s[28:29], s[28:29]
; %bb.3511:                             ;   in Loop: Header=BB4_2583 Depth=4
	v_mov_b32_e32 v13, v3
	v_bfe_u32 v29, v2, 23, 1
	v_mov_b32_e32 v12, v2
; %bb.3512:                             ;   in Loop: Header=BB4_2583 Depth=4
	s_or_b64 exec, exec, s[28:29]
	v_lshrrev_b64 v[12:13], 20, v[12:13]
	v_cmp_gt_i32_e32 vcc, 16, v29
	v_cndmask_b32_e32 v13, 0, v13, vcc
	v_cndmask_b32_e32 v12, 7, v12, vcc
	v_min_i32_e32 v2, 15, v29
	v_cmp_eq_u64_e64 s[28:29], 0, v[12:13]
	v_lshlrev_b32_e32 v2, 3, v2
	v_cmp_eq_u32_e32 vcc, 0, v29
	v_and_b32_e32 v2, 0xf8, v2
	v_and_or_b32 v2, v12, 7, v2
	s_and_b64 s[28:29], vcc, s[28:29]
	v_cndmask_b32_e64 v2, v2, 0, s[28:29]
	v_or_b32_e32 v30, v2, v28
.LBB4_3513:                             ;   in Loop: Header=BB4_2583 Depth=4
	s_or_b64 exec, exec, s[36:37]
                                        ; implicit-def: $vgpr28
.LBB4_3514:                             ;   in Loop: Header=BB4_2583 Depth=4
	s_andn2_saveexec_b64 s[28:29], s[34:35]
; %bb.3515:                             ;   in Loop: Header=BB4_2583 Depth=4
	v_or_b32_e32 v30, 0x7e, v28
; %bb.3516:                             ;   in Loop: Header=BB4_2583 Depth=4
	s_or_b64 exec, exec, s[28:29]
                                        ; implicit-def: $vgpr12
.LBB4_3517:                             ;   in Loop: Header=BB4_2583 Depth=4
	s_andn2_saveexec_b64 s[28:29], s[30:31]
; %bb.3518:                             ;   in Loop: Header=BB4_2583 Depth=4
	v_or_b32_sdwa v30, v12, s68 dst_sel:DWORD dst_unused:UNUSED_PAD src0_sel:BYTE_3 src1_sel:DWORD
; %bb.3519:                             ;   in Loop: Header=BB4_2583 Depth=4
	s_or_b64 exec, exec, s[28:29]
	v_lshl_or_b32 v28, v42, 8, v21
	v_lshlrev_b32_e32 v2, 16, v48
	v_lshlrev_b32_e32 v12, 24, v37
	v_or3_b32 v2, v2, v12, v28
	v_cmp_ne_u32_e32 vcc, 0, v21
	v_mov_b32_e32 v12, 0
	v_mov_b32_e32 v13, 0
	s_and_saveexec_b64 s[28:29], vcc
	s_cbranch_execz .LBB4_3525
; %bb.3520:                             ;   in Loop: Header=BB4_2583 Depth=4
	v_cmp_ne_u32_e32 vcc, s70, v21
	v_bfrev_b32_e32 v13, 1
	s_and_saveexec_b64 s[30:31], vcc
	s_cbranch_execz .LBB4_3524
; %bb.3521:                             ;   in Loop: Header=BB4_2583 Depth=4
	v_and_b32_e32 v29, 0x7f, v21
	v_cmp_ne_u32_e32 vcc, s68, v29
	v_mov_b32_e32 v13, 0x7f800001
	s_and_saveexec_b64 s[34:35], vcc
	s_cbranch_execz .LBB4_3523
; %bb.3522:                             ;   in Loop: Header=BB4_2583 Depth=4
	v_and_b32_e32 v13, 7, v21
	v_ffbh_u32_e32 v13, v13
	v_min_u32_e32 v13, 32, v13
	v_lshrrev_b32_e32 v21, 3, v29
	v_cmp_gt_u32_e32 vcc, 8, v29
	v_subrev_u32_e32 v22, 28, v13
	v_sub_u32_e32 v13, 29, v13
	v_cndmask_b32_e32 v13, v21, v13, vcc
	v_cndmask_b32_e32 v21, 0, v22, vcc
	v_lshlrev_b64 v[21:22], v21, v[2:3]
	v_lshlrev_b32_e32 v22, 24, v2
	v_lshlrev_b32_e32 v21, 20, v21
	v_and_b32_e32 v21, 0x700000, v21
	v_and_b32_e32 v22, 0x80000000, v22
	v_lshl_add_u32 v13, v13, 23, v5
	v_or3_b32 v13, v22, v13, v21
.LBB4_3523:                             ;   in Loop: Header=BB4_2583 Depth=4
	s_or_b64 exec, exec, s[34:35]
.LBB4_3524:                             ;   in Loop: Header=BB4_2583 Depth=4
	s_or_b64 exec, exec, s[30:31]
.LBB4_3525:                             ;   in Loop: Header=BB4_2583 Depth=4
	s_or_b64 exec, exec, s[28:29]
	v_cmp_ne_u16_sdwa vcc, v14, v3 src0_sel:BYTE_0 src1_sel:DWORD
	s_and_saveexec_b64 s[28:29], vcc
	s_cbranch_execz .LBB4_3531
; %bb.3526:                             ;   in Loop: Header=BB4_2583 Depth=4
	v_cmp_ne_u16_sdwa vcc, v14, s70 src0_sel:BYTE_0 src1_sel:DWORD
	v_bfrev_b32_e32 v12, 1
	s_and_saveexec_b64 s[30:31], vcc
	s_cbranch_execz .LBB4_3530
; %bb.3527:                             ;   in Loop: Header=BB4_2583 Depth=4
	v_and_b32_e32 v21, 0x7f, v14
	v_cmp_ne_u32_e32 vcc, s68, v21
	v_mov_b32_e32 v12, 0x7f800001
	s_and_saveexec_b64 s[34:35], vcc
	s_cbranch_execz .LBB4_3529
; %bb.3528:                             ;   in Loop: Header=BB4_2583 Depth=4
	v_and_b32_e32 v12, 7, v14
	v_ffbh_u32_e32 v12, v12
	v_min_u32_e32 v12, 32, v12
	v_lshrrev_b32_e32 v22, 3, v21
	v_cmp_gt_u32_e32 vcc, 8, v21
	v_subrev_u32_e32 v21, 28, v12
	v_sub_u32_e32 v12, 29, v12
	v_cndmask_b32_e32 v21, 0, v21, vcc
	v_cndmask_b32_e32 v12, v22, v12, vcc
	v_lshlrev_b64 v[21:22], v21, v[14:15]
	v_lshlrev_b32_e32 v22, 24, v14
	v_lshlrev_b32_e32 v21, 20, v21
	v_and_b32_e32 v21, 0x700000, v21
	v_and_b32_e32 v22, 0x80000000, v22
	v_lshl_add_u32 v12, v12, 23, v5
	v_or3_b32 v12, v22, v12, v21
.LBB4_3529:                             ;   in Loop: Header=BB4_2583 Depth=4
	s_or_b64 exec, exec, s[34:35]
.LBB4_3530:                             ;   in Loop: Header=BB4_2583 Depth=4
	s_or_b64 exec, exec, s[30:31]
.LBB4_3531:                             ;   in Loop: Header=BB4_2583 Depth=4
	s_or_b64 exec, exec, s[28:29]
	v_add_f32_e32 v12, v13, v12
	v_and_b32_e32 v21, 0x7f800000, v12
	v_mov_b32_e32 v22, v3
	v_cmp_ne_u64_e32 vcc, s[62:63], v[21:22]
                                        ; implicit-def: $vgpr21
	s_and_saveexec_b64 s[28:29], vcc
	s_xor_b64 s[30:31], exec, s[28:29]
	s_cbranch_execz .LBB4_3545
; %bb.3532:                             ;   in Loop: Header=BB4_2583 Depth=4
	v_and_b32_e32 v21, 0x7fffffff, v12
	v_mov_b32_e32 v22, v3
	v_cmp_gt_u64_e32 vcc, s[72:73], v[21:22]
	v_and_b32_sdwa v29, v12, s70 dst_sel:DWORD dst_unused:UNUSED_PAD src0_sel:BYTE_3 src1_sel:DWORD
                                        ; implicit-def: $vgpr21
	s_and_saveexec_b64 s[28:29], vcc
	s_xor_b64 s[34:35], exec, s[28:29]
	s_cbranch_execz .LBB4_3542
; %bb.3533:                             ;   in Loop: Header=BB4_2583 Depth=4
	v_mov_b32_e32 v21, 0
	v_cmp_ne_u32_e32 vcc, 0, v12
	s_and_saveexec_b64 s[36:37], vcc
	s_cbranch_execz .LBB4_3541
; %bb.3534:                             ;   in Loop: Header=BB4_2583 Depth=4
	v_bfe_u32 v21, v12, 23, 8
	v_and_b32_e32 v13, 0x7fffff, v12
	v_cmp_gt_u32_e64 s[28:29], s71, v21
	v_sub_u32_e32 v12, 0x79, v21
	v_cmp_eq_u32_e32 vcc, 0, v21
	v_cndmask_b32_e64 v12, 0, v12, s[28:29]
	v_mov_b32_e32 v23, 0x78
	v_or_b32_e32 v22, 0x800000, v13
	v_cndmask_b32_e32 v36, v12, v23, vcc
	v_cndmask_b32_e32 v12, v22, v13, vcc
	v_add_u32_e32 v22, 20, v36
	v_lshlrev_b64 v[22:23], v22, -1
	v_mov_b32_e32 v13, v3
	v_add_u32_e32 v32, 19, v36
	v_bfi_b32 v22, v22, 0, v12
	v_lshlrev_b64 v[32:33], v32, 1
	v_lshrrev_b64 v[12:13], v36, v[12:13]
	v_bfi_b32 v23, v23, 0, 0
	v_cmp_eq_u64_e64 s[28:29], v[22:23], v[32:33]
	v_mov_b32_e32 v59, v13
	v_mov_b32_e32 v58, v12
	s_and_saveexec_b64 s[38:39], s[28:29]
; %bb.3535:                             ;   in Loop: Header=BB4_2583 Depth=4
	v_bfe_u32 v13, v12, 20, 1
	v_add_co_u32_e64 v13, s[28:29], v12, v13
	v_add_co_u32_e64 v58, s[28:29], -1, v13
; %bb.3536:                             ;   in Loop: Header=BB4_2583 Depth=4
	s_or_b64 exec, exec, s[38:39]
	v_add_u32_e32 v13, 0xffffff81, v21
	v_mov_b32_e32 v21, 0xffffff82
	v_cndmask_b32_e32 v13, v13, v21, vcc
	v_lshrrev_b32_e32 v21, 23, v12
	v_add3_u32 v37, v36, v13, v21
	v_add_u32_e32 v36, 6, v37
	v_and_b32_e32 v13, 0xfffff, v58
	v_add_u32_e32 v12, v13, v12
	v_mov_b32_e32 v13, v3
	v_cmp_ne_u32_e32 vcc, 0, v36
                                        ; implicit-def: $vgpr21
	s_and_saveexec_b64 s[28:29], vcc
	s_xor_b64 s[28:29], exec, s[28:29]
; %bb.3537:                             ;   in Loop: Header=BB4_2583 Depth=4
	v_cmp_lt_u64_e32 vcc, s[74:75], v[12:13]
	v_add_u32_e32 v21, 7, v37
	v_cndmask_b32_e64 v22, 0, 1, vcc
	v_cndmask_b32_e32 v21, v36, v21, vcc
	v_lshrrev_b64 v[12:13], v22, v[12:13]
; %bb.3538:                             ;   in Loop: Header=BB4_2583 Depth=4
	s_andn2_saveexec_b64 s[28:29], s[28:29]
; %bb.3539:                             ;   in Loop: Header=BB4_2583 Depth=4
	v_bfe_u32 v21, v12, 23, 1
; %bb.3540:                             ;   in Loop: Header=BB4_2583 Depth=4
	s_or_b64 exec, exec, s[28:29]
	v_lshrrev_b64 v[12:13], 20, v[12:13]
	v_cmp_gt_i32_e32 vcc, 16, v21
	v_cndmask_b32_e32 v13, 0, v13, vcc
	v_cndmask_b32_e32 v12, 7, v12, vcc
	v_cmp_eq_u64_e64 s[28:29], 0, v[12:13]
	v_min_i32_e32 v13, 15, v21
	v_lshlrev_b32_e32 v13, 3, v13
	v_cmp_eq_u32_e32 vcc, 0, v21
	v_and_b32_e32 v13, 0xf8, v13
	v_and_or_b32 v12, v12, 7, v13
	s_and_b64 s[28:29], vcc, s[28:29]
	v_cndmask_b32_e64 v12, v12, 0, s[28:29]
	v_or_b32_e32 v21, v12, v29
.LBB4_3541:                             ;   in Loop: Header=BB4_2583 Depth=4
	s_or_b64 exec, exec, s[36:37]
                                        ; implicit-def: $vgpr29
.LBB4_3542:                             ;   in Loop: Header=BB4_2583 Depth=4
	s_andn2_saveexec_b64 s[28:29], s[34:35]
; %bb.3543:                             ;   in Loop: Header=BB4_2583 Depth=4
	v_or_b32_e32 v21, 0x7e, v29
; %bb.3544:                             ;   in Loop: Header=BB4_2583 Depth=4
	s_or_b64 exec, exec, s[28:29]
                                        ; implicit-def: $vgpr12
.LBB4_3545:                             ;   in Loop: Header=BB4_2583 Depth=4
	s_andn2_saveexec_b64 s[28:29], s[30:31]
; %bb.3546:                             ;   in Loop: Header=BB4_2583 Depth=4
	v_or_b32_sdwa v21, v12, s68 dst_sel:DWORD dst_unused:UNUSED_PAD src0_sel:BYTE_3 src1_sel:DWORD
; %bb.3547:                             ;   in Loop: Header=BB4_2583 Depth=4
	s_or_b64 exec, exec, s[28:29]
	v_lshrrev_b16_e32 v12, 8, v28
	v_cmp_ne_u16_e32 vcc, 0, v12
	v_mov_b32_e32 v13, 0
	v_mov_b32_e32 v29, 0
	s_and_saveexec_b64 s[28:29], vcc
	s_cbranch_execz .LBB4_3553
; %bb.3548:                             ;   in Loop: Header=BB4_2583 Depth=4
	v_cmp_ne_u16_e32 vcc, s70, v12
	v_bfrev_b32_e32 v29, 1
	s_and_saveexec_b64 s[30:31], vcc
	s_cbranch_execz .LBB4_3552
; %bb.3549:                             ;   in Loop: Header=BB4_2583 Depth=4
	v_and_b32_e32 v36, 0x7f, v12
	v_cmp_ne_u32_e32 vcc, s68, v36
	v_mov_b32_e32 v29, 0x7f800001
	s_and_saveexec_b64 s[34:35], vcc
	s_cbranch_execz .LBB4_3551
; %bb.3550:                             ;   in Loop: Header=BB4_2583 Depth=4
	v_and_b32_e32 v29, 7, v12
	v_ffbh_u32_e32 v22, v29
	v_min_u32_e32 v33, 32, v22
	v_subrev_u32_e32 v22, 28, v33
	v_lshlrev_b64 v[22:23], v22, v[12:13]
	v_lshrrev_b32_e32 v32, 3, v36
	v_cmp_gt_u32_e32 vcc, 8, v36
	v_sub_u32_e32 v12, 29, v33
	v_and_b32_e32 v22, 7, v22
	v_cndmask_b32_e32 v12, v32, v12, vcc
	v_cndmask_b32_e32 v22, v29, v22, vcc
	v_lshlrev_b32_e32 v23, 16, v28
	v_lshlrev_b32_e32 v22, 20, v22
	v_and_b32_e32 v23, 0x80000000, v23
	v_lshl_add_u32 v12, v12, 23, v5
	v_or3_b32 v29, v23, v12, v22
.LBB4_3551:                             ;   in Loop: Header=BB4_2583 Depth=4
	s_or_b64 exec, exec, s[34:35]
.LBB4_3552:                             ;   in Loop: Header=BB4_2583 Depth=4
	s_or_b64 exec, exec, s[30:31]
.LBB4_3553:                             ;   in Loop: Header=BB4_2583 Depth=4
	s_or_b64 exec, exec, s[28:29]
	v_lshrrev_b16_e32 v12, 8, v14
	v_cmp_ne_u16_e32 vcc, 0, v12
	s_and_saveexec_b64 s[28:29], vcc
	s_cbranch_execz .LBB4_3559
; %bb.3554:                             ;   in Loop: Header=BB4_2583 Depth=4
	v_cmp_ne_u16_e32 vcc, s70, v12
	v_bfrev_b32_e32 v13, 1
	s_and_saveexec_b64 s[30:31], vcc
	s_cbranch_execz .LBB4_3558
; %bb.3555:                             ;   in Loop: Header=BB4_2583 Depth=4
	v_and_b32_e32 v28, 0x7f, v12
	v_cmp_ne_u32_e32 vcc, s68, v28
	v_mov_b32_e32 v13, 0x7f800001
	s_and_saveexec_b64 s[34:35], vcc
	s_cbranch_execz .LBB4_3557
; %bb.3556:                             ;   in Loop: Header=BB4_2583 Depth=4
	v_and_b32_e32 v22, 7, v12
	v_ffbh_u32_e32 v13, v22
	v_lshrrev_b32_e32 v23, 3, v28
	v_cmp_gt_u32_e32 vcc, 8, v28
	v_min_u32_e32 v28, 32, v13
	v_subrev_u32_e32 v13, 28, v28
	v_lshlrev_b64 v[12:13], v13, v[12:13]
	v_sub_u32_e32 v13, 29, v28
	v_and_b32_e32 v12, 7, v12
	v_cndmask_b32_e32 v13, v23, v13, vcc
	v_cndmask_b32_e32 v12, v22, v12, vcc
	v_lshlrev_b32_e32 v22, 16, v14
	v_lshlrev_b32_e32 v12, 20, v12
	v_and_b32_e32 v22, 0x80000000, v22
	v_lshl_add_u32 v13, v13, 23, v5
	v_or3_b32 v13, v22, v13, v12
.LBB4_3557:                             ;   in Loop: Header=BB4_2583 Depth=4
	s_or_b64 exec, exec, s[34:35]
.LBB4_3558:                             ;   in Loop: Header=BB4_2583 Depth=4
	s_or_b64 exec, exec, s[30:31]
.LBB4_3559:                             ;   in Loop: Header=BB4_2583 Depth=4
	s_or_b64 exec, exec, s[28:29]
	v_add_f32_e32 v12, v29, v13
	v_and_b32_e32 v22, 0x7f800000, v12
	v_mov_b32_e32 v23, v3
	v_cmp_ne_u64_e32 vcc, s[62:63], v[22:23]
                                        ; implicit-def: $vgpr28
	s_and_saveexec_b64 s[28:29], vcc
	s_xor_b64 s[30:31], exec, s[28:29]
	s_cbranch_execz .LBB4_3573
; %bb.3560:                             ;   in Loop: Header=BB4_2583 Depth=4
	v_and_b32_e32 v22, 0x7fffffff, v12
	v_mov_b32_e32 v23, v3
	v_cmp_gt_u64_e32 vcc, s[72:73], v[22:23]
	v_and_b32_sdwa v29, v12, s70 dst_sel:DWORD dst_unused:UNUSED_PAD src0_sel:BYTE_3 src1_sel:DWORD
                                        ; implicit-def: $vgpr28
	s_and_saveexec_b64 s[28:29], vcc
	s_xor_b64 s[34:35], exec, s[28:29]
	s_cbranch_execz .LBB4_3570
; %bb.3561:                             ;   in Loop: Header=BB4_2583 Depth=4
	v_mov_b32_e32 v28, 0
	v_cmp_ne_u32_e32 vcc, 0, v12
	s_and_saveexec_b64 s[36:37], vcc
	s_cbranch_execz .LBB4_3569
; %bb.3562:                             ;   in Loop: Header=BB4_2583 Depth=4
	v_bfe_u32 v28, v12, 23, 8
	v_and_b32_e32 v13, 0x7fffff, v12
	v_cmp_gt_u32_e64 s[28:29], s71, v28
	v_sub_u32_e32 v12, 0x79, v28
	v_cmp_eq_u32_e32 vcc, 0, v28
	v_cndmask_b32_e64 v12, 0, v12, s[28:29]
	v_mov_b32_e32 v23, 0x78
	v_or_b32_e32 v22, 0x800000, v13
	v_cndmask_b32_e32 v36, v12, v23, vcc
	v_cndmask_b32_e32 v12, v22, v13, vcc
	v_add_u32_e32 v22, 20, v36
	v_lshlrev_b64 v[22:23], v22, -1
	v_mov_b32_e32 v13, v3
	v_add_u32_e32 v32, 19, v36
	v_bfi_b32 v22, v22, 0, v12
	v_lshlrev_b64 v[32:33], v32, 1
	v_lshrrev_b64 v[12:13], v36, v[12:13]
	v_bfi_b32 v23, v23, 0, 0
	v_cmp_eq_u64_e64 s[28:29], v[22:23], v[32:33]
	v_mov_b32_e32 v59, v13
	v_mov_b32_e32 v58, v12
	s_and_saveexec_b64 s[38:39], s[28:29]
; %bb.3563:                             ;   in Loop: Header=BB4_2583 Depth=4
	v_bfe_u32 v13, v12, 20, 1
	v_add_co_u32_e64 v13, s[28:29], v12, v13
	v_add_co_u32_e64 v58, s[28:29], -1, v13
; %bb.3564:                             ;   in Loop: Header=BB4_2583 Depth=4
	s_or_b64 exec, exec, s[38:39]
	v_add_u32_e32 v13, 0xffffff81, v28
	v_mov_b32_e32 v22, 0xffffff82
	v_cndmask_b32_e32 v13, v13, v22, vcc
	v_lshrrev_b32_e32 v22, 23, v12
	v_add3_u32 v37, v36, v13, v22
	v_add_u32_e32 v36, 6, v37
	v_and_b32_e32 v13, 0xfffff, v58
	v_add_u32_e32 v12, v13, v12
	v_mov_b32_e32 v13, v3
	v_cmp_ne_u32_e32 vcc, 0, v36
                                        ; implicit-def: $vgpr28
	s_and_saveexec_b64 s[28:29], vcc
	s_xor_b64 s[28:29], exec, s[28:29]
; %bb.3565:                             ;   in Loop: Header=BB4_2583 Depth=4
	v_cmp_lt_u64_e32 vcc, s[74:75], v[12:13]
	v_add_u32_e32 v22, 7, v37
	v_cndmask_b32_e32 v28, v36, v22, vcc
	v_cndmask_b32_e64 v22, 0, 1, vcc
	v_lshrrev_b64 v[12:13], v22, v[12:13]
; %bb.3566:                             ;   in Loop: Header=BB4_2583 Depth=4
	s_andn2_saveexec_b64 s[28:29], s[28:29]
; %bb.3567:                             ;   in Loop: Header=BB4_2583 Depth=4
	v_bfe_u32 v28, v12, 23, 1
; %bb.3568:                             ;   in Loop: Header=BB4_2583 Depth=4
	s_or_b64 exec, exec, s[28:29]
	v_lshrrev_b64 v[12:13], 20, v[12:13]
	v_cmp_gt_i32_e32 vcc, 16, v28
	v_cndmask_b32_e32 v13, 0, v13, vcc
	v_cndmask_b32_e32 v12, 7, v12, vcc
	v_cmp_eq_u64_e64 s[28:29], 0, v[12:13]
	v_min_i32_e32 v13, 15, v28
	v_lshlrev_b32_e32 v13, 3, v13
	v_cmp_eq_u32_e32 vcc, 0, v28
	v_and_b32_e32 v13, 0xf8, v13
	v_and_or_b32 v12, v12, 7, v13
	s_and_b64 s[28:29], vcc, s[28:29]
	v_cndmask_b32_e64 v12, v12, 0, s[28:29]
	v_or_b32_e32 v28, v12, v29
.LBB4_3569:                             ;   in Loop: Header=BB4_2583 Depth=4
	s_or_b64 exec, exec, s[36:37]
                                        ; implicit-def: $vgpr29
.LBB4_3570:                             ;   in Loop: Header=BB4_2583 Depth=4
	s_andn2_saveexec_b64 s[28:29], s[34:35]
; %bb.3571:                             ;   in Loop: Header=BB4_2583 Depth=4
	v_or_b32_e32 v28, 0x7e, v29
; %bb.3572:                             ;   in Loop: Header=BB4_2583 Depth=4
	s_or_b64 exec, exec, s[28:29]
                                        ; implicit-def: $vgpr12
.LBB4_3573:                             ;   in Loop: Header=BB4_2583 Depth=4
	s_andn2_saveexec_b64 s[28:29], s[30:31]
; %bb.3574:                             ;   in Loop: Header=BB4_2583 Depth=4
	v_or_b32_sdwa v28, v12, s68 dst_sel:DWORD dst_unused:UNUSED_PAD src0_sel:BYTE_3 src1_sel:DWORD
; %bb.3575:                             ;   in Loop: Header=BB4_2583 Depth=4
	s_or_b64 exec, exec, s[28:29]
	v_lshrrev_b32_e32 v12, 16, v2
	v_cmp_ne_u16_sdwa vcc, v12, v3 src0_sel:BYTE_0 src1_sel:DWORD
	v_mov_b32_e32 v13, 0
	v_mov_b32_e32 v29, 0
	s_and_saveexec_b64 s[28:29], vcc
	s_cbranch_execz .LBB4_3581
; %bb.3576:                             ;   in Loop: Header=BB4_2583 Depth=4
	v_cmp_ne_u16_sdwa vcc, v12, s70 src0_sel:BYTE_0 src1_sel:DWORD
	v_bfrev_b32_e32 v29, 1
	s_and_saveexec_b64 s[30:31], vcc
	s_cbranch_execz .LBB4_3580
; %bb.3577:                             ;   in Loop: Header=BB4_2583 Depth=4
	v_bfe_u32 v36, v2, 16, 7
	v_cmp_ne_u32_e32 vcc, s68, v36
	v_mov_b32_e32 v29, 0x7f800001
	s_and_saveexec_b64 s[34:35], vcc
	s_cbranch_execz .LBB4_3579
; %bb.3578:                             ;   in Loop: Header=BB4_2583 Depth=4
	v_and_b32_e32 v29, 7, v12
	v_ffbh_u32_e32 v22, v29
	v_min_u32_e32 v33, 32, v22
	v_subrev_u32_e32 v22, 28, v33
	v_lshlrev_b64 v[22:23], v22, v[12:13]
	v_lshrrev_b32_e32 v32, 3, v36
	v_cmp_gt_u32_e32 vcc, 8, v36
	v_sub_u32_e32 v23, 29, v33
	v_and_b32_e32 v22, 7, v22
	v_cndmask_b32_e32 v23, v32, v23, vcc
	v_cndmask_b32_e32 v22, v29, v22, vcc
	v_lshlrev_b32_e32 v12, 24, v12
	v_lshlrev_b32_e32 v22, 20, v22
	v_and_b32_e32 v12, 0x80000000, v12
	v_lshl_add_u32 v23, v23, 23, v5
	v_or3_b32 v29, v12, v23, v22
.LBB4_3579:                             ;   in Loop: Header=BB4_2583 Depth=4
	s_or_b64 exec, exec, s[34:35]
.LBB4_3580:                             ;   in Loop: Header=BB4_2583 Depth=4
	s_or_b64 exec, exec, s[30:31]
.LBB4_3581:                             ;   in Loop: Header=BB4_2583 Depth=4
	s_or_b64 exec, exec, s[28:29]
	v_lshrrev_b32_e32 v12, 16, v14
	v_cmp_ne_u16_sdwa vcc, v12, v3 src0_sel:BYTE_0 src1_sel:DWORD
	s_and_saveexec_b64 s[28:29], vcc
	s_cbranch_execz .LBB4_3587
; %bb.3582:                             ;   in Loop: Header=BB4_2583 Depth=4
	v_cmp_ne_u16_sdwa vcc, v12, s70 src0_sel:BYTE_0 src1_sel:DWORD
	v_bfrev_b32_e32 v13, 1
	s_and_saveexec_b64 s[30:31], vcc
	s_cbranch_execz .LBB4_3586
; %bb.3583:                             ;   in Loop: Header=BB4_2583 Depth=4
	v_bfe_u32 v36, v14, 16, 7
	v_cmp_ne_u32_e32 vcc, s68, v36
	v_mov_b32_e32 v13, 0x7f800001
	s_and_saveexec_b64 s[34:35], vcc
	s_cbranch_execz .LBB4_3585
; %bb.3584:                             ;   in Loop: Header=BB4_2583 Depth=4
	v_and_b32_e32 v22, 7, v12
	v_ffbh_u32_e32 v13, v22
	v_min_u32_e32 v32, 32, v13
	v_subrev_u32_e32 v13, 28, v32
	v_lshlrev_b64 v[12:13], v13, v[12:13]
	v_lshrrev_b32_e32 v23, 3, v36
	v_cmp_gt_u32_e32 vcc, 8, v36
	v_sub_u32_e32 v13, 29, v32
	v_and_b32_e32 v12, 7, v12
	v_cndmask_b32_e32 v13, v23, v13, vcc
	v_cndmask_b32_e32 v12, v22, v12, vcc
	v_lshlrev_b32_e32 v22, 8, v14
	v_lshlrev_b32_e32 v12, 20, v12
	v_and_b32_e32 v22, 0x80000000, v22
	v_lshl_add_u32 v13, v13, 23, v5
	v_or3_b32 v13, v22, v13, v12
.LBB4_3585:                             ;   in Loop: Header=BB4_2583 Depth=4
	s_or_b64 exec, exec, s[34:35]
.LBB4_3586:                             ;   in Loop: Header=BB4_2583 Depth=4
	s_or_b64 exec, exec, s[30:31]
.LBB4_3587:                             ;   in Loop: Header=BB4_2583 Depth=4
	s_or_b64 exec, exec, s[28:29]
	v_add_f32_e32 v12, v29, v13
	v_and_b32_e32 v22, 0x7f800000, v12
	v_mov_b32_e32 v23, v3
	v_cmp_ne_u64_e32 vcc, s[62:63], v[22:23]
                                        ; implicit-def: $vgpr29
	s_and_saveexec_b64 s[28:29], vcc
	s_xor_b64 s[30:31], exec, s[28:29]
	s_cbranch_execz .LBB4_3601
; %bb.3588:                             ;   in Loop: Header=BB4_2583 Depth=4
	v_and_b32_e32 v22, 0x7fffffff, v12
	v_mov_b32_e32 v23, v3
	v_cmp_gt_u64_e32 vcc, s[72:73], v[22:23]
	v_and_b32_sdwa v36, v12, s70 dst_sel:DWORD dst_unused:UNUSED_PAD src0_sel:BYTE_3 src1_sel:DWORD
                                        ; implicit-def: $vgpr29
	s_and_saveexec_b64 s[28:29], vcc
	s_xor_b64 s[34:35], exec, s[28:29]
	s_cbranch_execz .LBB4_3598
; %bb.3589:                             ;   in Loop: Header=BB4_2583 Depth=4
	v_mov_b32_e32 v29, 0
	v_cmp_ne_u32_e32 vcc, 0, v12
	s_and_saveexec_b64 s[36:37], vcc
	s_cbranch_execz .LBB4_3597
; %bb.3590:                             ;   in Loop: Header=BB4_2583 Depth=4
	v_bfe_u32 v29, v12, 23, 8
	v_and_b32_e32 v13, 0x7fffff, v12
	v_cmp_gt_u32_e64 s[28:29], s71, v29
	v_sub_u32_e32 v12, 0x79, v29
	v_cmp_eq_u32_e32 vcc, 0, v29
	v_cndmask_b32_e64 v12, 0, v12, s[28:29]
	v_mov_b32_e32 v23, 0x78
	v_or_b32_e32 v22, 0x800000, v13
	v_cndmask_b32_e32 v37, v12, v23, vcc
	v_cndmask_b32_e32 v12, v22, v13, vcc
	v_add_u32_e32 v22, 20, v37
	v_lshlrev_b64 v[22:23], v22, -1
	v_mov_b32_e32 v13, v3
	v_add_u32_e32 v32, 19, v37
	v_bfi_b32 v22, v22, 0, v12
	v_lshlrev_b64 v[32:33], v32, 1
	v_lshrrev_b64 v[12:13], v37, v[12:13]
	v_bfi_b32 v23, v23, 0, 0
	v_cmp_eq_u64_e64 s[28:29], v[22:23], v[32:33]
	v_mov_b32_e32 v59, v13
	v_mov_b32_e32 v58, v12
	s_and_saveexec_b64 s[38:39], s[28:29]
; %bb.3591:                             ;   in Loop: Header=BB4_2583 Depth=4
	v_bfe_u32 v13, v12, 20, 1
	v_add_co_u32_e64 v13, s[28:29], v12, v13
	v_add_co_u32_e64 v58, s[28:29], -1, v13
; %bb.3592:                             ;   in Loop: Header=BB4_2583 Depth=4
	s_or_b64 exec, exec, s[38:39]
	v_add_u32_e32 v13, 0xffffff81, v29
	v_mov_b32_e32 v22, 0xffffff82
	v_cndmask_b32_e32 v13, v13, v22, vcc
	v_lshrrev_b32_e32 v22, 23, v12
	v_add3_u32 v48, v37, v13, v22
	v_add_u32_e32 v37, 6, v48
	v_and_b32_e32 v13, 0xfffff, v58
	v_add_u32_e32 v12, v13, v12
	v_mov_b32_e32 v13, v3
	v_cmp_ne_u32_e32 vcc, 0, v37
                                        ; implicit-def: $vgpr29
	s_and_saveexec_b64 s[28:29], vcc
	s_xor_b64 s[28:29], exec, s[28:29]
; %bb.3593:                             ;   in Loop: Header=BB4_2583 Depth=4
	v_cmp_lt_u64_e32 vcc, s[74:75], v[12:13]
	v_add_u32_e32 v22, 7, v48
	v_cndmask_b32_e32 v29, v37, v22, vcc
	v_cndmask_b32_e64 v22, 0, 1, vcc
	v_lshrrev_b64 v[12:13], v22, v[12:13]
; %bb.3594:                             ;   in Loop: Header=BB4_2583 Depth=4
	s_andn2_saveexec_b64 s[28:29], s[28:29]
; %bb.3595:                             ;   in Loop: Header=BB4_2583 Depth=4
	v_bfe_u32 v29, v12, 23, 1
; %bb.3596:                             ;   in Loop: Header=BB4_2583 Depth=4
	s_or_b64 exec, exec, s[28:29]
	v_lshrrev_b64 v[12:13], 20, v[12:13]
	v_cmp_gt_i32_e32 vcc, 16, v29
	v_cndmask_b32_e32 v13, 0, v13, vcc
	v_cndmask_b32_e32 v12, 7, v12, vcc
	v_cmp_eq_u64_e64 s[28:29], 0, v[12:13]
	v_min_i32_e32 v13, 15, v29
	v_lshlrev_b32_e32 v13, 3, v13
	v_cmp_eq_u32_e32 vcc, 0, v29
	v_and_b32_e32 v13, 0xf8, v13
	v_and_or_b32 v12, v12, 7, v13
	s_and_b64 s[28:29], vcc, s[28:29]
	v_cndmask_b32_e64 v12, v12, 0, s[28:29]
	v_or_b32_e32 v29, v12, v36
.LBB4_3597:                             ;   in Loop: Header=BB4_2583 Depth=4
	s_or_b64 exec, exec, s[36:37]
                                        ; implicit-def: $vgpr36
.LBB4_3598:                             ;   in Loop: Header=BB4_2583 Depth=4
	s_andn2_saveexec_b64 s[28:29], s[34:35]
; %bb.3599:                             ;   in Loop: Header=BB4_2583 Depth=4
	v_or_b32_e32 v29, 0x7e, v36
; %bb.3600:                             ;   in Loop: Header=BB4_2583 Depth=4
	s_or_b64 exec, exec, s[28:29]
                                        ; implicit-def: $vgpr12
.LBB4_3601:                             ;   in Loop: Header=BB4_2583 Depth=4
	s_andn2_saveexec_b64 s[28:29], s[30:31]
; %bb.3602:                             ;   in Loop: Header=BB4_2583 Depth=4
	v_or_b32_sdwa v29, v12, s68 dst_sel:DWORD dst_unused:UNUSED_PAD src0_sel:BYTE_3 src1_sel:DWORD
; %bb.3603:                             ;   in Loop: Header=BB4_2583 Depth=4
	s_or_b64 exec, exec, s[28:29]
	v_cmp_lt_u32_e32 vcc, s57, v2
	v_mov_b32_e32 v13, 0
	v_mov_b32_e32 v36, 0
	s_and_saveexec_b64 s[28:29], vcc
	s_cbranch_execz .LBB4_3609
; %bb.3604:                             ;   in Loop: Header=BB4_2583 Depth=4
	v_lshrrev_b32_e32 v12, 24, v2
	v_cmp_ne_u32_sdwa vcc, v2, s70 src0_sel:BYTE_3 src1_sel:DWORD
	v_bfrev_b32_e32 v36, 1
	s_and_saveexec_b64 s[30:31], vcc
	s_cbranch_execz .LBB4_3608
; %bb.3605:                             ;   in Loop: Header=BB4_2583 Depth=4
	v_bfe_u32 v37, v2, 24, 7
	v_cmp_ne_u32_e32 vcc, s68, v37
	v_mov_b32_e32 v36, 0x7f800001
	s_and_saveexec_b64 s[34:35], vcc
	s_cbranch_execz .LBB4_3607
; %bb.3606:                             ;   in Loop: Header=BB4_2583 Depth=4
	v_and_b32_e32 v32, 7, v12
	v_ffbh_u32_e32 v22, v32
	v_min_u32_e32 v36, 32, v22
	v_subrev_u32_e32 v22, 28, v36
	v_lshlrev_b64 v[22:23], v22, v[12:13]
	v_lshrrev_b32_e32 v33, 3, v37
	v_cmp_gt_u32_e32 vcc, 8, v37
	v_sub_u32_e32 v12, 29, v36
	v_and_b32_e32 v22, 7, v22
	v_mov_b32_e32 v23, 24
	v_cndmask_b32_e32 v12, v33, v12, vcc
	v_cndmask_b32_e32 v22, v32, v22, vcc
	v_lshlrev_b32_sdwa v2, v23, v2 dst_sel:DWORD dst_unused:UNUSED_PAD src0_sel:DWORD src1_sel:BYTE_3
	v_lshlrev_b32_e32 v22, 20, v22
	v_and_b32_e32 v2, 0x80000000, v2
	v_lshl_add_u32 v12, v12, 23, v5
	v_or3_b32 v36, v2, v12, v22
.LBB4_3607:                             ;   in Loop: Header=BB4_2583 Depth=4
	s_or_b64 exec, exec, s[34:35]
.LBB4_3608:                             ;   in Loop: Header=BB4_2583 Depth=4
	s_or_b64 exec, exec, s[30:31]
.LBB4_3609:                             ;   in Loop: Header=BB4_2583 Depth=4
	s_or_b64 exec, exec, s[28:29]
	v_cmp_lt_u32_e32 vcc, s57, v14
	s_and_saveexec_b64 s[28:29], vcc
	s_cbranch_execz .LBB4_3615
; %bb.3610:                             ;   in Loop: Header=BB4_2583 Depth=4
	v_lshrrev_b32_e32 v2, 24, v14
	v_cmp_ne_u32_e32 vcc, s70, v2
	v_bfrev_b32_e32 v13, 1
	s_and_saveexec_b64 s[30:31], vcc
	s_cbranch_execz .LBB4_3614
; %bb.3611:                             ;   in Loop: Header=BB4_2583 Depth=4
	v_bfe_u32 v12, v14, 24, 7
	v_cmp_ne_u32_e32 vcc, s68, v12
	v_mov_b32_e32 v13, 0x7f800001
	s_and_saveexec_b64 s[34:35], vcc
	s_cbranch_execz .LBB4_3613
; %bb.3612:                             ;   in Loop: Header=BB4_2583 Depth=4
	v_and_b32_e32 v22, 7, v2
	v_lshrrev_b32_e32 v23, 3, v12
	v_cmp_gt_u32_e32 vcc, 8, v12
	v_ffbh_u32_e32 v12, v22
	v_min_u32_e32 v32, 32, v12
	v_subrev_u32_e32 v12, 28, v32
	v_lshlrev_b64 v[12:13], v12, v[2:3]
	v_sub_u32_e32 v13, 29, v32
	v_and_b32_e32 v12, 7, v12
	v_cndmask_b32_e32 v13, v23, v13, vcc
	v_cndmask_b32_e32 v12, v22, v12, vcc
	v_lshlrev_b32_e32 v2, 24, v2
	v_lshlrev_b32_e32 v12, 20, v12
	v_and_b32_e32 v2, 0x80000000, v2
	v_lshl_add_u32 v13, v13, 23, v5
	v_or3_b32 v13, v2, v13, v12
.LBB4_3613:                             ;   in Loop: Header=BB4_2583 Depth=4
	s_or_b64 exec, exec, s[34:35]
.LBB4_3614:                             ;   in Loop: Header=BB4_2583 Depth=4
	s_or_b64 exec, exec, s[30:31]
.LBB4_3615:                             ;   in Loop: Header=BB4_2583 Depth=4
	s_or_b64 exec, exec, s[28:29]
	v_add_f32_e32 v12, v36, v13
	v_and_b32_e32 v2, 0x7f800000, v12
	v_cmp_ne_u64_e32 vcc, s[62:63], v[2:3]
                                        ; implicit-def: $vgpr36
	s_and_saveexec_b64 s[28:29], vcc
	s_xor_b64 s[30:31], exec, s[28:29]
	s_cbranch_execz .LBB4_3629
; %bb.3616:                             ;   in Loop: Header=BB4_2583 Depth=4
	v_and_b32_e32 v2, 0x7fffffff, v12
	v_cmp_gt_u64_e32 vcc, s[72:73], v[2:3]
	v_and_b32_sdwa v37, v12, s70 dst_sel:DWORD dst_unused:UNUSED_PAD src0_sel:BYTE_3 src1_sel:DWORD
                                        ; implicit-def: $vgpr36
	s_and_saveexec_b64 s[28:29], vcc
	s_xor_b64 s[34:35], exec, s[28:29]
	s_cbranch_execz .LBB4_3626
; %bb.3617:                             ;   in Loop: Header=BB4_2583 Depth=4
	v_mov_b32_e32 v36, 0
	v_cmp_ne_u32_e32 vcc, 0, v12
	s_and_saveexec_b64 s[36:37], vcc
	s_cbranch_execz .LBB4_3625
; %bb.3618:                             ;   in Loop: Header=BB4_2583 Depth=4
	v_bfe_u32 v36, v12, 23, 8
	v_and_b32_e32 v2, 0x7fffff, v12
	v_cmp_gt_u32_e64 s[28:29], s71, v36
	v_sub_u32_e32 v12, 0x79, v36
	v_cmp_eq_u32_e32 vcc, 0, v36
	v_cndmask_b32_e64 v12, 0, v12, s[28:29]
	v_mov_b32_e32 v22, 0x78
	v_cndmask_b32_e32 v48, v12, v22, vcc
	v_or_b32_e32 v13, 0x800000, v2
	v_add_u32_e32 v12, 20, v48
	v_cndmask_b32_e32 v2, v13, v2, vcc
	v_lshlrev_b64 v[12:13], v12, -1
	v_add_u32_e32 v22, 19, v48
	v_lshlrev_b64 v[22:23], v22, 1
	v_bfi_b32 v13, v13, 0, 0
	v_bfi_b32 v12, v12, 0, v2
	v_cmp_eq_u64_e64 s[28:29], v[12:13], v[22:23]
	v_lshrrev_b64 v[12:13], v48, v[2:3]
	v_mov_b32_e32 v59, v13
	v_mov_b32_e32 v58, v12
	s_and_saveexec_b64 s[38:39], s[28:29]
; %bb.3619:                             ;   in Loop: Header=BB4_2583 Depth=4
	v_bfe_u32 v2, v12, 20, 1
	v_add_co_u32_e64 v2, s[28:29], v12, v2
	v_add_co_u32_e64 v58, s[28:29], -1, v2
; %bb.3620:                             ;   in Loop: Header=BB4_2583 Depth=4
	s_or_b64 exec, exec, s[38:39]
	v_add_u32_e32 v2, 0xffffff81, v36
	v_mov_b32_e32 v13, 0xffffff82
	v_cndmask_b32_e32 v2, v2, v13, vcc
	v_lshrrev_b32_e32 v13, 23, v12
	v_add3_u32 v42, v48, v2, v13
	v_add_u32_e32 v48, 6, v42
	v_and_b32_e32 v2, 0xfffff, v58
	v_add_u32_e32 v2, v2, v12
	v_cmp_ne_u32_e32 vcc, 0, v48
                                        ; implicit-def: $vgpr12_vgpr13
                                        ; implicit-def: $vgpr36
	s_and_saveexec_b64 s[28:29], vcc
	s_xor_b64 s[28:29], exec, s[28:29]
; %bb.3621:                             ;   in Loop: Header=BB4_2583 Depth=4
	v_cmp_lt_u64_e32 vcc, s[74:75], v[2:3]
	v_add_u32_e32 v12, 7, v42
	v_cndmask_b32_e32 v36, v48, v12, vcc
	v_cndmask_b32_e64 v12, 0, 1, vcc
	v_lshrrev_b64 v[12:13], v12, v[2:3]
; %bb.3622:                             ;   in Loop: Header=BB4_2583 Depth=4
	s_andn2_saveexec_b64 s[28:29], s[28:29]
; %bb.3623:                             ;   in Loop: Header=BB4_2583 Depth=4
	v_mov_b32_e32 v13, v3
	v_bfe_u32 v36, v2, 23, 1
	v_mov_b32_e32 v12, v2
; %bb.3624:                             ;   in Loop: Header=BB4_2583 Depth=4
	s_or_b64 exec, exec, s[28:29]
	v_lshrrev_b64 v[12:13], 20, v[12:13]
	v_cmp_gt_i32_e32 vcc, 16, v36
	v_cndmask_b32_e32 v13, 0, v13, vcc
	v_cndmask_b32_e32 v12, 7, v12, vcc
	v_min_i32_e32 v2, 15, v36
	v_cmp_eq_u64_e64 s[28:29], 0, v[12:13]
	v_lshlrev_b32_e32 v2, 3, v2
	v_cmp_eq_u32_e32 vcc, 0, v36
	v_and_b32_e32 v2, 0xf8, v2
	v_and_or_b32 v2, v12, 7, v2
	s_and_b64 s[28:29], vcc, s[28:29]
	v_cndmask_b32_e64 v2, v2, 0, s[28:29]
	v_or_b32_e32 v36, v2, v37
.LBB4_3625:                             ;   in Loop: Header=BB4_2583 Depth=4
	s_or_b64 exec, exec, s[36:37]
                                        ; implicit-def: $vgpr37
.LBB4_3626:                             ;   in Loop: Header=BB4_2583 Depth=4
	s_andn2_saveexec_b64 s[28:29], s[34:35]
; %bb.3627:                             ;   in Loop: Header=BB4_2583 Depth=4
	v_or_b32_e32 v36, 0x7e, v37
; %bb.3628:                             ;   in Loop: Header=BB4_2583 Depth=4
	s_or_b64 exec, exec, s[28:29]
                                        ; implicit-def: $vgpr12
.LBB4_3629:                             ;   in Loop: Header=BB4_2583 Depth=4
	s_andn2_saveexec_b64 s[28:29], s[30:31]
; %bb.3630:                             ;   in Loop: Header=BB4_2583 Depth=4
	v_or_b32_sdwa v36, v12, s68 dst_sel:DWORD dst_unused:UNUSED_PAD src0_sel:BYTE_3 src1_sel:DWORD
; %bb.3631:                             ;   in Loop: Header=BB4_2583 Depth=4
	s_or_b64 exec, exec, s[28:29]
	v_lshlrev_b32_e32 v2, 24, v49
	v_lshlrev_b32_e32 v12, 16, v43
	v_lshl_or_b32 v48, v40, 8, v54
	v_or3_b32 v2, v12, v2, v48
	v_cmp_ne_u32_e32 vcc, 0, v54
	v_mov_b32_e32 v13, 0
	v_mov_b32_e32 v12, 0
	s_and_saveexec_b64 s[28:29], vcc
	s_cbranch_execz .LBB4_3637
; %bb.3632:                             ;   in Loop: Header=BB4_2583 Depth=4
	v_cmp_ne_u32_e32 vcc, s70, v54
	v_bfrev_b32_e32 v12, 1
	s_and_saveexec_b64 s[30:31], vcc
	s_cbranch_execz .LBB4_3636
; %bb.3633:                             ;   in Loop: Header=BB4_2583 Depth=4
	v_and_b32_e32 v37, 0x7f, v54
	v_cmp_ne_u32_e32 vcc, s68, v37
	v_mov_b32_e32 v12, 0x7f800001
	s_and_saveexec_b64 s[34:35], vcc
	s_cbranch_execz .LBB4_3635
; %bb.3634:                             ;   in Loop: Header=BB4_2583 Depth=4
	v_and_b32_e32 v12, 7, v54
	v_ffbh_u32_e32 v12, v12
	v_min_u32_e32 v12, 32, v12
	v_lshrrev_b32_e32 v22, 3, v37
	v_cmp_gt_u32_e32 vcc, 8, v37
	v_subrev_u32_e32 v23, 28, v12
	v_sub_u32_e32 v12, 29, v12
	v_cndmask_b32_e32 v12, v22, v12, vcc
	v_cndmask_b32_e32 v22, 0, v23, vcc
	v_lshlrev_b64 v[22:23], v22, v[2:3]
	v_lshlrev_b32_e32 v23, 24, v2
	v_lshlrev_b32_e32 v22, 20, v22
	v_and_b32_e32 v22, 0x700000, v22
	v_and_b32_e32 v23, 0x80000000, v23
	v_lshl_add_u32 v12, v12, 23, v5
	v_or3_b32 v12, v23, v12, v22
.LBB4_3635:                             ;   in Loop: Header=BB4_2583 Depth=4
	s_or_b64 exec, exec, s[34:35]
.LBB4_3636:                             ;   in Loop: Header=BB4_2583 Depth=4
	s_or_b64 exec, exec, s[30:31]
.LBB4_3637:                             ;   in Loop: Header=BB4_2583 Depth=4
	s_or_b64 exec, exec, s[28:29]
	v_cmp_ne_u16_sdwa vcc, v15, v3 src0_sel:BYTE_0 src1_sel:DWORD
	s_and_saveexec_b64 s[28:29], vcc
	s_cbranch_execz .LBB4_3643
; %bb.3638:                             ;   in Loop: Header=BB4_2583 Depth=4
	v_cmp_ne_u16_sdwa vcc, v15, s70 src0_sel:BYTE_0 src1_sel:DWORD
	v_bfrev_b32_e32 v13, 1
	s_and_saveexec_b64 s[30:31], vcc
	s_cbranch_execz .LBB4_3642
; %bb.3639:                             ;   in Loop: Header=BB4_2583 Depth=4
	v_and_b32_e32 v37, 0x7f, v15
	v_cmp_ne_u32_e32 vcc, s68, v37
	v_mov_b32_e32 v13, 0x7f800001
	s_and_saveexec_b64 s[34:35], vcc
	s_cbranch_execz .LBB4_3641
; %bb.3640:                             ;   in Loop: Header=BB4_2583 Depth=4
	v_and_b32_e32 v13, 7, v15
	v_ffbh_u32_e32 v13, v13
	v_min_u32_e32 v13, 32, v13
	v_lshrrev_b32_e32 v32, 3, v37
	v_cmp_gt_u32_e32 vcc, 8, v37
	v_subrev_u32_e32 v33, 28, v13
	v_sub_u32_e32 v13, 29, v13
	v_mov_b32_e32 v22, v15
	v_mov_b32_e32 v23, v3
	v_cndmask_b32_e32 v13, v32, v13, vcc
	v_cndmask_b32_e32 v32, 0, v33, vcc
	v_lshlrev_b64 v[32:33], v32, v[22:23]
	v_lshlrev_b32_e32 v22, 24, v22
	v_lshlrev_b32_e32 v23, 20, v32
	v_and_b32_e32 v23, 0x700000, v23
	v_and_b32_e32 v22, 0x80000000, v22
	v_lshl_add_u32 v13, v13, 23, v5
	v_or3_b32 v13, v22, v13, v23
.LBB4_3641:                             ;   in Loop: Header=BB4_2583 Depth=4
	s_or_b64 exec, exec, s[34:35]
.LBB4_3642:                             ;   in Loop: Header=BB4_2583 Depth=4
	s_or_b64 exec, exec, s[30:31]
.LBB4_3643:                             ;   in Loop: Header=BB4_2583 Depth=4
	s_or_b64 exec, exec, s[28:29]
	v_add_f32_e32 v12, v12, v13
	v_and_b32_e32 v22, 0x7f800000, v12
	v_mov_b32_e32 v23, v3
	v_cmp_ne_u64_e32 vcc, s[62:63], v[22:23]
                                        ; implicit-def: $vgpr37
	s_and_saveexec_b64 s[28:29], vcc
	s_xor_b64 s[30:31], exec, s[28:29]
	s_cbranch_execz .LBB4_3657
; %bb.3644:                             ;   in Loop: Header=BB4_2583 Depth=4
	v_and_b32_e32 v22, 0x7fffffff, v12
	v_mov_b32_e32 v23, v3
	v_cmp_gt_u64_e32 vcc, s[72:73], v[22:23]
	v_and_b32_sdwa v49, v12, s70 dst_sel:DWORD dst_unused:UNUSED_PAD src0_sel:BYTE_3 src1_sel:DWORD
                                        ; implicit-def: $vgpr37
	s_and_saveexec_b64 s[28:29], vcc
	s_xor_b64 s[34:35], exec, s[28:29]
	s_cbranch_execz .LBB4_3654
; %bb.3645:                             ;   in Loop: Header=BB4_2583 Depth=4
	v_mov_b32_e32 v37, 0
	v_cmp_ne_u32_e32 vcc, 0, v12
	s_and_saveexec_b64 s[36:37], vcc
	s_cbranch_execz .LBB4_3653
; %bb.3646:                             ;   in Loop: Header=BB4_2583 Depth=4
	v_bfe_u32 v37, v12, 23, 8
	v_and_b32_e32 v13, 0x7fffff, v12
	v_cmp_gt_u32_e64 s[28:29], s71, v37
	v_sub_u32_e32 v12, 0x79, v37
	v_cmp_eq_u32_e32 vcc, 0, v37
	v_cndmask_b32_e64 v12, 0, v12, s[28:29]
	v_mov_b32_e32 v23, 0x78
	v_or_b32_e32 v22, 0x800000, v13
	v_cndmask_b32_e32 v54, v12, v23, vcc
	v_cndmask_b32_e32 v12, v22, v13, vcc
	v_add_u32_e32 v22, 20, v54
	v_lshlrev_b64 v[22:23], v22, -1
	v_mov_b32_e32 v13, v3
	v_add_u32_e32 v32, 19, v54
	v_bfi_b32 v22, v22, 0, v12
	v_lshlrev_b64 v[32:33], v32, 1
	v_lshrrev_b64 v[12:13], v54, v[12:13]
	v_bfi_b32 v23, v23, 0, 0
	v_cmp_eq_u64_e64 s[28:29], v[22:23], v[32:33]
	v_mov_b32_e32 v59, v13
	v_mov_b32_e32 v58, v12
	s_and_saveexec_b64 s[38:39], s[28:29]
; %bb.3647:                             ;   in Loop: Header=BB4_2583 Depth=4
	v_bfe_u32 v13, v12, 20, 1
	v_add_co_u32_e64 v13, s[28:29], v12, v13
	v_add_co_u32_e64 v58, s[28:29], -1, v13
; %bb.3648:                             ;   in Loop: Header=BB4_2583 Depth=4
	s_or_b64 exec, exec, s[38:39]
	v_add_u32_e32 v13, 0xffffff81, v37
	v_mov_b32_e32 v22, 0xffffff82
	v_cndmask_b32_e32 v13, v13, v22, vcc
	v_lshrrev_b32_e32 v22, 23, v12
	v_add3_u32 v40, v54, v13, v22
	v_add_u32_e32 v54, 6, v40
	v_and_b32_e32 v13, 0xfffff, v58
	v_add_u32_e32 v12, v13, v12
	v_mov_b32_e32 v13, v3
	v_cmp_ne_u32_e32 vcc, 0, v54
                                        ; implicit-def: $vgpr37
	s_and_saveexec_b64 s[28:29], vcc
	s_xor_b64 s[28:29], exec, s[28:29]
; %bb.3649:                             ;   in Loop: Header=BB4_2583 Depth=4
	v_cmp_lt_u64_e32 vcc, s[74:75], v[12:13]
	v_add_u32_e32 v22, 7, v40
	v_cndmask_b32_e32 v37, v54, v22, vcc
	v_cndmask_b32_e64 v22, 0, 1, vcc
	v_lshrrev_b64 v[12:13], v22, v[12:13]
; %bb.3650:                             ;   in Loop: Header=BB4_2583 Depth=4
	s_andn2_saveexec_b64 s[28:29], s[28:29]
; %bb.3651:                             ;   in Loop: Header=BB4_2583 Depth=4
	v_bfe_u32 v37, v12, 23, 1
; %bb.3652:                             ;   in Loop: Header=BB4_2583 Depth=4
	s_or_b64 exec, exec, s[28:29]
	v_lshrrev_b64 v[12:13], 20, v[12:13]
	v_cmp_gt_i32_e32 vcc, 16, v37
	v_cndmask_b32_e32 v13, 0, v13, vcc
	v_cndmask_b32_e32 v12, 7, v12, vcc
	v_cmp_eq_u64_e64 s[28:29], 0, v[12:13]
	v_min_i32_e32 v13, 15, v37
	v_lshlrev_b32_e32 v13, 3, v13
	v_cmp_eq_u32_e32 vcc, 0, v37
	v_and_b32_e32 v13, 0xf8, v13
	v_and_or_b32 v12, v12, 7, v13
	s_and_b64 s[28:29], vcc, s[28:29]
	v_cndmask_b32_e64 v12, v12, 0, s[28:29]
	v_or_b32_e32 v37, v12, v49
.LBB4_3653:                             ;   in Loop: Header=BB4_2583 Depth=4
	s_or_b64 exec, exec, s[36:37]
                                        ; implicit-def: $vgpr49
.LBB4_3654:                             ;   in Loop: Header=BB4_2583 Depth=4
	s_andn2_saveexec_b64 s[28:29], s[34:35]
; %bb.3655:                             ;   in Loop: Header=BB4_2583 Depth=4
	v_or_b32_e32 v37, 0x7e, v49
; %bb.3656:                             ;   in Loop: Header=BB4_2583 Depth=4
	s_or_b64 exec, exec, s[28:29]
                                        ; implicit-def: $vgpr12
.LBB4_3657:                             ;   in Loop: Header=BB4_2583 Depth=4
	s_andn2_saveexec_b64 s[28:29], s[30:31]
; %bb.3658:                             ;   in Loop: Header=BB4_2583 Depth=4
	v_or_b32_sdwa v37, v12, s68 dst_sel:DWORD dst_unused:UNUSED_PAD src0_sel:BYTE_3 src1_sel:DWORD
; %bb.3659:                             ;   in Loop: Header=BB4_2583 Depth=4
	s_or_b64 exec, exec, s[28:29]
	v_lshrrev_b16_e32 v12, 8, v48
	v_cmp_ne_u16_e32 vcc, 0, v12
	v_mov_b32_e32 v13, 0
	v_mov_b32_e32 v49, 0
	s_and_saveexec_b64 s[28:29], vcc
	s_cbranch_execz .LBB4_3665
; %bb.3660:                             ;   in Loop: Header=BB4_2583 Depth=4
	v_cmp_ne_u16_e32 vcc, s70, v12
	v_bfrev_b32_e32 v49, 1
	s_and_saveexec_b64 s[30:31], vcc
	s_cbranch_execz .LBB4_3664
; %bb.3661:                             ;   in Loop: Header=BB4_2583 Depth=4
	v_and_b32_e32 v54, 0x7f, v12
	v_cmp_ne_u32_e32 vcc, s68, v54
	v_mov_b32_e32 v49, 0x7f800001
	s_and_saveexec_b64 s[34:35], vcc
	s_cbranch_execz .LBB4_3663
; %bb.3662:                             ;   in Loop: Header=BB4_2583 Depth=4
	v_and_b32_e32 v32, 7, v12
	v_ffbh_u32_e32 v22, v32
	v_min_u32_e32 v49, 32, v22
	v_subrev_u32_e32 v22, 28, v49
	v_lshlrev_b64 v[22:23], v22, v[12:13]
	v_lshrrev_b32_e32 v33, 3, v54
	v_cmp_gt_u32_e32 vcc, 8, v54
	v_sub_u32_e32 v12, 29, v49
	v_and_b32_e32 v22, 7, v22
	v_cndmask_b32_e32 v12, v33, v12, vcc
	v_cndmask_b32_e32 v22, v32, v22, vcc
	v_lshlrev_b32_e32 v23, 16, v48
	v_lshlrev_b32_e32 v22, 20, v22
	v_and_b32_e32 v23, 0x80000000, v23
	v_lshl_add_u32 v12, v12, 23, v5
	v_or3_b32 v49, v23, v12, v22
.LBB4_3663:                             ;   in Loop: Header=BB4_2583 Depth=4
	s_or_b64 exec, exec, s[34:35]
.LBB4_3664:                             ;   in Loop: Header=BB4_2583 Depth=4
	s_or_b64 exec, exec, s[30:31]
.LBB4_3665:                             ;   in Loop: Header=BB4_2583 Depth=4
	s_or_b64 exec, exec, s[28:29]
	v_lshrrev_b16_e32 v12, 8, v15
	v_cmp_ne_u16_e32 vcc, 0, v12
	s_and_saveexec_b64 s[28:29], vcc
	s_cbranch_execz .LBB4_3671
; %bb.3666:                             ;   in Loop: Header=BB4_2583 Depth=4
	v_cmp_ne_u16_e32 vcc, s70, v12
	v_bfrev_b32_e32 v13, 1
	s_and_saveexec_b64 s[30:31], vcc
	s_cbranch_execz .LBB4_3670
; %bb.3667:                             ;   in Loop: Header=BB4_2583 Depth=4
	v_and_b32_e32 v48, 0x7f, v12
	v_cmp_ne_u32_e32 vcc, s68, v48
	v_mov_b32_e32 v13, 0x7f800001
	s_and_saveexec_b64 s[34:35], vcc
	s_cbranch_execz .LBB4_3669
; %bb.3668:                             ;   in Loop: Header=BB4_2583 Depth=4
	v_and_b32_e32 v22, 7, v12
	v_ffbh_u32_e32 v13, v22
	v_min_u32_e32 v32, 32, v13
	v_subrev_u32_e32 v13, 28, v32
	v_lshlrev_b64 v[12:13], v13, v[12:13]
	v_lshrrev_b32_e32 v23, 3, v48
	v_cmp_gt_u32_e32 vcc, 8, v48
	v_sub_u32_e32 v13, 29, v32
	v_and_b32_e32 v12, 7, v12
	v_cndmask_b32_e32 v13, v23, v13, vcc
	v_cndmask_b32_e32 v12, v22, v12, vcc
	v_lshlrev_b32_e32 v22, 16, v15
	v_lshlrev_b32_e32 v12, 20, v12
	v_and_b32_e32 v22, 0x80000000, v22
	v_lshl_add_u32 v13, v13, 23, v5
	v_or3_b32 v13, v22, v13, v12
.LBB4_3669:                             ;   in Loop: Header=BB4_2583 Depth=4
	s_or_b64 exec, exec, s[34:35]
.LBB4_3670:                             ;   in Loop: Header=BB4_2583 Depth=4
	s_or_b64 exec, exec, s[30:31]
.LBB4_3671:                             ;   in Loop: Header=BB4_2583 Depth=4
	s_or_b64 exec, exec, s[28:29]
	v_add_f32_e32 v12, v49, v13
	v_and_b32_e32 v22, 0x7f800000, v12
	v_mov_b32_e32 v23, v3
	v_cmp_ne_u64_e32 vcc, s[62:63], v[22:23]
                                        ; implicit-def: $vgpr48
	s_and_saveexec_b64 s[28:29], vcc
	s_xor_b64 s[30:31], exec, s[28:29]
	s_cbranch_execz .LBB4_3685
; %bb.3672:                             ;   in Loop: Header=BB4_2583 Depth=4
	v_and_b32_e32 v22, 0x7fffffff, v12
	v_mov_b32_e32 v23, v3
	v_cmp_gt_u64_e32 vcc, s[72:73], v[22:23]
	v_and_b32_sdwa v49, v12, s70 dst_sel:DWORD dst_unused:UNUSED_PAD src0_sel:BYTE_3 src1_sel:DWORD
                                        ; implicit-def: $vgpr48
	s_and_saveexec_b64 s[28:29], vcc
	s_xor_b64 s[34:35], exec, s[28:29]
	s_cbranch_execz .LBB4_3682
; %bb.3673:                             ;   in Loop: Header=BB4_2583 Depth=4
	v_mov_b32_e32 v48, 0
	v_cmp_ne_u32_e32 vcc, 0, v12
	s_and_saveexec_b64 s[36:37], vcc
	s_cbranch_execz .LBB4_3681
; %bb.3674:                             ;   in Loop: Header=BB4_2583 Depth=4
	v_bfe_u32 v48, v12, 23, 8
	v_and_b32_e32 v13, 0x7fffff, v12
	v_cmp_gt_u32_e64 s[28:29], s71, v48
	v_sub_u32_e32 v12, 0x79, v48
	v_cmp_eq_u32_e32 vcc, 0, v48
	v_cndmask_b32_e64 v12, 0, v12, s[28:29]
	v_mov_b32_e32 v23, 0x78
	v_or_b32_e32 v22, 0x800000, v13
	v_cndmask_b32_e32 v54, v12, v23, vcc
	v_cndmask_b32_e32 v12, v22, v13, vcc
	v_add_u32_e32 v22, 20, v54
	v_lshlrev_b64 v[22:23], v22, -1
	v_mov_b32_e32 v13, v3
	v_add_u32_e32 v32, 19, v54
	v_bfi_b32 v22, v22, 0, v12
	v_lshlrev_b64 v[32:33], v32, 1
	v_lshrrev_b64 v[12:13], v54, v[12:13]
	v_bfi_b32 v23, v23, 0, 0
	v_cmp_eq_u64_e64 s[28:29], v[22:23], v[32:33]
	v_mov_b32_e32 v59, v13
	v_mov_b32_e32 v58, v12
	s_and_saveexec_b64 s[38:39], s[28:29]
; %bb.3675:                             ;   in Loop: Header=BB4_2583 Depth=4
	v_bfe_u32 v13, v12, 20, 1
	v_add_co_u32_e64 v13, s[28:29], v12, v13
	v_add_co_u32_e64 v58, s[28:29], -1, v13
; %bb.3676:                             ;   in Loop: Header=BB4_2583 Depth=4
	s_or_b64 exec, exec, s[38:39]
	v_add_u32_e32 v13, 0xffffff81, v48
	v_mov_b32_e32 v22, 0xffffff82
	v_cndmask_b32_e32 v13, v13, v22, vcc
	v_lshrrev_b32_e32 v22, 23, v12
	v_add3_u32 v40, v54, v13, v22
	v_add_u32_e32 v54, 6, v40
	v_and_b32_e32 v13, 0xfffff, v58
	v_add_u32_e32 v12, v13, v12
	v_mov_b32_e32 v13, v3
	v_cmp_ne_u32_e32 vcc, 0, v54
                                        ; implicit-def: $vgpr48
	s_and_saveexec_b64 s[28:29], vcc
	s_xor_b64 s[28:29], exec, s[28:29]
; %bb.3677:                             ;   in Loop: Header=BB4_2583 Depth=4
	v_cmp_lt_u64_e32 vcc, s[74:75], v[12:13]
	v_add_u32_e32 v22, 7, v40
	v_cndmask_b32_e32 v48, v54, v22, vcc
	v_cndmask_b32_e64 v22, 0, 1, vcc
	v_lshrrev_b64 v[12:13], v22, v[12:13]
; %bb.3678:                             ;   in Loop: Header=BB4_2583 Depth=4
	s_andn2_saveexec_b64 s[28:29], s[28:29]
; %bb.3679:                             ;   in Loop: Header=BB4_2583 Depth=4
	v_bfe_u32 v48, v12, 23, 1
; %bb.3680:                             ;   in Loop: Header=BB4_2583 Depth=4
	s_or_b64 exec, exec, s[28:29]
	v_lshrrev_b64 v[12:13], 20, v[12:13]
	v_cmp_gt_i32_e32 vcc, 16, v48
	v_cndmask_b32_e32 v13, 0, v13, vcc
	v_cndmask_b32_e32 v12, 7, v12, vcc
	v_cmp_eq_u64_e64 s[28:29], 0, v[12:13]
	v_min_i32_e32 v13, 15, v48
	v_lshlrev_b32_e32 v13, 3, v13
	v_cmp_eq_u32_e32 vcc, 0, v48
	v_and_b32_e32 v13, 0xf8, v13
	v_and_or_b32 v12, v12, 7, v13
	s_and_b64 s[28:29], vcc, s[28:29]
	v_cndmask_b32_e64 v12, v12, 0, s[28:29]
	v_or_b32_e32 v48, v12, v49
.LBB4_3681:                             ;   in Loop: Header=BB4_2583 Depth=4
	s_or_b64 exec, exec, s[36:37]
                                        ; implicit-def: $vgpr49
.LBB4_3682:                             ;   in Loop: Header=BB4_2583 Depth=4
	s_andn2_saveexec_b64 s[28:29], s[34:35]
; %bb.3683:                             ;   in Loop: Header=BB4_2583 Depth=4
	v_or_b32_e32 v48, 0x7e, v49
; %bb.3684:                             ;   in Loop: Header=BB4_2583 Depth=4
	s_or_b64 exec, exec, s[28:29]
                                        ; implicit-def: $vgpr12
.LBB4_3685:                             ;   in Loop: Header=BB4_2583 Depth=4
	s_andn2_saveexec_b64 s[28:29], s[30:31]
; %bb.3686:                             ;   in Loop: Header=BB4_2583 Depth=4
	v_or_b32_sdwa v48, v12, s68 dst_sel:DWORD dst_unused:UNUSED_PAD src0_sel:BYTE_3 src1_sel:DWORD
; %bb.3687:                             ;   in Loop: Header=BB4_2583 Depth=4
	s_or_b64 exec, exec, s[28:29]
	v_lshrrev_b32_e32 v12, 16, v2
	v_cmp_ne_u16_sdwa vcc, v12, v3 src0_sel:BYTE_0 src1_sel:DWORD
	v_mov_b32_e32 v13, 0
	v_mov_b32_e32 v49, 0
	s_and_saveexec_b64 s[28:29], vcc
	s_cbranch_execz .LBB4_3693
; %bb.3688:                             ;   in Loop: Header=BB4_2583 Depth=4
	v_cmp_ne_u16_sdwa vcc, v12, s70 src0_sel:BYTE_0 src1_sel:DWORD
	v_bfrev_b32_e32 v49, 1
	s_and_saveexec_b64 s[30:31], vcc
	s_cbranch_execz .LBB4_3692
; %bb.3689:                             ;   in Loop: Header=BB4_2583 Depth=4
	v_bfe_u32 v54, v2, 16, 7
	v_cmp_ne_u32_e32 vcc, s68, v54
	v_mov_b32_e32 v49, 0x7f800001
	s_and_saveexec_b64 s[34:35], vcc
	s_cbranch_execz .LBB4_3691
; %bb.3690:                             ;   in Loop: Header=BB4_2583 Depth=4
	v_and_b32_e32 v32, 7, v12
	v_ffbh_u32_e32 v22, v32
	v_min_u32_e32 v49, 32, v22
	v_subrev_u32_e32 v22, 28, v49
	v_lshlrev_b64 v[22:23], v22, v[12:13]
	v_lshrrev_b32_e32 v33, 3, v54
	v_cmp_gt_u32_e32 vcc, 8, v54
	v_sub_u32_e32 v23, 29, v49
	v_and_b32_e32 v22, 7, v22
	v_cndmask_b32_e32 v23, v33, v23, vcc
	v_cndmask_b32_e32 v22, v32, v22, vcc
	v_lshlrev_b32_e32 v12, 24, v12
	v_lshlrev_b32_e32 v22, 20, v22
	v_and_b32_e32 v12, 0x80000000, v12
	v_lshl_add_u32 v23, v23, 23, v5
	v_or3_b32 v49, v12, v23, v22
.LBB4_3691:                             ;   in Loop: Header=BB4_2583 Depth=4
	s_or_b64 exec, exec, s[34:35]
.LBB4_3692:                             ;   in Loop: Header=BB4_2583 Depth=4
	s_or_b64 exec, exec, s[30:31]
.LBB4_3693:                             ;   in Loop: Header=BB4_2583 Depth=4
	s_or_b64 exec, exec, s[28:29]
	v_lshrrev_b32_e32 v12, 16, v15
	v_cmp_ne_u16_sdwa vcc, v12, v3 src0_sel:BYTE_0 src1_sel:DWORD
	s_and_saveexec_b64 s[28:29], vcc
	s_cbranch_execz .LBB4_3699
; %bb.3694:                             ;   in Loop: Header=BB4_2583 Depth=4
	v_cmp_ne_u16_sdwa vcc, v12, s70 src0_sel:BYTE_0 src1_sel:DWORD
	v_bfrev_b32_e32 v13, 1
	s_and_saveexec_b64 s[30:31], vcc
	s_cbranch_execz .LBB4_3698
; %bb.3695:                             ;   in Loop: Header=BB4_2583 Depth=4
	v_bfe_u32 v54, v15, 16, 7
	v_cmp_ne_u32_e32 vcc, s68, v54
	v_mov_b32_e32 v13, 0x7f800001
	s_and_saveexec_b64 s[34:35], vcc
	s_cbranch_execz .LBB4_3697
; %bb.3696:                             ;   in Loop: Header=BB4_2583 Depth=4
	v_and_b32_e32 v22, 7, v12
	v_ffbh_u32_e32 v13, v22
	v_min_u32_e32 v32, 32, v13
	v_subrev_u32_e32 v13, 28, v32
	v_lshlrev_b64 v[12:13], v13, v[12:13]
	v_lshrrev_b32_e32 v23, 3, v54
	v_cmp_gt_u32_e32 vcc, 8, v54
	v_sub_u32_e32 v13, 29, v32
	v_and_b32_e32 v12, 7, v12
	v_cndmask_b32_e32 v13, v23, v13, vcc
	v_cndmask_b32_e32 v12, v22, v12, vcc
	v_lshlrev_b32_e32 v22, 8, v15
	v_lshlrev_b32_e32 v12, 20, v12
	v_and_b32_e32 v22, 0x80000000, v22
	v_lshl_add_u32 v13, v13, 23, v5
	v_or3_b32 v13, v22, v13, v12
.LBB4_3697:                             ;   in Loop: Header=BB4_2583 Depth=4
	s_or_b64 exec, exec, s[34:35]
.LBB4_3698:                             ;   in Loop: Header=BB4_2583 Depth=4
	s_or_b64 exec, exec, s[30:31]
.LBB4_3699:                             ;   in Loop: Header=BB4_2583 Depth=4
	s_or_b64 exec, exec, s[28:29]
	v_add_f32_e32 v12, v49, v13
	v_and_b32_e32 v22, 0x7f800000, v12
	v_mov_b32_e32 v23, v3
	v_cmp_ne_u64_e32 vcc, s[62:63], v[22:23]
                                        ; implicit-def: $vgpr49
	s_and_saveexec_b64 s[28:29], vcc
	s_xor_b64 s[30:31], exec, s[28:29]
	s_cbranch_execz .LBB4_3713
; %bb.3700:                             ;   in Loop: Header=BB4_2583 Depth=4
	v_and_b32_e32 v22, 0x7fffffff, v12
	v_mov_b32_e32 v23, v3
	v_cmp_gt_u64_e32 vcc, s[72:73], v[22:23]
	v_and_b32_sdwa v54, v12, s70 dst_sel:DWORD dst_unused:UNUSED_PAD src0_sel:BYTE_3 src1_sel:DWORD
                                        ; implicit-def: $vgpr49
	s_and_saveexec_b64 s[28:29], vcc
	s_xor_b64 s[34:35], exec, s[28:29]
	s_cbranch_execz .LBB4_3710
; %bb.3701:                             ;   in Loop: Header=BB4_2583 Depth=4
	v_mov_b32_e32 v49, 0
	v_cmp_ne_u32_e32 vcc, 0, v12
	s_and_saveexec_b64 s[36:37], vcc
	s_cbranch_execz .LBB4_3709
; %bb.3702:                             ;   in Loop: Header=BB4_2583 Depth=4
	v_bfe_u32 v49, v12, 23, 8
	v_and_b32_e32 v13, 0x7fffff, v12
	v_cmp_gt_u32_e64 s[28:29], s71, v49
	v_sub_u32_e32 v12, 0x79, v49
	v_cmp_eq_u32_e32 vcc, 0, v49
	v_cndmask_b32_e64 v12, 0, v12, s[28:29]
	v_mov_b32_e32 v23, 0x78
	v_or_b32_e32 v22, 0x800000, v13
	v_cndmask_b32_e32 v40, v12, v23, vcc
	v_cndmask_b32_e32 v12, v22, v13, vcc
	v_add_u32_e32 v22, 20, v40
	v_lshlrev_b64 v[22:23], v22, -1
	v_mov_b32_e32 v13, v3
	v_add_u32_e32 v32, 19, v40
	v_bfi_b32 v22, v22, 0, v12
	v_lshlrev_b64 v[32:33], v32, 1
	v_lshrrev_b64 v[12:13], v40, v[12:13]
	v_bfi_b32 v23, v23, 0, 0
	v_cmp_eq_u64_e64 s[28:29], v[22:23], v[32:33]
	v_mov_b32_e32 v59, v13
	v_mov_b32_e32 v58, v12
	s_and_saveexec_b64 s[38:39], s[28:29]
; %bb.3703:                             ;   in Loop: Header=BB4_2583 Depth=4
	v_bfe_u32 v13, v12, 20, 1
	v_add_co_u32_e64 v13, s[28:29], v12, v13
	v_add_co_u32_e64 v58, s[28:29], -1, v13
; %bb.3704:                             ;   in Loop: Header=BB4_2583 Depth=4
	s_or_b64 exec, exec, s[38:39]
	v_add_u32_e32 v13, 0xffffff81, v49
	v_mov_b32_e32 v22, 0xffffff82
	v_cndmask_b32_e32 v13, v13, v22, vcc
	v_lshrrev_b32_e32 v22, 23, v12
	v_add3_u32 v42, v40, v13, v22
	v_add_u32_e32 v40, 6, v42
	v_and_b32_e32 v13, 0xfffff, v58
	v_add_u32_e32 v12, v13, v12
	v_mov_b32_e32 v13, v3
	v_cmp_ne_u32_e32 vcc, 0, v40
                                        ; implicit-def: $vgpr49
	s_and_saveexec_b64 s[28:29], vcc
	s_xor_b64 s[28:29], exec, s[28:29]
; %bb.3705:                             ;   in Loop: Header=BB4_2583 Depth=4
	v_cmp_lt_u64_e32 vcc, s[74:75], v[12:13]
	v_add_u32_e32 v22, 7, v42
	v_cndmask_b32_e32 v49, v40, v22, vcc
	v_cndmask_b32_e64 v22, 0, 1, vcc
	v_lshrrev_b64 v[12:13], v22, v[12:13]
; %bb.3706:                             ;   in Loop: Header=BB4_2583 Depth=4
	s_andn2_saveexec_b64 s[28:29], s[28:29]
; %bb.3707:                             ;   in Loop: Header=BB4_2583 Depth=4
	v_bfe_u32 v49, v12, 23, 1
; %bb.3708:                             ;   in Loop: Header=BB4_2583 Depth=4
	s_or_b64 exec, exec, s[28:29]
	v_lshrrev_b64 v[12:13], 20, v[12:13]
	v_cmp_gt_i32_e32 vcc, 16, v49
	v_cndmask_b32_e32 v13, 0, v13, vcc
	v_cndmask_b32_e32 v12, 7, v12, vcc
	v_cmp_eq_u64_e64 s[28:29], 0, v[12:13]
	v_min_i32_e32 v13, 15, v49
	v_lshlrev_b32_e32 v13, 3, v13
	v_cmp_eq_u32_e32 vcc, 0, v49
	v_and_b32_e32 v13, 0xf8, v13
	v_and_or_b32 v12, v12, 7, v13
	s_and_b64 s[28:29], vcc, s[28:29]
	v_cndmask_b32_e64 v12, v12, 0, s[28:29]
	v_or_b32_e32 v49, v12, v54
.LBB4_3709:                             ;   in Loop: Header=BB4_2583 Depth=4
	s_or_b64 exec, exec, s[36:37]
                                        ; implicit-def: $vgpr54
.LBB4_3710:                             ;   in Loop: Header=BB4_2583 Depth=4
	s_andn2_saveexec_b64 s[28:29], s[34:35]
; %bb.3711:                             ;   in Loop: Header=BB4_2583 Depth=4
	v_or_b32_e32 v49, 0x7e, v54
; %bb.3712:                             ;   in Loop: Header=BB4_2583 Depth=4
	s_or_b64 exec, exec, s[28:29]
                                        ; implicit-def: $vgpr12
.LBB4_3713:                             ;   in Loop: Header=BB4_2583 Depth=4
	s_andn2_saveexec_b64 s[28:29], s[30:31]
; %bb.3714:                             ;   in Loop: Header=BB4_2583 Depth=4
	v_or_b32_sdwa v49, v12, s68 dst_sel:DWORD dst_unused:UNUSED_PAD src0_sel:BYTE_3 src1_sel:DWORD
; %bb.3715:                             ;   in Loop: Header=BB4_2583 Depth=4
	s_or_b64 exec, exec, s[28:29]
	v_cmp_lt_u32_e32 vcc, s57, v2
	v_mov_b32_e32 v13, 0
	v_mov_b32_e32 v54, 0
	s_and_saveexec_b64 s[28:29], vcc
	s_cbranch_execz .LBB4_3721
; %bb.3716:                             ;   in Loop: Header=BB4_2583 Depth=4
	v_lshrrev_b32_e32 v12, 24, v2
	v_cmp_ne_u32_sdwa vcc, v2, s70 src0_sel:BYTE_3 src1_sel:DWORD
	v_bfrev_b32_e32 v54, 1
	s_and_saveexec_b64 s[30:31], vcc
	s_cbranch_execz .LBB4_3720
; %bb.3717:                             ;   in Loop: Header=BB4_2583 Depth=4
	v_bfe_u32 v40, v2, 24, 7
	v_cmp_ne_u32_e32 vcc, s68, v40
	v_mov_b32_e32 v54, 0x7f800001
	s_and_saveexec_b64 s[34:35], vcc
	s_cbranch_execz .LBB4_3719
; %bb.3718:                             ;   in Loop: Header=BB4_2583 Depth=4
	v_and_b32_e32 v32, 7, v12
	v_ffbh_u32_e32 v22, v32
	v_min_u32_e32 v54, 32, v22
	v_subrev_u32_e32 v22, 28, v54
	v_lshlrev_b64 v[22:23], v22, v[12:13]
	v_lshrrev_b32_e32 v33, 3, v40
	v_cmp_gt_u32_e32 vcc, 8, v40
	v_sub_u32_e32 v12, 29, v54
	v_and_b32_e32 v22, 7, v22
	v_mov_b32_e32 v23, 24
	v_cndmask_b32_e32 v12, v33, v12, vcc
	v_cndmask_b32_e32 v22, v32, v22, vcc
	v_lshlrev_b32_sdwa v2, v23, v2 dst_sel:DWORD dst_unused:UNUSED_PAD src0_sel:DWORD src1_sel:BYTE_3
	v_lshlrev_b32_e32 v22, 20, v22
	v_and_b32_e32 v2, 0x80000000, v2
	v_lshl_add_u32 v12, v12, 23, v5
	v_or3_b32 v54, v2, v12, v22
.LBB4_3719:                             ;   in Loop: Header=BB4_2583 Depth=4
	s_or_b64 exec, exec, s[34:35]
.LBB4_3720:                             ;   in Loop: Header=BB4_2583 Depth=4
	s_or_b64 exec, exec, s[30:31]
.LBB4_3721:                             ;   in Loop: Header=BB4_2583 Depth=4
	s_or_b64 exec, exec, s[28:29]
	v_cmp_lt_u64_e32 vcc, s[56:57], v[14:15]
	s_and_saveexec_b64 s[28:29], vcc
	s_cbranch_execz .LBB4_3727
; %bb.3722:                             ;   in Loop: Header=BB4_2583 Depth=4
	v_lshrrev_b32_e32 v2, 24, v15
	v_cmp_ne_u32_e32 vcc, s70, v2
	v_bfrev_b32_e32 v13, 1
	s_and_saveexec_b64 s[30:31], vcc
	s_cbranch_execz .LBB4_3726
; %bb.3723:                             ;   in Loop: Header=BB4_2583 Depth=4
	v_bfe_u32 v12, v15, 24, 7
	v_cmp_ne_u32_e32 vcc, s68, v12
	v_mov_b32_e32 v13, 0x7f800001
	s_and_saveexec_b64 s[34:35], vcc
	s_cbranch_execz .LBB4_3725
; %bb.3724:                             ;   in Loop: Header=BB4_2583 Depth=4
	v_and_b32_e32 v14, 7, v2
	v_lshrrev_b32_e32 v15, 3, v12
	v_cmp_gt_u32_e32 vcc, 8, v12
	v_ffbh_u32_e32 v12, v14
	v_min_u32_e32 v22, 32, v12
	v_subrev_u32_e32 v12, 28, v22
	v_lshlrev_b64 v[12:13], v12, v[2:3]
	v_sub_u32_e32 v13, 29, v22
	v_and_b32_e32 v12, 7, v12
	v_cndmask_b32_e32 v13, v15, v13, vcc
	v_cndmask_b32_e32 v12, v14, v12, vcc
	v_lshlrev_b32_e32 v2, 24, v2
	v_lshlrev_b32_e32 v12, 20, v12
	v_and_b32_e32 v2, 0x80000000, v2
	v_lshl_add_u32 v13, v13, 23, v5
	v_or3_b32 v13, v2, v13, v12
.LBB4_3725:                             ;   in Loop: Header=BB4_2583 Depth=4
	s_or_b64 exec, exec, s[34:35]
.LBB4_3726:                             ;   in Loop: Header=BB4_2583 Depth=4
	s_or_b64 exec, exec, s[30:31]
.LBB4_3727:                             ;   in Loop: Header=BB4_2583 Depth=4
	s_or_b64 exec, exec, s[28:29]
	v_add_f32_e32 v12, v54, v13
	v_and_b32_e32 v2, 0x7f800000, v12
	v_cmp_ne_u64_e32 vcc, s[62:63], v[2:3]
                                        ; implicit-def: $vgpr15
	s_and_saveexec_b64 s[28:29], vcc
	s_xor_b64 s[30:31], exec, s[28:29]
	s_cbranch_execz .LBB4_3741
; %bb.3728:                             ;   in Loop: Header=BB4_2583 Depth=4
	v_and_b32_e32 v2, 0x7fffffff, v12
	v_cmp_gt_u64_e32 vcc, s[72:73], v[2:3]
	v_and_b32_sdwa v54, v12, s70 dst_sel:DWORD dst_unused:UNUSED_PAD src0_sel:BYTE_3 src1_sel:DWORD
                                        ; implicit-def: $vgpr15
	s_and_saveexec_b64 s[28:29], vcc
	s_xor_b64 s[34:35], exec, s[28:29]
	s_cbranch_execz .LBB4_3738
; %bb.3729:                             ;   in Loop: Header=BB4_2583 Depth=4
	v_mov_b32_e32 v15, 0
	v_cmp_ne_u32_e32 vcc, 0, v12
	s_and_saveexec_b64 s[36:37], vcc
	s_cbranch_execz .LBB4_3737
; %bb.3730:                             ;   in Loop: Header=BB4_2583 Depth=4
	v_bfe_u32 v15, v12, 23, 8
	v_and_b32_e32 v2, 0x7fffff, v12
	v_cmp_gt_u32_e64 s[28:29], s71, v15
	v_sub_u32_e32 v12, 0x79, v15
	v_cmp_eq_u32_e32 vcc, 0, v15
	v_cndmask_b32_e64 v12, 0, v12, s[28:29]
	v_mov_b32_e32 v14, 0x78
	v_cndmask_b32_e32 v40, v12, v14, vcc
	v_or_b32_e32 v13, 0x800000, v2
	v_add_u32_e32 v12, 20, v40
	v_cndmask_b32_e32 v2, v13, v2, vcc
	v_lshlrev_b64 v[12:13], v12, -1
	v_add_u32_e32 v14, 19, v40
	v_lshlrev_b64 v[22:23], v14, 1
	v_bfi_b32 v13, v13, 0, 0
	v_bfi_b32 v12, v12, 0, v2
	v_cmp_eq_u64_e64 s[28:29], v[12:13], v[22:23]
	v_lshrrev_b64 v[12:13], v40, v[2:3]
	v_mov_b32_e32 v14, v13
	v_mov_b32_e32 v13, v12
	s_and_saveexec_b64 s[38:39], s[28:29]
; %bb.3731:                             ;   in Loop: Header=BB4_2583 Depth=4
	v_bfe_u32 v2, v12, 20, 1
	v_add_co_u32_e64 v2, s[28:29], v12, v2
	v_add_co_u32_e64 v13, s[28:29], -1, v2
; %bb.3732:                             ;   in Loop: Header=BB4_2583 Depth=4
	s_or_b64 exec, exec, s[38:39]
	v_add_u32_e32 v2, 0xffffff81, v15
	v_mov_b32_e32 v14, 0xffffff82
	v_cndmask_b32_e32 v2, v2, v14, vcc
	v_lshrrev_b32_e32 v14, 23, v12
	v_add3_u32 v40, v40, v2, v14
	v_add_u32_e32 v15, 6, v40
	v_and_b32_e32 v2, 0xfffff, v13
	v_add_u32_e32 v2, v2, v12
	v_cmp_ne_u32_e32 vcc, 0, v15
                                        ; implicit-def: $vgpr12_vgpr13
                                        ; implicit-def: $vgpr14
	s_and_saveexec_b64 s[28:29], vcc
	s_xor_b64 s[28:29], exec, s[28:29]
; %bb.3733:                             ;   in Loop: Header=BB4_2583 Depth=4
	v_cmp_lt_u64_e32 vcc, s[74:75], v[2:3]
	v_add_u32_e32 v12, 7, v40
	v_cndmask_b32_e32 v14, v15, v12, vcc
	v_cndmask_b32_e64 v12, 0, 1, vcc
	v_lshrrev_b64 v[12:13], v12, v[2:3]
; %bb.3734:                             ;   in Loop: Header=BB4_2583 Depth=4
	s_andn2_saveexec_b64 s[28:29], s[28:29]
; %bb.3735:                             ;   in Loop: Header=BB4_2583 Depth=4
	v_mov_b32_e32 v13, v3
	v_bfe_u32 v14, v2, 23, 1
	v_mov_b32_e32 v12, v2
; %bb.3736:                             ;   in Loop: Header=BB4_2583 Depth=4
	s_or_b64 exec, exec, s[28:29]
	v_lshrrev_b64 v[12:13], 20, v[12:13]
	v_cmp_gt_i32_e32 vcc, 16, v14
	v_cndmask_b32_e32 v13, 0, v13, vcc
	v_cndmask_b32_e32 v12, 7, v12, vcc
	v_min_i32_e32 v2, 15, v14
	v_cmp_eq_u64_e64 s[28:29], 0, v[12:13]
	v_lshlrev_b32_e32 v2, 3, v2
	v_cmp_eq_u32_e32 vcc, 0, v14
	v_and_b32_e32 v2, 0xf8, v2
	v_and_or_b32 v2, v12, 7, v2
	s_and_b64 s[28:29], vcc, s[28:29]
	v_cndmask_b32_e64 v2, v2, 0, s[28:29]
	v_or_b32_e32 v15, v2, v54
.LBB4_3737:                             ;   in Loop: Header=BB4_2583 Depth=4
	s_or_b64 exec, exec, s[36:37]
                                        ; implicit-def: $vgpr54
.LBB4_3738:                             ;   in Loop: Header=BB4_2583 Depth=4
	s_andn2_saveexec_b64 s[28:29], s[34:35]
; %bb.3739:                             ;   in Loop: Header=BB4_2583 Depth=4
	v_or_b32_e32 v15, 0x7e, v54
; %bb.3740:                             ;   in Loop: Header=BB4_2583 Depth=4
	s_or_b64 exec, exec, s[28:29]
                                        ; implicit-def: $vgpr12
.LBB4_3741:                             ;   in Loop: Header=BB4_2583 Depth=4
	s_andn2_saveexec_b64 s[28:29], s[30:31]
; %bb.3742:                             ;   in Loop: Header=BB4_2583 Depth=4
	v_or_b32_sdwa v15, v12, s68 dst_sel:DWORD dst_unused:UNUSED_PAD src0_sel:BYTE_3 src1_sel:DWORD
; %bb.3743:                             ;   in Loop: Header=BB4_2583 Depth=4
	s_or_b64 exec, exec, s[28:29]
	v_lshl_or_b32 v54, v55, 8, v35
	v_lshlrev_b32_e32 v2, 16, v41
	v_lshlrev_b32_e32 v12, 24, v17
	v_or3_b32 v2, v2, v12, v54
	v_cmp_ne_u32_e32 vcc, 0, v35
	v_mov_b32_e32 v12, 0
	v_mov_b32_e32 v13, 0
	s_and_saveexec_b64 s[28:29], vcc
	s_cbranch_execz .LBB4_3749
; %bb.3744:                             ;   in Loop: Header=BB4_2583 Depth=4
	v_cmp_ne_u32_e32 vcc, s70, v35
	v_bfrev_b32_e32 v13, 1
	s_and_saveexec_b64 s[30:31], vcc
	s_cbranch_execz .LBB4_3748
; %bb.3745:                             ;   in Loop: Header=BB4_2583 Depth=4
	v_and_b32_e32 v14, 0x7f, v35
	v_cmp_ne_u32_e32 vcc, s68, v14
	v_mov_b32_e32 v13, 0x7f800001
	s_and_saveexec_b64 s[34:35], vcc
	s_cbranch_execz .LBB4_3747
; %bb.3746:                             ;   in Loop: Header=BB4_2583 Depth=4
	v_and_b32_e32 v13, 7, v35
	v_ffbh_u32_e32 v13, v13
	v_min_u32_e32 v13, 32, v13
	v_lshrrev_b32_e32 v17, 3, v14
	v_cmp_gt_u32_e32 vcc, 8, v14
	v_subrev_u32_e32 v14, 28, v13
	v_sub_u32_e32 v13, 29, v13
	v_cndmask_b32_e32 v17, v17, v13, vcc
	v_cndmask_b32_e32 v13, 0, v14, vcc
	v_lshlrev_b64 v[13:14], v13, v[2:3]
	v_lshlrev_b32_e32 v14, 24, v2
	v_lshlrev_b32_e32 v13, 20, v13
	v_and_b32_e32 v13, 0x700000, v13
	v_and_b32_e32 v14, 0x80000000, v14
	v_lshl_add_u32 v17, v17, 23, v5
	v_or3_b32 v13, v14, v17, v13
.LBB4_3747:                             ;   in Loop: Header=BB4_2583 Depth=4
	s_or_b64 exec, exec, s[34:35]
.LBB4_3748:                             ;   in Loop: Header=BB4_2583 Depth=4
	s_or_b64 exec, exec, s[30:31]
.LBB4_3749:                             ;   in Loop: Header=BB4_2583 Depth=4
	s_or_b64 exec, exec, s[28:29]
	s_waitcnt vmcnt(0)
	v_cmp_ne_u16_sdwa vcc, v8, v3 src0_sel:BYTE_0 src1_sel:DWORD
	s_and_saveexec_b64 s[28:29], vcc
	s_cbranch_execz .LBB4_3755
; %bb.3750:                             ;   in Loop: Header=BB4_2583 Depth=4
	v_cmp_ne_u16_sdwa vcc, v8, s70 src0_sel:BYTE_0 src1_sel:DWORD
	v_bfrev_b32_e32 v12, 1
	s_and_saveexec_b64 s[30:31], vcc
	s_cbranch_execz .LBB4_3754
; %bb.3751:                             ;   in Loop: Header=BB4_2583 Depth=4
	v_and_b32_e32 v14, 0x7f, v8
	v_cmp_ne_u32_e32 vcc, s68, v14
	v_mov_b32_e32 v12, 0x7f800001
	s_and_saveexec_b64 s[34:35], vcc
	s_cbranch_execz .LBB4_3753
; %bb.3752:                             ;   in Loop: Header=BB4_2583 Depth=4
	v_and_b32_e32 v12, 7, v8
	v_ffbh_u32_e32 v12, v12
	v_min_u32_e32 v12, 32, v12
	v_lshrrev_b32_e32 v17, 3, v14
	v_cmp_gt_u32_e32 vcc, 8, v14
	v_subrev_u32_e32 v14, 28, v12
	v_cndmask_b32_e32 v14, 0, v14, vcc
	v_lshlrev_b64 v[22:23], v14, v[8:9]
	v_sub_u32_e32 v12, 29, v12
	v_cndmask_b32_e32 v12, v17, v12, vcc
	v_lshlrev_b32_e32 v14, 20, v22
	v_lshlrev_b32_e32 v17, 24, v8
	v_and_b32_e32 v14, 0x700000, v14
	v_and_b32_e32 v17, 0x80000000, v17
	v_lshl_add_u32 v12, v12, 23, v5
	v_or3_b32 v12, v17, v12, v14
.LBB4_3753:                             ;   in Loop: Header=BB4_2583 Depth=4
	s_or_b64 exec, exec, s[34:35]
.LBB4_3754:                             ;   in Loop: Header=BB4_2583 Depth=4
	s_or_b64 exec, exec, s[30:31]
.LBB4_3755:                             ;   in Loop: Header=BB4_2583 Depth=4
	s_or_b64 exec, exec, s[28:29]
	v_add_f32_e32 v12, v13, v12
	v_and_b32_e32 v13, 0x7f800000, v12
	v_mov_b32_e32 v14, v3
	v_cmp_ne_u64_e32 vcc, s[62:63], v[13:14]
                                        ; implicit-def: $vgpr17
	s_and_saveexec_b64 s[28:29], vcc
	s_xor_b64 s[30:31], exec, s[28:29]
	s_cbranch_execz .LBB4_3769
; %bb.3756:                             ;   in Loop: Header=BB4_2583 Depth=4
	v_and_b32_e32 v13, 0x7fffffff, v12
	v_mov_b32_e32 v14, v3
	v_cmp_gt_u64_e32 vcc, s[72:73], v[13:14]
	v_and_b32_sdwa v35, v12, s70 dst_sel:DWORD dst_unused:UNUSED_PAD src0_sel:BYTE_3 src1_sel:DWORD
                                        ; implicit-def: $vgpr17
	s_and_saveexec_b64 s[28:29], vcc
	s_xor_b64 s[34:35], exec, s[28:29]
	s_cbranch_execz .LBB4_3766
; %bb.3757:                             ;   in Loop: Header=BB4_2583 Depth=4
	v_mov_b32_e32 v17, 0
	v_cmp_ne_u32_e32 vcc, 0, v12
	s_and_saveexec_b64 s[36:37], vcc
	s_cbranch_execz .LBB4_3765
; %bb.3758:                             ;   in Loop: Header=BB4_2583 Depth=4
	v_bfe_u32 v17, v12, 23, 8
	v_and_b32_e32 v13, 0x7fffff, v12
	v_cmp_gt_u32_e64 s[28:29], s71, v17
	v_sub_u32_e32 v12, 0x79, v17
	v_cmp_eq_u32_e32 vcc, 0, v17
	v_cndmask_b32_e64 v12, 0, v12, s[28:29]
	v_mov_b32_e32 v22, 0x78
	v_or_b32_e32 v14, 0x800000, v13
	v_cndmask_b32_e32 v55, v12, v22, vcc
	v_cndmask_b32_e32 v12, v14, v13, vcc
	v_add_u32_e32 v14, 20, v55
	v_lshlrev_b64 v[22:23], v14, -1
	v_mov_b32_e32 v13, v3
	v_add_u32_e32 v14, 19, v55
	v_bfi_b32 v22, v22, 0, v12
	v_lshlrev_b64 v[32:33], v14, 1
	v_lshrrev_b64 v[12:13], v55, v[12:13]
	v_bfi_b32 v23, v23, 0, 0
	v_cmp_eq_u64_e64 s[28:29], v[22:23], v[32:33]
	v_mov_b32_e32 v14, v13
	v_mov_b32_e32 v13, v12
	s_and_saveexec_b64 s[38:39], s[28:29]
; %bb.3759:                             ;   in Loop: Header=BB4_2583 Depth=4
	v_bfe_u32 v13, v12, 20, 1
	v_add_co_u32_e64 v13, s[28:29], v12, v13
	v_add_co_u32_e64 v13, s[28:29], -1, v13
; %bb.3760:                             ;   in Loop: Header=BB4_2583 Depth=4
	s_or_b64 exec, exec, s[38:39]
	v_add_u32_e32 v14, 0xffffff81, v17
	v_mov_b32_e32 v17, 0xffffff82
	v_cndmask_b32_e32 v14, v14, v17, vcc
	v_lshrrev_b32_e32 v17, 23, v12
	v_add3_u32 v55, v55, v14, v17
	v_add_u32_e32 v17, 6, v55
	v_and_b32_e32 v13, 0xfffff, v13
	v_add_u32_e32 v12, v13, v12
	v_mov_b32_e32 v13, v3
	v_cmp_ne_u32_e32 vcc, 0, v17
                                        ; implicit-def: $vgpr14
	s_and_saveexec_b64 s[28:29], vcc
	s_xor_b64 s[28:29], exec, s[28:29]
; %bb.3761:                             ;   in Loop: Header=BB4_2583 Depth=4
	v_cmp_lt_u64_e32 vcc, s[74:75], v[12:13]
	v_add_u32_e32 v14, 7, v55
	v_cndmask_b32_e32 v14, v17, v14, vcc
	v_cndmask_b32_e64 v17, 0, 1, vcc
	v_lshrrev_b64 v[12:13], v17, v[12:13]
; %bb.3762:                             ;   in Loop: Header=BB4_2583 Depth=4
	s_andn2_saveexec_b64 s[28:29], s[28:29]
; %bb.3763:                             ;   in Loop: Header=BB4_2583 Depth=4
	v_bfe_u32 v14, v12, 23, 1
; %bb.3764:                             ;   in Loop: Header=BB4_2583 Depth=4
	s_or_b64 exec, exec, s[28:29]
	v_lshrrev_b64 v[12:13], 20, v[12:13]
	v_cmp_gt_i32_e32 vcc, 16, v14
	v_cndmask_b32_e32 v13, 0, v13, vcc
	v_cndmask_b32_e32 v12, 7, v12, vcc
	v_cmp_eq_u64_e64 s[28:29], 0, v[12:13]
	v_min_i32_e32 v13, 15, v14
	v_lshlrev_b32_e32 v13, 3, v13
	v_cmp_eq_u32_e32 vcc, 0, v14
	v_and_b32_e32 v13, 0xf8, v13
	v_and_or_b32 v12, v12, 7, v13
	s_and_b64 s[28:29], vcc, s[28:29]
	v_cndmask_b32_e64 v12, v12, 0, s[28:29]
	v_or_b32_e32 v17, v12, v35
.LBB4_3765:                             ;   in Loop: Header=BB4_2583 Depth=4
	s_or_b64 exec, exec, s[36:37]
                                        ; implicit-def: $vgpr35
.LBB4_3766:                             ;   in Loop: Header=BB4_2583 Depth=4
	s_andn2_saveexec_b64 s[28:29], s[34:35]
; %bb.3767:                             ;   in Loop: Header=BB4_2583 Depth=4
	v_or_b32_e32 v17, 0x7e, v35
; %bb.3768:                             ;   in Loop: Header=BB4_2583 Depth=4
	s_or_b64 exec, exec, s[28:29]
                                        ; implicit-def: $vgpr12
.LBB4_3769:                             ;   in Loop: Header=BB4_2583 Depth=4
	s_andn2_saveexec_b64 s[28:29], s[30:31]
; %bb.3770:                             ;   in Loop: Header=BB4_2583 Depth=4
	v_or_b32_sdwa v17, v12, s68 dst_sel:DWORD dst_unused:UNUSED_PAD src0_sel:BYTE_3 src1_sel:DWORD
; %bb.3771:                             ;   in Loop: Header=BB4_2583 Depth=4
	s_or_b64 exec, exec, s[28:29]
	v_lshrrev_b16_e32 v12, 8, v54
	v_cmp_ne_u16_e32 vcc, 0, v12
	v_mov_b32_e32 v13, 0
	v_mov_b32_e32 v14, 0
	s_and_saveexec_b64 s[28:29], vcc
	s_cbranch_execz .LBB4_3777
; %bb.3772:                             ;   in Loop: Header=BB4_2583 Depth=4
	v_cmp_ne_u16_e32 vcc, s70, v12
	v_bfrev_b32_e32 v14, 1
	s_and_saveexec_b64 s[30:31], vcc
	s_cbranch_execz .LBB4_3776
; %bb.3773:                             ;   in Loop: Header=BB4_2583 Depth=4
	v_and_b32_e32 v35, 0x7f, v12
	v_cmp_ne_u32_e32 vcc, s68, v35
	v_mov_b32_e32 v14, 0x7f800001
	s_and_saveexec_b64 s[34:35], vcc
	s_cbranch_execz .LBB4_3775
; %bb.3774:                             ;   in Loop: Header=BB4_2583 Depth=4
	v_and_b32_e32 v14, 7, v12
	v_ffbh_u32_e32 v22, v14
	v_min_u32_e32 v33, 32, v22
	v_subrev_u32_e32 v22, 28, v33
	v_lshlrev_b64 v[22:23], v22, v[12:13]
	v_lshrrev_b32_e32 v32, 3, v35
	v_cmp_gt_u32_e32 vcc, 8, v35
	v_sub_u32_e32 v12, 29, v33
	v_and_b32_e32 v22, 7, v22
	v_cndmask_b32_e32 v12, v32, v12, vcc
	v_cndmask_b32_e32 v14, v14, v22, vcc
	v_lshlrev_b32_e32 v22, 16, v54
	v_lshlrev_b32_e32 v14, 20, v14
	v_and_b32_e32 v22, 0x80000000, v22
	v_lshl_add_u32 v12, v12, 23, v5
	v_or3_b32 v14, v22, v12, v14
.LBB4_3775:                             ;   in Loop: Header=BB4_2583 Depth=4
	s_or_b64 exec, exec, s[34:35]
.LBB4_3776:                             ;   in Loop: Header=BB4_2583 Depth=4
	s_or_b64 exec, exec, s[30:31]
.LBB4_3777:                             ;   in Loop: Header=BB4_2583 Depth=4
	s_or_b64 exec, exec, s[28:29]
	v_lshrrev_b16_e32 v12, 8, v8
	v_cmp_ne_u16_e32 vcc, 0, v12
	s_and_saveexec_b64 s[28:29], vcc
	s_cbranch_execz .LBB4_3783
; %bb.3778:                             ;   in Loop: Header=BB4_2583 Depth=4
	v_cmp_ne_u16_e32 vcc, s70, v12
	v_bfrev_b32_e32 v13, 1
	s_and_saveexec_b64 s[30:31], vcc
	s_cbranch_execz .LBB4_3782
; %bb.3779:                             ;   in Loop: Header=BB4_2583 Depth=4
	v_and_b32_e32 v35, 0x7f, v12
	v_cmp_ne_u32_e32 vcc, s68, v35
	v_mov_b32_e32 v13, 0x7f800001
	s_and_saveexec_b64 s[34:35], vcc
	s_cbranch_execz .LBB4_3781
; %bb.3780:                             ;   in Loop: Header=BB4_2583 Depth=4
	v_and_b32_e32 v22, 7, v12
	v_ffbh_u32_e32 v13, v22
	v_min_u32_e32 v32, 32, v13
	v_subrev_u32_e32 v13, 28, v32
	v_lshlrev_b64 v[12:13], v13, v[12:13]
	v_lshrrev_b32_e32 v23, 3, v35
	v_cmp_gt_u32_e32 vcc, 8, v35
	v_sub_u32_e32 v13, 29, v32
	v_and_b32_e32 v12, 7, v12
	v_cndmask_b32_e32 v13, v23, v13, vcc
	v_cndmask_b32_e32 v12, v22, v12, vcc
	v_lshlrev_b32_e32 v22, 16, v8
	v_lshlrev_b32_e32 v12, 20, v12
	v_and_b32_e32 v22, 0x80000000, v22
	v_lshl_add_u32 v13, v13, 23, v5
	v_or3_b32 v13, v22, v13, v12
.LBB4_3781:                             ;   in Loop: Header=BB4_2583 Depth=4
	s_or_b64 exec, exec, s[34:35]
.LBB4_3782:                             ;   in Loop: Header=BB4_2583 Depth=4
	s_or_b64 exec, exec, s[30:31]
.LBB4_3783:                             ;   in Loop: Header=BB4_2583 Depth=4
	s_or_b64 exec, exec, s[28:29]
	v_add_f32_e32 v12, v14, v13
	v_and_b32_e32 v13, 0x7f800000, v12
	v_mov_b32_e32 v14, v3
	v_cmp_ne_u64_e32 vcc, s[62:63], v[13:14]
                                        ; implicit-def: $vgpr35
	s_and_saveexec_b64 s[28:29], vcc
	s_xor_b64 s[30:31], exec, s[28:29]
	s_cbranch_execz .LBB4_3797
; %bb.3784:                             ;   in Loop: Header=BB4_2583 Depth=4
	v_and_b32_e32 v13, 0x7fffffff, v12
	v_mov_b32_e32 v14, v3
	v_cmp_gt_u64_e32 vcc, s[72:73], v[13:14]
	v_and_b32_sdwa v54, v12, s70 dst_sel:DWORD dst_unused:UNUSED_PAD src0_sel:BYTE_3 src1_sel:DWORD
                                        ; implicit-def: $vgpr35
	s_and_saveexec_b64 s[28:29], vcc
	s_xor_b64 s[34:35], exec, s[28:29]
	s_cbranch_execz .LBB4_3794
; %bb.3785:                             ;   in Loop: Header=BB4_2583 Depth=4
	v_mov_b32_e32 v35, 0
	v_cmp_ne_u32_e32 vcc, 0, v12
	s_and_saveexec_b64 s[36:37], vcc
	s_cbranch_execz .LBB4_3793
; %bb.3786:                             ;   in Loop: Header=BB4_2583 Depth=4
	v_bfe_u32 v35, v12, 23, 8
	v_and_b32_e32 v13, 0x7fffff, v12
	v_cmp_gt_u32_e64 s[28:29], s71, v35
	v_sub_u32_e32 v12, 0x79, v35
	v_cmp_eq_u32_e32 vcc, 0, v35
	v_cndmask_b32_e64 v12, 0, v12, s[28:29]
	v_mov_b32_e32 v22, 0x78
	v_or_b32_e32 v14, 0x800000, v13
	v_cndmask_b32_e32 v55, v12, v22, vcc
	v_cndmask_b32_e32 v12, v14, v13, vcc
	v_add_u32_e32 v14, 20, v55
	v_lshlrev_b64 v[22:23], v14, -1
	v_mov_b32_e32 v13, v3
	v_add_u32_e32 v14, 19, v55
	v_bfi_b32 v22, v22, 0, v12
	v_lshlrev_b64 v[32:33], v14, 1
	v_lshrrev_b64 v[12:13], v55, v[12:13]
	v_bfi_b32 v23, v23, 0, 0
	v_cmp_eq_u64_e64 s[28:29], v[22:23], v[32:33]
	v_mov_b32_e32 v14, v13
	v_mov_b32_e32 v13, v12
	s_and_saveexec_b64 s[38:39], s[28:29]
; %bb.3787:                             ;   in Loop: Header=BB4_2583 Depth=4
	v_bfe_u32 v13, v12, 20, 1
	v_add_co_u32_e64 v13, s[28:29], v12, v13
	v_add_co_u32_e64 v13, s[28:29], -1, v13
; %bb.3788:                             ;   in Loop: Header=BB4_2583 Depth=4
	s_or_b64 exec, exec, s[38:39]
	v_add_u32_e32 v14, 0xffffff81, v35
	v_mov_b32_e32 v22, 0xffffff82
	v_cndmask_b32_e32 v14, v14, v22, vcc
	v_lshrrev_b32_e32 v22, 23, v12
	v_add3_u32 v55, v55, v14, v22
	v_add_u32_e32 v35, 6, v55
	v_and_b32_e32 v13, 0xfffff, v13
	v_add_u32_e32 v12, v13, v12
	v_mov_b32_e32 v13, v3
	v_cmp_ne_u32_e32 vcc, 0, v35
                                        ; implicit-def: $vgpr14
	s_and_saveexec_b64 s[28:29], vcc
	s_xor_b64 s[28:29], exec, s[28:29]
; %bb.3789:                             ;   in Loop: Header=BB4_2583 Depth=4
	v_cmp_lt_u64_e32 vcc, s[74:75], v[12:13]
	v_add_u32_e32 v14, 7, v55
	v_cndmask_b32_e64 v22, 0, 1, vcc
	v_lshrrev_b64 v[12:13], v22, v[12:13]
	v_cndmask_b32_e32 v14, v35, v14, vcc
; %bb.3790:                             ;   in Loop: Header=BB4_2583 Depth=4
	s_andn2_saveexec_b64 s[28:29], s[28:29]
; %bb.3791:                             ;   in Loop: Header=BB4_2583 Depth=4
	v_bfe_u32 v14, v12, 23, 1
; %bb.3792:                             ;   in Loop: Header=BB4_2583 Depth=4
	s_or_b64 exec, exec, s[28:29]
	v_lshrrev_b64 v[12:13], 20, v[12:13]
	v_cmp_gt_i32_e32 vcc, 16, v14
	v_cndmask_b32_e32 v13, 0, v13, vcc
	v_cndmask_b32_e32 v12, 7, v12, vcc
	v_cmp_eq_u64_e64 s[28:29], 0, v[12:13]
	v_min_i32_e32 v13, 15, v14
	v_lshlrev_b32_e32 v13, 3, v13
	v_cmp_eq_u32_e32 vcc, 0, v14
	v_and_b32_e32 v13, 0xf8, v13
	v_and_or_b32 v12, v12, 7, v13
	s_and_b64 s[28:29], vcc, s[28:29]
	v_cndmask_b32_e64 v12, v12, 0, s[28:29]
	v_or_b32_e32 v35, v12, v54
.LBB4_3793:                             ;   in Loop: Header=BB4_2583 Depth=4
	s_or_b64 exec, exec, s[36:37]
                                        ; implicit-def: $vgpr54
.LBB4_3794:                             ;   in Loop: Header=BB4_2583 Depth=4
	s_andn2_saveexec_b64 s[28:29], s[34:35]
; %bb.3795:                             ;   in Loop: Header=BB4_2583 Depth=4
	v_or_b32_e32 v35, 0x7e, v54
; %bb.3796:                             ;   in Loop: Header=BB4_2583 Depth=4
	s_or_b64 exec, exec, s[28:29]
                                        ; implicit-def: $vgpr12
.LBB4_3797:                             ;   in Loop: Header=BB4_2583 Depth=4
	s_andn2_saveexec_b64 s[28:29], s[30:31]
; %bb.3798:                             ;   in Loop: Header=BB4_2583 Depth=4
	v_or_b32_sdwa v35, v12, s68 dst_sel:DWORD dst_unused:UNUSED_PAD src0_sel:BYTE_3 src1_sel:DWORD
; %bb.3799:                             ;   in Loop: Header=BB4_2583 Depth=4
	s_or_b64 exec, exec, s[28:29]
	v_lshrrev_b32_e32 v12, 16, v2
	v_cmp_ne_u16_sdwa vcc, v12, v3 src0_sel:BYTE_0 src1_sel:DWORD
	v_mov_b32_e32 v13, 0
	v_mov_b32_e32 v14, 0
	s_and_saveexec_b64 s[28:29], vcc
	s_cbranch_execz .LBB4_3805
; %bb.3800:                             ;   in Loop: Header=BB4_2583 Depth=4
	v_cmp_ne_u16_sdwa vcc, v12, s70 src0_sel:BYTE_0 src1_sel:DWORD
	v_bfrev_b32_e32 v14, 1
	s_and_saveexec_b64 s[30:31], vcc
	s_cbranch_execz .LBB4_3804
; %bb.3801:                             ;   in Loop: Header=BB4_2583 Depth=4
	v_bfe_u32 v54, v2, 16, 7
	v_cmp_ne_u32_e32 vcc, s68, v54
	v_mov_b32_e32 v14, 0x7f800001
	s_and_saveexec_b64 s[34:35], vcc
	s_cbranch_execz .LBB4_3803
; %bb.3802:                             ;   in Loop: Header=BB4_2583 Depth=4
	v_and_b32_e32 v14, 7, v12
	v_ffbh_u32_e32 v22, v14
	v_min_u32_e32 v33, 32, v22
	v_subrev_u32_e32 v22, 28, v33
	v_lshlrev_b64 v[22:23], v22, v[12:13]
	v_lshrrev_b32_e32 v32, 3, v54
	v_cmp_gt_u32_e32 vcc, 8, v54
	v_sub_u32_e32 v23, 29, v33
	v_and_b32_e32 v22, 7, v22
	v_cndmask_b32_e32 v23, v32, v23, vcc
	v_cndmask_b32_e32 v14, v14, v22, vcc
	v_lshlrev_b32_e32 v12, 24, v12
	v_lshlrev_b32_e32 v14, 20, v14
	v_and_b32_e32 v12, 0x80000000, v12
	v_lshl_add_u32 v22, v23, 23, v5
	v_or3_b32 v14, v12, v22, v14
.LBB4_3803:                             ;   in Loop: Header=BB4_2583 Depth=4
	s_or_b64 exec, exec, s[34:35]
.LBB4_3804:                             ;   in Loop: Header=BB4_2583 Depth=4
	s_or_b64 exec, exec, s[30:31]
.LBB4_3805:                             ;   in Loop: Header=BB4_2583 Depth=4
	s_or_b64 exec, exec, s[28:29]
	v_lshrrev_b32_e32 v12, 16, v8
	v_cmp_ne_u16_sdwa vcc, v12, v3 src0_sel:BYTE_0 src1_sel:DWORD
	s_and_saveexec_b64 s[28:29], vcc
	s_cbranch_execz .LBB4_3811
; %bb.3806:                             ;   in Loop: Header=BB4_2583 Depth=4
	v_cmp_ne_u16_sdwa vcc, v12, s70 src0_sel:BYTE_0 src1_sel:DWORD
	v_bfrev_b32_e32 v13, 1
	s_and_saveexec_b64 s[30:31], vcc
	s_cbranch_execz .LBB4_3810
; %bb.3807:                             ;   in Loop: Header=BB4_2583 Depth=4
	v_bfe_u32 v54, v8, 16, 7
	v_cmp_ne_u32_e32 vcc, s68, v54
	v_mov_b32_e32 v13, 0x7f800001
	s_and_saveexec_b64 s[34:35], vcc
	s_cbranch_execz .LBB4_3809
; %bb.3808:                             ;   in Loop: Header=BB4_2583 Depth=4
	v_and_b32_e32 v22, 7, v12
	v_ffbh_u32_e32 v13, v22
	v_min_u32_e32 v32, 32, v13
	v_subrev_u32_e32 v13, 28, v32
	v_lshlrev_b64 v[12:13], v13, v[12:13]
	v_lshrrev_b32_e32 v23, 3, v54
	v_cmp_gt_u32_e32 vcc, 8, v54
	v_sub_u32_e32 v13, 29, v32
	v_and_b32_e32 v12, 7, v12
	v_cndmask_b32_e32 v13, v23, v13, vcc
	v_cndmask_b32_e32 v12, v22, v12, vcc
	v_lshlrev_b32_e32 v22, 8, v8
	v_lshlrev_b32_e32 v12, 20, v12
	v_and_b32_e32 v22, 0x80000000, v22
	v_lshl_add_u32 v13, v13, 23, v5
	v_or3_b32 v13, v22, v13, v12
.LBB4_3809:                             ;   in Loop: Header=BB4_2583 Depth=4
	s_or_b64 exec, exec, s[34:35]
.LBB4_3810:                             ;   in Loop: Header=BB4_2583 Depth=4
	s_or_b64 exec, exec, s[30:31]
.LBB4_3811:                             ;   in Loop: Header=BB4_2583 Depth=4
	s_or_b64 exec, exec, s[28:29]
	v_add_f32_e32 v12, v14, v13
	v_and_b32_e32 v13, 0x7f800000, v12
	v_mov_b32_e32 v14, v3
	v_cmp_ne_u64_e32 vcc, s[62:63], v[13:14]
                                        ; implicit-def: $vgpr54
	s_and_saveexec_b64 s[28:29], vcc
	s_xor_b64 s[30:31], exec, s[28:29]
	s_cbranch_execz .LBB4_3825
; %bb.3812:                             ;   in Loop: Header=BB4_2583 Depth=4
	v_and_b32_e32 v13, 0x7fffffff, v12
	v_mov_b32_e32 v14, v3
	v_cmp_gt_u64_e32 vcc, s[72:73], v[13:14]
	v_and_b32_sdwa v55, v12, s70 dst_sel:DWORD dst_unused:UNUSED_PAD src0_sel:BYTE_3 src1_sel:DWORD
                                        ; implicit-def: $vgpr54
	s_and_saveexec_b64 s[28:29], vcc
	s_xor_b64 s[34:35], exec, s[28:29]
	s_cbranch_execz .LBB4_3822
; %bb.3813:                             ;   in Loop: Header=BB4_2583 Depth=4
	v_mov_b32_e32 v54, 0
	v_cmp_ne_u32_e32 vcc, 0, v12
	s_and_saveexec_b64 s[36:37], vcc
	s_cbranch_execz .LBB4_3821
; %bb.3814:                             ;   in Loop: Header=BB4_2583 Depth=4
	v_bfe_u32 v54, v12, 23, 8
	v_and_b32_e32 v13, 0x7fffff, v12
	v_cmp_gt_u32_e64 s[28:29], s71, v54
	v_sub_u32_e32 v12, 0x79, v54
	v_cmp_eq_u32_e32 vcc, 0, v54
	v_cndmask_b32_e64 v12, 0, v12, s[28:29]
	v_mov_b32_e32 v22, 0x78
	v_or_b32_e32 v14, 0x800000, v13
	v_cndmask_b32_e32 v40, v12, v22, vcc
	v_cndmask_b32_e32 v12, v14, v13, vcc
	v_add_u32_e32 v14, 20, v40
	v_lshlrev_b64 v[22:23], v14, -1
	v_mov_b32_e32 v13, v3
	v_add_u32_e32 v14, 19, v40
	v_bfi_b32 v22, v22, 0, v12
	v_lshlrev_b64 v[32:33], v14, 1
	v_lshrrev_b64 v[12:13], v40, v[12:13]
	v_bfi_b32 v23, v23, 0, 0
	v_cmp_eq_u64_e64 s[28:29], v[22:23], v[32:33]
	v_mov_b32_e32 v14, v13
	v_mov_b32_e32 v13, v12
	s_and_saveexec_b64 s[38:39], s[28:29]
; %bb.3815:                             ;   in Loop: Header=BB4_2583 Depth=4
	v_bfe_u32 v13, v12, 20, 1
	v_add_co_u32_e64 v13, s[28:29], v12, v13
	v_add_co_u32_e64 v13, s[28:29], -1, v13
; %bb.3816:                             ;   in Loop: Header=BB4_2583 Depth=4
	s_or_b64 exec, exec, s[38:39]
	v_add_u32_e32 v14, 0xffffff81, v54
	v_mov_b32_e32 v22, 0xffffff82
	v_cndmask_b32_e32 v14, v14, v22, vcc
	v_lshrrev_b32_e32 v22, 23, v12
	v_add3_u32 v40, v40, v14, v22
	v_add_u32_e32 v54, 6, v40
	v_and_b32_e32 v13, 0xfffff, v13
	v_add_u32_e32 v12, v13, v12
	v_mov_b32_e32 v13, v3
	v_cmp_ne_u32_e32 vcc, 0, v54
                                        ; implicit-def: $vgpr14
	s_and_saveexec_b64 s[28:29], vcc
	s_xor_b64 s[28:29], exec, s[28:29]
; %bb.3817:                             ;   in Loop: Header=BB4_2583 Depth=4
	v_cmp_lt_u64_e32 vcc, s[74:75], v[12:13]
	v_add_u32_e32 v14, 7, v40
	v_cndmask_b32_e64 v22, 0, 1, vcc
	v_lshrrev_b64 v[12:13], v22, v[12:13]
	v_cndmask_b32_e32 v14, v54, v14, vcc
; %bb.3818:                             ;   in Loop: Header=BB4_2583 Depth=4
	s_andn2_saveexec_b64 s[28:29], s[28:29]
; %bb.3819:                             ;   in Loop: Header=BB4_2583 Depth=4
	v_bfe_u32 v14, v12, 23, 1
; %bb.3820:                             ;   in Loop: Header=BB4_2583 Depth=4
	s_or_b64 exec, exec, s[28:29]
	v_lshrrev_b64 v[12:13], 20, v[12:13]
	v_cmp_gt_i32_e32 vcc, 16, v14
	v_cndmask_b32_e32 v13, 0, v13, vcc
	v_cndmask_b32_e32 v12, 7, v12, vcc
	v_cmp_eq_u64_e64 s[28:29], 0, v[12:13]
	v_min_i32_e32 v13, 15, v14
	v_lshlrev_b32_e32 v13, 3, v13
	v_cmp_eq_u32_e32 vcc, 0, v14
	v_and_b32_e32 v13, 0xf8, v13
	v_and_or_b32 v12, v12, 7, v13
	s_and_b64 s[28:29], vcc, s[28:29]
	v_cndmask_b32_e64 v12, v12, 0, s[28:29]
	v_or_b32_e32 v54, v12, v55
.LBB4_3821:                             ;   in Loop: Header=BB4_2583 Depth=4
	s_or_b64 exec, exec, s[36:37]
                                        ; implicit-def: $vgpr55
.LBB4_3822:                             ;   in Loop: Header=BB4_2583 Depth=4
	s_andn2_saveexec_b64 s[28:29], s[34:35]
; %bb.3823:                             ;   in Loop: Header=BB4_2583 Depth=4
	v_or_b32_e32 v54, 0x7e, v55
; %bb.3824:                             ;   in Loop: Header=BB4_2583 Depth=4
	s_or_b64 exec, exec, s[28:29]
                                        ; implicit-def: $vgpr12
.LBB4_3825:                             ;   in Loop: Header=BB4_2583 Depth=4
	s_andn2_saveexec_b64 s[28:29], s[30:31]
; %bb.3826:                             ;   in Loop: Header=BB4_2583 Depth=4
	v_or_b32_sdwa v54, v12, s68 dst_sel:DWORD dst_unused:UNUSED_PAD src0_sel:BYTE_3 src1_sel:DWORD
; %bb.3827:                             ;   in Loop: Header=BB4_2583 Depth=4
	s_or_b64 exec, exec, s[28:29]
	v_cmp_lt_u32_e32 vcc, s57, v2
	v_mov_b32_e32 v13, 0
	v_mov_b32_e32 v14, 0
	s_and_saveexec_b64 s[28:29], vcc
	s_cbranch_execz .LBB4_3833
; %bb.3828:                             ;   in Loop: Header=BB4_2583 Depth=4
	v_lshrrev_b32_e32 v12, 24, v2
	v_cmp_ne_u32_sdwa vcc, v2, s70 src0_sel:BYTE_3 src1_sel:DWORD
	v_bfrev_b32_e32 v14, 1
	s_and_saveexec_b64 s[30:31], vcc
	s_cbranch_execz .LBB4_3832
; %bb.3829:                             ;   in Loop: Header=BB4_2583 Depth=4
	v_bfe_u32 v55, v2, 24, 7
	v_cmp_ne_u32_e32 vcc, s68, v55
	v_mov_b32_e32 v14, 0x7f800001
	s_and_saveexec_b64 s[34:35], vcc
	s_cbranch_execz .LBB4_3831
; %bb.3830:                             ;   in Loop: Header=BB4_2583 Depth=4
	v_and_b32_e32 v14, 7, v12
	v_ffbh_u32_e32 v22, v14
	v_min_u32_e32 v33, 32, v22
	v_subrev_u32_e32 v22, 28, v33
	v_lshlrev_b64 v[22:23], v22, v[12:13]
	v_cmp_gt_u32_e32 vcc, 8, v55
	v_and_b32_e32 v22, 7, v22
	v_lshrrev_b32_e32 v32, 3, v55
	v_sub_u32_e32 v12, 29, v33
	v_cndmask_b32_e32 v14, v14, v22, vcc
	v_mov_b32_e32 v22, 24
	v_cndmask_b32_e32 v12, v32, v12, vcc
	v_lshlrev_b32_sdwa v2, v22, v2 dst_sel:DWORD dst_unused:UNUSED_PAD src0_sel:DWORD src1_sel:BYTE_3
	v_lshlrev_b32_e32 v14, 20, v14
	v_and_b32_e32 v2, 0x80000000, v2
	v_lshl_add_u32 v12, v12, 23, v5
	v_or3_b32 v14, v2, v12, v14
.LBB4_3831:                             ;   in Loop: Header=BB4_2583 Depth=4
	s_or_b64 exec, exec, s[34:35]
.LBB4_3832:                             ;   in Loop: Header=BB4_2583 Depth=4
	s_or_b64 exec, exec, s[30:31]
.LBB4_3833:                             ;   in Loop: Header=BB4_2583 Depth=4
	s_or_b64 exec, exec, s[28:29]
	v_cmp_lt_u32_e32 vcc, s57, v8
	s_and_saveexec_b64 s[28:29], vcc
	s_cbranch_execz .LBB4_3839
; %bb.3834:                             ;   in Loop: Header=BB4_2583 Depth=4
	v_lshrrev_b32_e32 v2, 24, v8
	v_cmp_ne_u32_e32 vcc, s70, v2
	v_bfrev_b32_e32 v13, 1
	s_and_saveexec_b64 s[30:31], vcc
	s_cbranch_execz .LBB4_3838
; %bb.3835:                             ;   in Loop: Header=BB4_2583 Depth=4
	v_bfe_u32 v12, v8, 24, 7
	v_cmp_ne_u32_e32 vcc, s68, v12
	v_mov_b32_e32 v13, 0x7f800001
	s_and_saveexec_b64 s[34:35], vcc
	s_cbranch_execz .LBB4_3837
; %bb.3836:                             ;   in Loop: Header=BB4_2583 Depth=4
	v_and_b32_e32 v22, 7, v2
	v_lshrrev_b32_e32 v23, 3, v12
	v_cmp_gt_u32_e32 vcc, 8, v12
	v_ffbh_u32_e32 v12, v22
	v_min_u32_e32 v32, 32, v12
	v_subrev_u32_e32 v12, 28, v32
	v_lshlrev_b64 v[12:13], v12, v[2:3]
	v_sub_u32_e32 v13, 29, v32
	v_and_b32_e32 v12, 7, v12
	v_cndmask_b32_e32 v13, v23, v13, vcc
	v_cndmask_b32_e32 v12, v22, v12, vcc
	v_lshlrev_b32_e32 v2, 24, v2
	v_lshlrev_b32_e32 v12, 20, v12
	v_and_b32_e32 v2, 0x80000000, v2
	v_lshl_add_u32 v13, v13, 23, v5
	v_or3_b32 v13, v2, v13, v12
.LBB4_3837:                             ;   in Loop: Header=BB4_2583 Depth=4
	s_or_b64 exec, exec, s[34:35]
.LBB4_3838:                             ;   in Loop: Header=BB4_2583 Depth=4
	s_or_b64 exec, exec, s[30:31]
.LBB4_3839:                             ;   in Loop: Header=BB4_2583 Depth=4
	s_or_b64 exec, exec, s[28:29]
	v_add_f32_e32 v12, v14, v13
	v_and_b32_e32 v2, 0x7f800000, v12
	v_cmp_ne_u64_e32 vcc, s[62:63], v[2:3]
                                        ; implicit-def: $vgpr55
	s_and_saveexec_b64 s[28:29], vcc
	s_xor_b64 s[30:31], exec, s[28:29]
	s_cbranch_execz .LBB4_3853
; %bb.3840:                             ;   in Loop: Header=BB4_2583 Depth=4
	v_and_b32_e32 v2, 0x7fffffff, v12
	v_cmp_gt_u64_e32 vcc, s[72:73], v[2:3]
	v_and_b32_sdwa v40, v12, s70 dst_sel:DWORD dst_unused:UNUSED_PAD src0_sel:BYTE_3 src1_sel:DWORD
                                        ; implicit-def: $vgpr55
	s_and_saveexec_b64 s[28:29], vcc
	s_xor_b64 s[34:35], exec, s[28:29]
	s_cbranch_execz .LBB4_3850
; %bb.3841:                             ;   in Loop: Header=BB4_2583 Depth=4
	v_mov_b32_e32 v55, 0
	v_cmp_ne_u32_e32 vcc, 0, v12
	s_and_saveexec_b64 s[36:37], vcc
	s_cbranch_execz .LBB4_3849
; %bb.3842:                             ;   in Loop: Header=BB4_2583 Depth=4
	v_bfe_u32 v55, v12, 23, 8
	v_and_b32_e32 v2, 0x7fffff, v12
	v_cmp_gt_u32_e64 s[28:29], s71, v55
	v_sub_u32_e32 v12, 0x79, v55
	v_cmp_eq_u32_e32 vcc, 0, v55
	v_cndmask_b32_e64 v12, 0, v12, s[28:29]
	v_mov_b32_e32 v14, 0x78
	v_cndmask_b32_e32 v41, v12, v14, vcc
	v_or_b32_e32 v13, 0x800000, v2
	v_add_u32_e32 v12, 20, v41
	v_cndmask_b32_e32 v2, v13, v2, vcc
	v_lshlrev_b64 v[12:13], v12, -1
	v_add_u32_e32 v14, 19, v41
	v_lshlrev_b64 v[22:23], v14, 1
	v_bfi_b32 v13, v13, 0, 0
	v_bfi_b32 v12, v12, 0, v2
	v_cmp_eq_u64_e64 s[28:29], v[12:13], v[22:23]
	v_lshrrev_b64 v[12:13], v41, v[2:3]
	v_mov_b32_e32 v14, v13
	v_mov_b32_e32 v13, v12
	s_and_saveexec_b64 s[38:39], s[28:29]
; %bb.3843:                             ;   in Loop: Header=BB4_2583 Depth=4
	v_bfe_u32 v2, v12, 20, 1
	v_add_co_u32_e64 v2, s[28:29], v12, v2
	v_add_co_u32_e64 v13, s[28:29], -1, v2
; %bb.3844:                             ;   in Loop: Header=BB4_2583 Depth=4
	s_or_b64 exec, exec, s[38:39]
	v_add_u32_e32 v2, 0xffffff81, v55
	v_mov_b32_e32 v14, 0xffffff82
	v_cndmask_b32_e32 v2, v2, v14, vcc
	v_lshrrev_b32_e32 v14, 23, v12
	v_add3_u32 v41, v41, v2, v14
	v_add_u32_e32 v55, 6, v41
	v_and_b32_e32 v2, 0xfffff, v13
	v_add_u32_e32 v2, v2, v12
	v_cmp_ne_u32_e32 vcc, 0, v55
                                        ; implicit-def: $vgpr12_vgpr13
                                        ; implicit-def: $vgpr14
	s_and_saveexec_b64 s[28:29], vcc
	s_xor_b64 s[28:29], exec, s[28:29]
; %bb.3845:                             ;   in Loop: Header=BB4_2583 Depth=4
	v_cmp_lt_u64_e32 vcc, s[74:75], v[2:3]
	v_add_u32_e32 v12, 7, v41
	v_cndmask_b32_e32 v14, v55, v12, vcc
	v_cndmask_b32_e64 v12, 0, 1, vcc
	v_lshrrev_b64 v[12:13], v12, v[2:3]
; %bb.3846:                             ;   in Loop: Header=BB4_2583 Depth=4
	s_andn2_saveexec_b64 s[28:29], s[28:29]
; %bb.3847:                             ;   in Loop: Header=BB4_2583 Depth=4
	v_mov_b32_e32 v13, v3
	v_bfe_u32 v14, v2, 23, 1
	v_mov_b32_e32 v12, v2
; %bb.3848:                             ;   in Loop: Header=BB4_2583 Depth=4
	s_or_b64 exec, exec, s[28:29]
	v_lshrrev_b64 v[12:13], 20, v[12:13]
	v_cmp_gt_i32_e32 vcc, 16, v14
	v_cndmask_b32_e32 v13, 0, v13, vcc
	v_cndmask_b32_e32 v12, 7, v12, vcc
	v_min_i32_e32 v2, 15, v14
	v_cmp_eq_u64_e64 s[28:29], 0, v[12:13]
	v_lshlrev_b32_e32 v2, 3, v2
	v_cmp_eq_u32_e32 vcc, 0, v14
	v_and_b32_e32 v2, 0xf8, v2
	v_and_or_b32 v2, v12, 7, v2
	s_and_b64 s[28:29], vcc, s[28:29]
	v_cndmask_b32_e64 v2, v2, 0, s[28:29]
	v_or_b32_e32 v55, v2, v40
.LBB4_3849:                             ;   in Loop: Header=BB4_2583 Depth=4
	s_or_b64 exec, exec, s[36:37]
                                        ; implicit-def: $vgpr40
.LBB4_3850:                             ;   in Loop: Header=BB4_2583 Depth=4
	s_andn2_saveexec_b64 s[28:29], s[34:35]
; %bb.3851:                             ;   in Loop: Header=BB4_2583 Depth=4
	v_or_b32_e32 v55, 0x7e, v40
; %bb.3852:                             ;   in Loop: Header=BB4_2583 Depth=4
	s_or_b64 exec, exec, s[28:29]
                                        ; implicit-def: $vgpr12
.LBB4_3853:                             ;   in Loop: Header=BB4_2583 Depth=4
	s_andn2_saveexec_b64 s[28:29], s[30:31]
; %bb.3854:                             ;   in Loop: Header=BB4_2583 Depth=4
	v_or_b32_sdwa v55, v12, s68 dst_sel:DWORD dst_unused:UNUSED_PAD src0_sel:BYTE_3 src1_sel:DWORD
; %bb.3855:                             ;   in Loop: Header=BB4_2583 Depth=4
	s_or_b64 exec, exec, s[28:29]
	v_lshl_or_b32 v39, v39, 8, v20
	v_lshlrev_b32_e32 v2, 16, v50
	v_lshlrev_b32_e32 v12, 24, v38
	v_or3_b32 v2, v2, v12, v39
	v_cmp_ne_u32_e32 vcc, 0, v20
	v_mov_b32_e32 v13, 0
	v_mov_b32_e32 v12, 0
	s_and_saveexec_b64 s[28:29], vcc
	s_cbranch_execz .LBB4_3861
; %bb.3856:                             ;   in Loop: Header=BB4_2583 Depth=4
	v_cmp_ne_u32_e32 vcc, s70, v20
	v_bfrev_b32_e32 v12, 1
	s_and_saveexec_b64 s[30:31], vcc
	s_cbranch_execz .LBB4_3860
; %bb.3857:                             ;   in Loop: Header=BB4_2583 Depth=4
	v_and_b32_e32 v14, 0x7f, v20
	v_cmp_ne_u32_e32 vcc, s68, v14
	v_mov_b32_e32 v12, 0x7f800001
	s_and_saveexec_b64 s[34:35], vcc
	s_cbranch_execz .LBB4_3859
; %bb.3858:                             ;   in Loop: Header=BB4_2583 Depth=4
	v_and_b32_e32 v12, 7, v20
	v_ffbh_u32_e32 v12, v12
	v_min_u32_e32 v12, 32, v12
	v_lshrrev_b32_e32 v20, 3, v14
	v_cmp_gt_u32_e32 vcc, 8, v14
	v_subrev_u32_e32 v14, 28, v12
	v_cndmask_b32_e32 v14, 0, v14, vcc
	v_lshlrev_b64 v[22:23], v14, v[2:3]
	v_sub_u32_e32 v12, 29, v12
	v_cndmask_b32_e32 v12, v20, v12, vcc
	v_lshlrev_b32_e32 v14, 20, v22
	v_lshlrev_b32_e32 v20, 24, v2
	v_and_b32_e32 v14, 0x700000, v14
	v_and_b32_e32 v20, 0x80000000, v20
	v_lshl_add_u32 v12, v12, 23, v5
	v_or3_b32 v12, v20, v12, v14
.LBB4_3859:                             ;   in Loop: Header=BB4_2583 Depth=4
	s_or_b64 exec, exec, s[34:35]
.LBB4_3860:                             ;   in Loop: Header=BB4_2583 Depth=4
	s_or_b64 exec, exec, s[30:31]
.LBB4_3861:                             ;   in Loop: Header=BB4_2583 Depth=4
	s_or_b64 exec, exec, s[28:29]
	v_cmp_ne_u16_sdwa vcc, v9, v3 src0_sel:BYTE_0 src1_sel:DWORD
	s_and_saveexec_b64 s[28:29], vcc
	s_cbranch_execz .LBB4_3867
; %bb.3862:                             ;   in Loop: Header=BB4_2583 Depth=4
	v_cmp_ne_u16_sdwa vcc, v9, s70 src0_sel:BYTE_0 src1_sel:DWORD
	v_bfrev_b32_e32 v13, 1
	s_and_saveexec_b64 s[30:31], vcc
	s_cbranch_execz .LBB4_3866
; %bb.3863:                             ;   in Loop: Header=BB4_2583 Depth=4
	v_and_b32_e32 v14, 0x7f, v9
	v_cmp_ne_u32_e32 vcc, s68, v14
	v_mov_b32_e32 v13, 0x7f800001
	s_and_saveexec_b64 s[34:35], vcc
	s_cbranch_execz .LBB4_3865
; %bb.3864:                             ;   in Loop: Header=BB4_2583 Depth=4
	v_and_b32_e32 v13, 7, v9
	v_ffbh_u32_e32 v13, v13
	v_min_u32_e32 v13, 32, v13
	v_lshrrev_b32_e32 v20, 3, v14
	v_cmp_gt_u32_e32 vcc, 8, v14
	v_subrev_u32_e32 v14, 28, v13
	v_sub_u32_e32 v13, 29, v13
	v_mov_b32_e32 v22, v9
	v_mov_b32_e32 v23, v3
	v_cndmask_b32_e32 v20, v20, v13, vcc
	v_cndmask_b32_e32 v13, 0, v14, vcc
	v_lshlrev_b64 v[13:14], v13, v[22:23]
	v_lshlrev_b32_e32 v14, 24, v22
	v_lshlrev_b32_e32 v13, 20, v13
	v_and_b32_e32 v13, 0x700000, v13
	v_and_b32_e32 v14, 0x80000000, v14
	v_lshl_add_u32 v20, v20, 23, v5
	v_or3_b32 v13, v14, v20, v13
.LBB4_3865:                             ;   in Loop: Header=BB4_2583 Depth=4
	s_or_b64 exec, exec, s[34:35]
.LBB4_3866:                             ;   in Loop: Header=BB4_2583 Depth=4
	s_or_b64 exec, exec, s[30:31]
.LBB4_3867:                             ;   in Loop: Header=BB4_2583 Depth=4
	s_or_b64 exec, exec, s[28:29]
	v_add_f32_e32 v12, v12, v13
	v_and_b32_e32 v13, 0x7f800000, v12
	v_mov_b32_e32 v14, v3
	v_cmp_ne_u64_e32 vcc, s[62:63], v[13:14]
                                        ; implicit-def: $vgpr20
	s_and_saveexec_b64 s[28:29], vcc
	s_xor_b64 s[30:31], exec, s[28:29]
	s_cbranch_execz .LBB4_3881
; %bb.3868:                             ;   in Loop: Header=BB4_2583 Depth=4
	v_and_b32_e32 v13, 0x7fffffff, v12
	v_mov_b32_e32 v14, v3
	v_cmp_gt_u64_e32 vcc, s[72:73], v[13:14]
	v_and_b32_sdwa v38, v12, s70 dst_sel:DWORD dst_unused:UNUSED_PAD src0_sel:BYTE_3 src1_sel:DWORD
                                        ; implicit-def: $vgpr20
	s_and_saveexec_b64 s[28:29], vcc
	s_xor_b64 s[34:35], exec, s[28:29]
	s_cbranch_execz .LBB4_3878
; %bb.3869:                             ;   in Loop: Header=BB4_2583 Depth=4
	v_mov_b32_e32 v20, 0
	v_cmp_ne_u32_e32 vcc, 0, v12
	s_and_saveexec_b64 s[36:37], vcc
	s_cbranch_execz .LBB4_3877
; %bb.3870:                             ;   in Loop: Header=BB4_2583 Depth=4
	v_bfe_u32 v20, v12, 23, 8
	v_and_b32_e32 v13, 0x7fffff, v12
	v_cmp_gt_u32_e64 s[28:29], s71, v20
	v_sub_u32_e32 v12, 0x79, v20
	v_cmp_eq_u32_e32 vcc, 0, v20
	v_cndmask_b32_e64 v12, 0, v12, s[28:29]
	v_mov_b32_e32 v22, 0x78
	v_or_b32_e32 v14, 0x800000, v13
	v_cndmask_b32_e32 v50, v12, v22, vcc
	v_cndmask_b32_e32 v12, v14, v13, vcc
	v_add_u32_e32 v14, 20, v50
	v_lshlrev_b64 v[22:23], v14, -1
	v_mov_b32_e32 v13, v3
	v_add_u32_e32 v14, 19, v50
	v_bfi_b32 v22, v22, 0, v12
	v_lshlrev_b64 v[32:33], v14, 1
	v_lshrrev_b64 v[12:13], v50, v[12:13]
	v_bfi_b32 v23, v23, 0, 0
	v_cmp_eq_u64_e64 s[28:29], v[22:23], v[32:33]
	v_mov_b32_e32 v14, v13
	v_mov_b32_e32 v13, v12
	s_and_saveexec_b64 s[38:39], s[28:29]
; %bb.3871:                             ;   in Loop: Header=BB4_2583 Depth=4
	v_bfe_u32 v13, v12, 20, 1
	v_add_co_u32_e64 v13, s[28:29], v12, v13
	v_add_co_u32_e64 v13, s[28:29], -1, v13
; %bb.3872:                             ;   in Loop: Header=BB4_2583 Depth=4
	s_or_b64 exec, exec, s[38:39]
	v_add_u32_e32 v14, 0xffffff81, v20
	v_mov_b32_e32 v20, 0xffffff82
	v_cndmask_b32_e32 v14, v14, v20, vcc
	v_lshrrev_b32_e32 v20, 23, v12
	v_add3_u32 v50, v50, v14, v20
	v_add_u32_e32 v20, 6, v50
	v_and_b32_e32 v13, 0xfffff, v13
	v_add_u32_e32 v12, v13, v12
	v_mov_b32_e32 v13, v3
	v_cmp_ne_u32_e32 vcc, 0, v20
                                        ; implicit-def: $vgpr14
	s_and_saveexec_b64 s[28:29], vcc
	s_xor_b64 s[28:29], exec, s[28:29]
; %bb.3873:                             ;   in Loop: Header=BB4_2583 Depth=4
	v_cmp_lt_u64_e32 vcc, s[74:75], v[12:13]
	v_add_u32_e32 v14, 7, v50
	v_cndmask_b32_e32 v14, v20, v14, vcc
	v_cndmask_b32_e64 v20, 0, 1, vcc
	v_lshrrev_b64 v[12:13], v20, v[12:13]
; %bb.3874:                             ;   in Loop: Header=BB4_2583 Depth=4
	s_andn2_saveexec_b64 s[28:29], s[28:29]
; %bb.3875:                             ;   in Loop: Header=BB4_2583 Depth=4
	v_bfe_u32 v14, v12, 23, 1
; %bb.3876:                             ;   in Loop: Header=BB4_2583 Depth=4
	s_or_b64 exec, exec, s[28:29]
	v_lshrrev_b64 v[12:13], 20, v[12:13]
	v_cmp_gt_i32_e32 vcc, 16, v14
	v_cndmask_b32_e32 v13, 0, v13, vcc
	v_cndmask_b32_e32 v12, 7, v12, vcc
	v_cmp_eq_u64_e64 s[28:29], 0, v[12:13]
	v_min_i32_e32 v13, 15, v14
	v_lshlrev_b32_e32 v13, 3, v13
	v_cmp_eq_u32_e32 vcc, 0, v14
	v_and_b32_e32 v13, 0xf8, v13
	v_and_or_b32 v12, v12, 7, v13
	s_and_b64 s[28:29], vcc, s[28:29]
	v_cndmask_b32_e64 v12, v12, 0, s[28:29]
	v_or_b32_e32 v20, v12, v38
.LBB4_3877:                             ;   in Loop: Header=BB4_2583 Depth=4
	s_or_b64 exec, exec, s[36:37]
                                        ; implicit-def: $vgpr38
.LBB4_3878:                             ;   in Loop: Header=BB4_2583 Depth=4
	s_andn2_saveexec_b64 s[28:29], s[34:35]
; %bb.3879:                             ;   in Loop: Header=BB4_2583 Depth=4
	v_or_b32_e32 v20, 0x7e, v38
; %bb.3880:                             ;   in Loop: Header=BB4_2583 Depth=4
	s_or_b64 exec, exec, s[28:29]
                                        ; implicit-def: $vgpr12
.LBB4_3881:                             ;   in Loop: Header=BB4_2583 Depth=4
	s_andn2_saveexec_b64 s[28:29], s[30:31]
; %bb.3882:                             ;   in Loop: Header=BB4_2583 Depth=4
	v_or_b32_sdwa v20, v12, s68 dst_sel:DWORD dst_unused:UNUSED_PAD src0_sel:BYTE_3 src1_sel:DWORD
; %bb.3883:                             ;   in Loop: Header=BB4_2583 Depth=4
	s_or_b64 exec, exec, s[28:29]
	v_lshrrev_b16_e32 v12, 8, v39
	v_cmp_ne_u16_e32 vcc, 0, v12
	v_mov_b32_e32 v13, 0
	v_mov_b32_e32 v14, 0
	s_and_saveexec_b64 s[28:29], vcc
	s_cbranch_execz .LBB4_3889
; %bb.3884:                             ;   in Loop: Header=BB4_2583 Depth=4
	v_cmp_ne_u16_e32 vcc, s70, v12
	v_bfrev_b32_e32 v14, 1
	s_and_saveexec_b64 s[30:31], vcc
	s_cbranch_execz .LBB4_3888
; %bb.3885:                             ;   in Loop: Header=BB4_2583 Depth=4
	v_and_b32_e32 v38, 0x7f, v12
	v_cmp_ne_u32_e32 vcc, s68, v38
	v_mov_b32_e32 v14, 0x7f800001
	s_and_saveexec_b64 s[34:35], vcc
	s_cbranch_execz .LBB4_3887
; %bb.3886:                             ;   in Loop: Header=BB4_2583 Depth=4
	v_and_b32_e32 v14, 7, v12
	v_ffbh_u32_e32 v22, v14
	v_min_u32_e32 v33, 32, v22
	v_subrev_u32_e32 v22, 28, v33
	v_lshlrev_b64 v[22:23], v22, v[12:13]
	v_lshrrev_b32_e32 v32, 3, v38
	v_cmp_gt_u32_e32 vcc, 8, v38
	v_sub_u32_e32 v12, 29, v33
	v_and_b32_e32 v22, 7, v22
	v_cndmask_b32_e32 v12, v32, v12, vcc
	v_cndmask_b32_e32 v14, v14, v22, vcc
	v_lshlrev_b32_e32 v22, 16, v39
	v_lshlrev_b32_e32 v14, 20, v14
	v_and_b32_e32 v22, 0x80000000, v22
	v_lshl_add_u32 v12, v12, 23, v5
	v_or3_b32 v14, v22, v12, v14
.LBB4_3887:                             ;   in Loop: Header=BB4_2583 Depth=4
	s_or_b64 exec, exec, s[34:35]
.LBB4_3888:                             ;   in Loop: Header=BB4_2583 Depth=4
	s_or_b64 exec, exec, s[30:31]
.LBB4_3889:                             ;   in Loop: Header=BB4_2583 Depth=4
	s_or_b64 exec, exec, s[28:29]
	v_lshrrev_b16_e32 v12, 8, v9
	v_cmp_ne_u16_e32 vcc, 0, v12
	s_and_saveexec_b64 s[28:29], vcc
	s_cbranch_execz .LBB4_3895
; %bb.3890:                             ;   in Loop: Header=BB4_2583 Depth=4
	v_cmp_ne_u16_e32 vcc, s70, v12
	v_bfrev_b32_e32 v13, 1
	s_and_saveexec_b64 s[30:31], vcc
	s_cbranch_execz .LBB4_3894
; %bb.3891:                             ;   in Loop: Header=BB4_2583 Depth=4
	v_and_b32_e32 v38, 0x7f, v12
	v_cmp_ne_u32_e32 vcc, s68, v38
	v_mov_b32_e32 v13, 0x7f800001
	s_and_saveexec_b64 s[34:35], vcc
	s_cbranch_execz .LBB4_3893
; %bb.3892:                             ;   in Loop: Header=BB4_2583 Depth=4
	v_and_b32_e32 v22, 7, v12
	v_ffbh_u32_e32 v13, v22
	v_min_u32_e32 v32, 32, v13
	v_subrev_u32_e32 v13, 28, v32
	v_lshlrev_b64 v[12:13], v13, v[12:13]
	v_lshrrev_b32_e32 v23, 3, v38
	v_cmp_gt_u32_e32 vcc, 8, v38
	v_sub_u32_e32 v13, 29, v32
	v_and_b32_e32 v12, 7, v12
	v_cndmask_b32_e32 v13, v23, v13, vcc
	v_cndmask_b32_e32 v12, v22, v12, vcc
	v_lshlrev_b32_e32 v22, 16, v9
	v_lshlrev_b32_e32 v12, 20, v12
	v_and_b32_e32 v22, 0x80000000, v22
	v_lshl_add_u32 v13, v13, 23, v5
	v_or3_b32 v13, v22, v13, v12
.LBB4_3893:                             ;   in Loop: Header=BB4_2583 Depth=4
	s_or_b64 exec, exec, s[34:35]
.LBB4_3894:                             ;   in Loop: Header=BB4_2583 Depth=4
	s_or_b64 exec, exec, s[30:31]
.LBB4_3895:                             ;   in Loop: Header=BB4_2583 Depth=4
	s_or_b64 exec, exec, s[28:29]
	v_add_f32_e32 v12, v14, v13
	v_and_b32_e32 v13, 0x7f800000, v12
	v_mov_b32_e32 v14, v3
	v_cmp_ne_u64_e32 vcc, s[62:63], v[13:14]
                                        ; implicit-def: $vgpr38
	s_and_saveexec_b64 s[28:29], vcc
	s_xor_b64 s[30:31], exec, s[28:29]
	s_cbranch_execz .LBB4_3909
; %bb.3896:                             ;   in Loop: Header=BB4_2583 Depth=4
	v_and_b32_e32 v13, 0x7fffffff, v12
	v_mov_b32_e32 v14, v3
	v_cmp_gt_u64_e32 vcc, s[72:73], v[13:14]
	v_and_b32_sdwa v39, v12, s70 dst_sel:DWORD dst_unused:UNUSED_PAD src0_sel:BYTE_3 src1_sel:DWORD
                                        ; implicit-def: $vgpr38
	s_and_saveexec_b64 s[28:29], vcc
	s_xor_b64 s[34:35], exec, s[28:29]
	s_cbranch_execz .LBB4_3906
; %bb.3897:                             ;   in Loop: Header=BB4_2583 Depth=4
	v_mov_b32_e32 v38, 0
	v_cmp_ne_u32_e32 vcc, 0, v12
	s_and_saveexec_b64 s[36:37], vcc
	s_cbranch_execz .LBB4_3905
; %bb.3898:                             ;   in Loop: Header=BB4_2583 Depth=4
	v_bfe_u32 v38, v12, 23, 8
	v_and_b32_e32 v13, 0x7fffff, v12
	v_cmp_gt_u32_e64 s[28:29], s71, v38
	v_sub_u32_e32 v12, 0x79, v38
	v_cmp_eq_u32_e32 vcc, 0, v38
	v_cndmask_b32_e64 v12, 0, v12, s[28:29]
	v_mov_b32_e32 v22, 0x78
	v_or_b32_e32 v14, 0x800000, v13
	v_cndmask_b32_e32 v50, v12, v22, vcc
	v_cndmask_b32_e32 v12, v14, v13, vcc
	v_add_u32_e32 v14, 20, v50
	v_lshlrev_b64 v[22:23], v14, -1
	v_mov_b32_e32 v13, v3
	v_add_u32_e32 v14, 19, v50
	v_bfi_b32 v22, v22, 0, v12
	v_lshlrev_b64 v[32:33], v14, 1
	v_lshrrev_b64 v[12:13], v50, v[12:13]
	v_bfi_b32 v23, v23, 0, 0
	v_cmp_eq_u64_e64 s[28:29], v[22:23], v[32:33]
	v_mov_b32_e32 v14, v13
	v_mov_b32_e32 v13, v12
	s_and_saveexec_b64 s[38:39], s[28:29]
; %bb.3899:                             ;   in Loop: Header=BB4_2583 Depth=4
	v_bfe_u32 v13, v12, 20, 1
	v_add_co_u32_e64 v13, s[28:29], v12, v13
	v_add_co_u32_e64 v13, s[28:29], -1, v13
; %bb.3900:                             ;   in Loop: Header=BB4_2583 Depth=4
	s_or_b64 exec, exec, s[38:39]
	v_add_u32_e32 v14, 0xffffff81, v38
	v_mov_b32_e32 v22, 0xffffff82
	v_cndmask_b32_e32 v14, v14, v22, vcc
	v_lshrrev_b32_e32 v22, 23, v12
	v_add3_u32 v50, v50, v14, v22
	v_add_u32_e32 v38, 6, v50
	v_and_b32_e32 v13, 0xfffff, v13
	v_add_u32_e32 v12, v13, v12
	v_mov_b32_e32 v13, v3
	v_cmp_ne_u32_e32 vcc, 0, v38
                                        ; implicit-def: $vgpr14
	s_and_saveexec_b64 s[28:29], vcc
	s_xor_b64 s[28:29], exec, s[28:29]
; %bb.3901:                             ;   in Loop: Header=BB4_2583 Depth=4
	v_cmp_lt_u64_e32 vcc, s[74:75], v[12:13]
	v_add_u32_e32 v14, 7, v50
	v_cndmask_b32_e64 v22, 0, 1, vcc
	v_lshrrev_b64 v[12:13], v22, v[12:13]
	v_cndmask_b32_e32 v14, v38, v14, vcc
; %bb.3902:                             ;   in Loop: Header=BB4_2583 Depth=4
	s_andn2_saveexec_b64 s[28:29], s[28:29]
; %bb.3903:                             ;   in Loop: Header=BB4_2583 Depth=4
	v_bfe_u32 v14, v12, 23, 1
; %bb.3904:                             ;   in Loop: Header=BB4_2583 Depth=4
	s_or_b64 exec, exec, s[28:29]
	v_lshrrev_b64 v[12:13], 20, v[12:13]
	v_cmp_gt_i32_e32 vcc, 16, v14
	v_cndmask_b32_e32 v13, 0, v13, vcc
	v_cndmask_b32_e32 v12, 7, v12, vcc
	v_cmp_eq_u64_e64 s[28:29], 0, v[12:13]
	v_min_i32_e32 v13, 15, v14
	v_lshlrev_b32_e32 v13, 3, v13
	v_cmp_eq_u32_e32 vcc, 0, v14
	v_and_b32_e32 v13, 0xf8, v13
	v_and_or_b32 v12, v12, 7, v13
	s_and_b64 s[28:29], vcc, s[28:29]
	v_cndmask_b32_e64 v12, v12, 0, s[28:29]
	v_or_b32_e32 v38, v12, v39
.LBB4_3905:                             ;   in Loop: Header=BB4_2583 Depth=4
	s_or_b64 exec, exec, s[36:37]
                                        ; implicit-def: $vgpr39
.LBB4_3906:                             ;   in Loop: Header=BB4_2583 Depth=4
	s_andn2_saveexec_b64 s[28:29], s[34:35]
; %bb.3907:                             ;   in Loop: Header=BB4_2583 Depth=4
	v_or_b32_e32 v38, 0x7e, v39
; %bb.3908:                             ;   in Loop: Header=BB4_2583 Depth=4
	s_or_b64 exec, exec, s[28:29]
                                        ; implicit-def: $vgpr12
.LBB4_3909:                             ;   in Loop: Header=BB4_2583 Depth=4
	s_andn2_saveexec_b64 s[28:29], s[30:31]
; %bb.3910:                             ;   in Loop: Header=BB4_2583 Depth=4
	v_or_b32_sdwa v38, v12, s68 dst_sel:DWORD dst_unused:UNUSED_PAD src0_sel:BYTE_3 src1_sel:DWORD
; %bb.3911:                             ;   in Loop: Header=BB4_2583 Depth=4
	s_or_b64 exec, exec, s[28:29]
	v_lshrrev_b32_e32 v12, 16, v2
	v_cmp_ne_u16_sdwa vcc, v12, v3 src0_sel:BYTE_0 src1_sel:DWORD
	v_mov_b32_e32 v13, 0
	v_mov_b32_e32 v14, 0
	s_and_saveexec_b64 s[28:29], vcc
	s_cbranch_execz .LBB4_3917
; %bb.3912:                             ;   in Loop: Header=BB4_2583 Depth=4
	v_cmp_ne_u16_sdwa vcc, v12, s70 src0_sel:BYTE_0 src1_sel:DWORD
	v_bfrev_b32_e32 v14, 1
	s_and_saveexec_b64 s[30:31], vcc
	s_cbranch_execz .LBB4_3916
; %bb.3913:                             ;   in Loop: Header=BB4_2583 Depth=4
	v_bfe_u32 v39, v2, 16, 7
	v_cmp_ne_u32_e32 vcc, s68, v39
	v_mov_b32_e32 v14, 0x7f800001
	s_and_saveexec_b64 s[34:35], vcc
	s_cbranch_execz .LBB4_3915
; %bb.3914:                             ;   in Loop: Header=BB4_2583 Depth=4
	v_and_b32_e32 v14, 7, v12
	v_ffbh_u32_e32 v22, v14
	v_min_u32_e32 v33, 32, v22
	v_subrev_u32_e32 v22, 28, v33
	v_lshlrev_b64 v[22:23], v22, v[12:13]
	v_lshrrev_b32_e32 v32, 3, v39
	v_cmp_gt_u32_e32 vcc, 8, v39
	v_sub_u32_e32 v23, 29, v33
	v_and_b32_e32 v22, 7, v22
	v_cndmask_b32_e32 v23, v32, v23, vcc
	v_cndmask_b32_e32 v14, v14, v22, vcc
	v_lshlrev_b32_e32 v12, 24, v12
	v_lshlrev_b32_e32 v14, 20, v14
	v_and_b32_e32 v12, 0x80000000, v12
	v_lshl_add_u32 v22, v23, 23, v5
	v_or3_b32 v14, v12, v22, v14
.LBB4_3915:                             ;   in Loop: Header=BB4_2583 Depth=4
	s_or_b64 exec, exec, s[34:35]
.LBB4_3916:                             ;   in Loop: Header=BB4_2583 Depth=4
	s_or_b64 exec, exec, s[30:31]
.LBB4_3917:                             ;   in Loop: Header=BB4_2583 Depth=4
	s_or_b64 exec, exec, s[28:29]
	v_lshrrev_b32_e32 v12, 16, v9
	v_cmp_ne_u16_sdwa vcc, v12, v3 src0_sel:BYTE_0 src1_sel:DWORD
	s_and_saveexec_b64 s[28:29], vcc
	s_cbranch_execz .LBB4_3923
; %bb.3918:                             ;   in Loop: Header=BB4_2583 Depth=4
	v_cmp_ne_u16_sdwa vcc, v12, s70 src0_sel:BYTE_0 src1_sel:DWORD
	v_bfrev_b32_e32 v13, 1
	s_and_saveexec_b64 s[30:31], vcc
	s_cbranch_execz .LBB4_3922
; %bb.3919:                             ;   in Loop: Header=BB4_2583 Depth=4
	v_bfe_u32 v39, v9, 16, 7
	v_cmp_ne_u32_e32 vcc, s68, v39
	v_mov_b32_e32 v13, 0x7f800001
	s_and_saveexec_b64 s[34:35], vcc
	s_cbranch_execz .LBB4_3921
; %bb.3920:                             ;   in Loop: Header=BB4_2583 Depth=4
	v_and_b32_e32 v22, 7, v12
	v_ffbh_u32_e32 v13, v22
	v_min_u32_e32 v32, 32, v13
	v_subrev_u32_e32 v13, 28, v32
	v_lshlrev_b64 v[12:13], v13, v[12:13]
	v_lshrrev_b32_e32 v23, 3, v39
	v_cmp_gt_u32_e32 vcc, 8, v39
	v_sub_u32_e32 v13, 29, v32
	v_and_b32_e32 v12, 7, v12
	v_cndmask_b32_e32 v13, v23, v13, vcc
	v_cndmask_b32_e32 v12, v22, v12, vcc
	v_lshlrev_b32_e32 v22, 8, v9
	v_lshlrev_b32_e32 v12, 20, v12
	v_and_b32_e32 v22, 0x80000000, v22
	v_lshl_add_u32 v13, v13, 23, v5
	v_or3_b32 v13, v22, v13, v12
.LBB4_3921:                             ;   in Loop: Header=BB4_2583 Depth=4
	s_or_b64 exec, exec, s[34:35]
.LBB4_3922:                             ;   in Loop: Header=BB4_2583 Depth=4
	s_or_b64 exec, exec, s[30:31]
.LBB4_3923:                             ;   in Loop: Header=BB4_2583 Depth=4
	s_or_b64 exec, exec, s[28:29]
	v_add_f32_e32 v12, v14, v13
	v_and_b32_e32 v13, 0x7f800000, v12
	v_mov_b32_e32 v14, v3
	v_cmp_ne_u64_e32 vcc, s[62:63], v[13:14]
                                        ; implicit-def: $vgpr14
	s_and_saveexec_b64 s[28:29], vcc
	s_xor_b64 s[30:31], exec, s[28:29]
	s_cbranch_execz .LBB4_3937
; %bb.3924:                             ;   in Loop: Header=BB4_2583 Depth=4
	v_and_b32_e32 v13, 0x7fffffff, v12
	v_mov_b32_e32 v14, v3
	v_cmp_gt_u64_e32 vcc, s[72:73], v[13:14]
	v_and_b32_sdwa v39, v12, s70 dst_sel:DWORD dst_unused:UNUSED_PAD src0_sel:BYTE_3 src1_sel:DWORD
                                        ; implicit-def: $vgpr14
	s_and_saveexec_b64 s[28:29], vcc
	s_xor_b64 s[34:35], exec, s[28:29]
	s_cbranch_execz .LBB4_3934
; %bb.3925:                             ;   in Loop: Header=BB4_2583 Depth=4
	v_mov_b32_e32 v14, 0
	v_cmp_ne_u32_e32 vcc, 0, v12
	s_and_saveexec_b64 s[36:37], vcc
	s_cbranch_execz .LBB4_3933
; %bb.3926:                             ;   in Loop: Header=BB4_2583 Depth=4
	v_bfe_u32 v50, v12, 23, 8
	v_and_b32_e32 v13, 0x7fffff, v12
	v_cmp_gt_u32_e64 s[28:29], s71, v50
	v_sub_u32_e32 v12, 0x79, v50
	v_cmp_eq_u32_e32 vcc, 0, v50
	v_cndmask_b32_e64 v12, 0, v12, s[28:29]
	v_mov_b32_e32 v22, 0x78
	v_or_b32_e32 v14, 0x800000, v13
	v_cndmask_b32_e32 v40, v12, v22, vcc
	v_cndmask_b32_e32 v12, v14, v13, vcc
	v_add_u32_e32 v14, 20, v40
	v_lshlrev_b64 v[22:23], v14, -1
	v_mov_b32_e32 v13, v3
	v_add_u32_e32 v14, 19, v40
	v_bfi_b32 v22, v22, 0, v12
	v_lshlrev_b64 v[32:33], v14, 1
	v_lshrrev_b64 v[12:13], v40, v[12:13]
	v_bfi_b32 v23, v23, 0, 0
	v_cmp_eq_u64_e64 s[28:29], v[22:23], v[32:33]
	v_mov_b32_e32 v14, v13
	v_mov_b32_e32 v13, v12
	s_and_saveexec_b64 s[38:39], s[28:29]
; %bb.3927:                             ;   in Loop: Header=BB4_2583 Depth=4
	v_bfe_u32 v13, v12, 20, 1
	v_add_co_u32_e64 v13, s[28:29], v12, v13
	v_add_co_u32_e64 v13, s[28:29], -1, v13
; %bb.3928:                             ;   in Loop: Header=BB4_2583 Depth=4
	s_or_b64 exec, exec, s[38:39]
	v_add_u32_e32 v14, 0xffffff81, v50
	v_mov_b32_e32 v22, 0xffffff82
	v_cndmask_b32_e32 v14, v14, v22, vcc
	v_lshrrev_b32_e32 v22, 23, v12
	v_add3_u32 v40, v40, v14, v22
	v_add_u32_e32 v50, 6, v40
	v_and_b32_e32 v13, 0xfffff, v13
	v_add_u32_e32 v12, v13, v12
	v_mov_b32_e32 v13, v3
	v_cmp_ne_u32_e32 vcc, 0, v50
                                        ; implicit-def: $vgpr14
	s_and_saveexec_b64 s[28:29], vcc
	s_xor_b64 s[28:29], exec, s[28:29]
; %bb.3929:                             ;   in Loop: Header=BB4_2583 Depth=4
	v_cmp_lt_u64_e32 vcc, s[74:75], v[12:13]
	v_add_u32_e32 v14, 7, v40
	v_cndmask_b32_e64 v22, 0, 1, vcc
	v_lshrrev_b64 v[12:13], v22, v[12:13]
	v_cndmask_b32_e32 v14, v50, v14, vcc
; %bb.3930:                             ;   in Loop: Header=BB4_2583 Depth=4
	s_andn2_saveexec_b64 s[28:29], s[28:29]
; %bb.3931:                             ;   in Loop: Header=BB4_2583 Depth=4
	v_bfe_u32 v14, v12, 23, 1
; %bb.3932:                             ;   in Loop: Header=BB4_2583 Depth=4
	s_or_b64 exec, exec, s[28:29]
	v_lshrrev_b64 v[12:13], 20, v[12:13]
	v_cmp_gt_i32_e32 vcc, 16, v14
	v_cndmask_b32_e32 v13, 0, v13, vcc
	v_cndmask_b32_e32 v12, 7, v12, vcc
	v_cmp_eq_u64_e64 s[28:29], 0, v[12:13]
	v_min_i32_e32 v13, 15, v14
	v_lshlrev_b32_e32 v13, 3, v13
	v_cmp_eq_u32_e32 vcc, 0, v14
	v_and_b32_e32 v13, 0xf8, v13
	v_and_or_b32 v12, v12, 7, v13
	s_and_b64 s[28:29], vcc, s[28:29]
	v_cndmask_b32_e64 v12, v12, 0, s[28:29]
	v_or_b32_e32 v14, v12, v39
.LBB4_3933:                             ;   in Loop: Header=BB4_2583 Depth=4
	s_or_b64 exec, exec, s[36:37]
                                        ; implicit-def: $vgpr39
.LBB4_3934:                             ;   in Loop: Header=BB4_2583 Depth=4
	s_andn2_saveexec_b64 s[28:29], s[34:35]
; %bb.3935:                             ;   in Loop: Header=BB4_2583 Depth=4
	v_or_b32_e32 v14, 0x7e, v39
; %bb.3936:                             ;   in Loop: Header=BB4_2583 Depth=4
	s_or_b64 exec, exec, s[28:29]
                                        ; implicit-def: $vgpr12
.LBB4_3937:                             ;   in Loop: Header=BB4_2583 Depth=4
	s_andn2_saveexec_b64 s[28:29], s[30:31]
; %bb.3938:                             ;   in Loop: Header=BB4_2583 Depth=4
	v_or_b32_sdwa v14, v12, s68 dst_sel:DWORD dst_unused:UNUSED_PAD src0_sel:BYTE_3 src1_sel:DWORD
; %bb.3939:                             ;   in Loop: Header=BB4_2583 Depth=4
	s_or_b64 exec, exec, s[28:29]
	v_cmp_lt_u32_e32 vcc, s57, v2
	v_mov_b32_e32 v13, 0
	v_mov_b32_e32 v39, 0
	s_and_saveexec_b64 s[28:29], vcc
	s_cbranch_execz .LBB4_3945
; %bb.3940:                             ;   in Loop: Header=BB4_2583 Depth=4
	v_lshrrev_b32_e32 v12, 24, v2
	v_cmp_ne_u32_sdwa vcc, v2, s70 src0_sel:BYTE_3 src1_sel:DWORD
	v_bfrev_b32_e32 v39, 1
	s_and_saveexec_b64 s[30:31], vcc
	s_cbranch_execz .LBB4_3944
; %bb.3941:                             ;   in Loop: Header=BB4_2583 Depth=4
	v_bfe_u32 v50, v2, 24, 7
	v_cmp_ne_u32_e32 vcc, s68, v50
	v_mov_b32_e32 v39, 0x7f800001
	s_and_saveexec_b64 s[34:35], vcc
	s_cbranch_execz .LBB4_3943
; %bb.3942:                             ;   in Loop: Header=BB4_2583 Depth=4
	v_and_b32_e32 v32, 7, v12
	v_ffbh_u32_e32 v22, v32
	v_min_u32_e32 v39, 32, v22
	v_subrev_u32_e32 v22, 28, v39
	v_lshlrev_b64 v[22:23], v22, v[12:13]
	v_lshrrev_b32_e32 v33, 3, v50
	v_cmp_gt_u32_e32 vcc, 8, v50
	v_sub_u32_e32 v12, 29, v39
	v_and_b32_e32 v22, 7, v22
	v_mov_b32_e32 v23, 24
	v_cndmask_b32_e32 v12, v33, v12, vcc
	v_cndmask_b32_e32 v22, v32, v22, vcc
	v_lshlrev_b32_sdwa v2, v23, v2 dst_sel:DWORD dst_unused:UNUSED_PAD src0_sel:DWORD src1_sel:BYTE_3
	v_lshlrev_b32_e32 v22, 20, v22
	v_and_b32_e32 v2, 0x80000000, v2
	v_lshl_add_u32 v12, v12, 23, v5
	v_or3_b32 v39, v2, v12, v22
.LBB4_3943:                             ;   in Loop: Header=BB4_2583 Depth=4
	s_or_b64 exec, exec, s[34:35]
.LBB4_3944:                             ;   in Loop: Header=BB4_2583 Depth=4
	s_or_b64 exec, exec, s[30:31]
.LBB4_3945:                             ;   in Loop: Header=BB4_2583 Depth=4
	s_or_b64 exec, exec, s[28:29]
	v_cmp_lt_u64_e32 vcc, s[56:57], v[8:9]
	s_and_saveexec_b64 s[28:29], vcc
	s_cbranch_execz .LBB4_3951
; %bb.3946:                             ;   in Loop: Header=BB4_2583 Depth=4
	v_lshrrev_b32_e32 v2, 24, v9
	v_cmp_ne_u32_e32 vcc, s70, v2
	v_bfrev_b32_e32 v13, 1
	s_and_saveexec_b64 s[30:31], vcc
	s_cbranch_execz .LBB4_3950
; %bb.3947:                             ;   in Loop: Header=BB4_2583 Depth=4
	v_bfe_u32 v8, v9, 24, 7
	v_cmp_ne_u32_e32 vcc, s68, v8
	v_mov_b32_e32 v13, 0x7f800001
	s_and_saveexec_b64 s[34:35], vcc
	s_cbranch_execz .LBB4_3949
; %bb.3948:                             ;   in Loop: Header=BB4_2583 Depth=4
	v_and_b32_e32 v12, 7, v2
	v_lshrrev_b32_e32 v13, 3, v8
	v_cmp_gt_u32_e32 vcc, 8, v8
	v_ffbh_u32_e32 v8, v12
	v_min_u32_e32 v22, 32, v8
	v_subrev_u32_e32 v8, 28, v22
	v_lshlrev_b64 v[8:9], v8, v[2:3]
	v_sub_u32_e32 v9, 29, v22
	v_and_b32_e32 v8, 7, v8
	v_cndmask_b32_e32 v9, v13, v9, vcc
	v_cndmask_b32_e32 v8, v12, v8, vcc
	v_lshlrev_b32_e32 v2, 24, v2
	v_lshlrev_b32_e32 v8, 20, v8
	v_and_b32_e32 v2, 0x80000000, v2
	v_lshl_add_u32 v9, v9, 23, v5
	v_or3_b32 v13, v2, v9, v8
.LBB4_3949:                             ;   in Loop: Header=BB4_2583 Depth=4
	s_or_b64 exec, exec, s[34:35]
.LBB4_3950:                             ;   in Loop: Header=BB4_2583 Depth=4
	s_or_b64 exec, exec, s[30:31]
.LBB4_3951:                             ;   in Loop: Header=BB4_2583 Depth=4
	s_or_b64 exec, exec, s[28:29]
	v_add_f32_e32 v8, v39, v13
	v_and_b32_e32 v2, 0x7f800000, v8
	v_cmp_ne_u64_e32 vcc, s[62:63], v[2:3]
                                        ; implicit-def: $vgpr39
	s_and_saveexec_b64 s[28:29], vcc
	s_xor_b64 s[30:31], exec, s[28:29]
	s_cbranch_execz .LBB4_3965
; %bb.3952:                             ;   in Loop: Header=BB4_2583 Depth=4
	v_and_b32_e32 v2, 0x7fffffff, v8
	v_cmp_gt_u64_e32 vcc, s[72:73], v[2:3]
	v_and_b32_sdwa v50, v8, s70 dst_sel:DWORD dst_unused:UNUSED_PAD src0_sel:BYTE_3 src1_sel:DWORD
                                        ; implicit-def: $vgpr39
	s_and_saveexec_b64 s[28:29], vcc
	s_xor_b64 s[34:35], exec, s[28:29]
	s_cbranch_execz .LBB4_3962
; %bb.3953:                             ;   in Loop: Header=BB4_2583 Depth=4
	v_mov_b32_e32 v39, 0
	v_cmp_ne_u32_e32 vcc, 0, v8
	s_and_saveexec_b64 s[36:37], vcc
	s_cbranch_execz .LBB4_3961
; %bb.3954:                             ;   in Loop: Header=BB4_2583 Depth=4
	v_bfe_u32 v39, v8, 23, 8
	v_and_b32_e32 v2, 0x7fffff, v8
	v_cmp_gt_u32_e64 s[28:29], s71, v39
	v_sub_u32_e32 v8, 0x79, v39
	v_cmp_eq_u32_e32 vcc, 0, v39
	v_cndmask_b32_e64 v8, 0, v8, s[28:29]
	v_mov_b32_e32 v12, 0x78
	v_cndmask_b32_e32 v40, v8, v12, vcc
	v_or_b32_e32 v9, 0x800000, v2
	v_add_u32_e32 v8, 20, v40
	v_cndmask_b32_e32 v2, v9, v2, vcc
	v_lshlrev_b64 v[8:9], v8, -1
	v_add_u32_e32 v12, 19, v40
	v_lshlrev_b64 v[12:13], v12, 1
	v_bfi_b32 v9, v9, 0, 0
	v_bfi_b32 v8, v8, 0, v2
	v_cmp_eq_u64_e64 s[28:29], v[8:9], v[12:13]
	v_lshrrev_b64 v[8:9], v40, v[2:3]
	v_mov_b32_e32 v13, v9
	v_mov_b32_e32 v12, v8
	s_and_saveexec_b64 s[38:39], s[28:29]
; %bb.3955:                             ;   in Loop: Header=BB4_2583 Depth=4
	v_bfe_u32 v2, v8, 20, 1
	v_add_co_u32_e64 v2, s[28:29], v8, v2
	v_add_co_u32_e64 v12, s[28:29], -1, v2
; %bb.3956:                             ;   in Loop: Header=BB4_2583 Depth=4
	s_or_b64 exec, exec, s[38:39]
	v_add_u32_e32 v2, 0xffffff81, v39
	v_mov_b32_e32 v9, 0xffffff82
	v_cndmask_b32_e32 v2, v2, v9, vcc
	v_lshrrev_b32_e32 v9, 23, v8
	v_add3_u32 v39, v40, v2, v9
	v_add_u32_e32 v13, 6, v39
	v_and_b32_e32 v2, 0xfffff, v12
	v_add_u32_e32 v2, v2, v8
	v_cmp_ne_u32_e32 vcc, 0, v13
                                        ; implicit-def: $vgpr8_vgpr9
                                        ; implicit-def: $vgpr12
	s_and_saveexec_b64 s[28:29], vcc
	s_xor_b64 s[28:29], exec, s[28:29]
; %bb.3957:                             ;   in Loop: Header=BB4_2583 Depth=4
	v_cmp_lt_u64_e32 vcc, s[74:75], v[2:3]
	v_add_u32_e32 v8, 7, v39
	v_cndmask_b32_e32 v12, v13, v8, vcc
	v_cndmask_b32_e64 v8, 0, 1, vcc
	v_lshrrev_b64 v[8:9], v8, v[2:3]
; %bb.3958:                             ;   in Loop: Header=BB4_2583 Depth=4
	s_andn2_saveexec_b64 s[28:29], s[28:29]
; %bb.3959:                             ;   in Loop: Header=BB4_2583 Depth=4
	v_mov_b32_e32 v9, v3
	v_bfe_u32 v12, v2, 23, 1
	v_mov_b32_e32 v8, v2
; %bb.3960:                             ;   in Loop: Header=BB4_2583 Depth=4
	s_or_b64 exec, exec, s[28:29]
	v_lshrrev_b64 v[8:9], 20, v[8:9]
	v_cmp_gt_i32_e32 vcc, 16, v12
	v_cndmask_b32_e32 v9, 0, v9, vcc
	v_cndmask_b32_e32 v8, 7, v8, vcc
	v_min_i32_e32 v2, 15, v12
	v_cmp_eq_u64_e64 s[28:29], 0, v[8:9]
	v_lshlrev_b32_e32 v2, 3, v2
	v_cmp_eq_u32_e32 vcc, 0, v12
	v_and_b32_e32 v2, 0xf8, v2
	v_and_or_b32 v2, v8, 7, v2
	s_and_b64 s[28:29], vcc, s[28:29]
	v_cndmask_b32_e64 v2, v2, 0, s[28:29]
	v_or_b32_e32 v39, v2, v50
.LBB4_3961:                             ;   in Loop: Header=BB4_2583 Depth=4
	s_or_b64 exec, exec, s[36:37]
                                        ; implicit-def: $vgpr50
.LBB4_3962:                             ;   in Loop: Header=BB4_2583 Depth=4
	s_andn2_saveexec_b64 s[28:29], s[34:35]
; %bb.3963:                             ;   in Loop: Header=BB4_2583 Depth=4
	v_or_b32_e32 v39, 0x7e, v50
; %bb.3964:                             ;   in Loop: Header=BB4_2583 Depth=4
	s_or_b64 exec, exec, s[28:29]
                                        ; implicit-def: $vgpr8
.LBB4_3965:                             ;   in Loop: Header=BB4_2583 Depth=4
	s_andn2_saveexec_b64 s[28:29], s[30:31]
; %bb.3966:                             ;   in Loop: Header=BB4_2583 Depth=4
	v_or_b32_sdwa v39, v8, s68 dst_sel:DWORD dst_unused:UNUSED_PAD src0_sel:BYTE_3 src1_sel:DWORD
; %bb.3967:                             ;   in Loop: Header=BB4_2583 Depth=4
	s_or_b64 exec, exec, s[28:29]
	v_lshl_or_b32 v27, v27, 8, v16
	v_lshlrev_b32_e32 v2, 16, v24
	v_lshlrev_b32_e32 v4, 24, v4
	v_or3_b32 v2, v2, v4, v27
	v_cmp_ne_u32_e32 vcc, 0, v16
	v_mov_b32_e32 v4, 0
	v_mov_b32_e32 v8, 0
	s_and_saveexec_b64 s[28:29], vcc
	s_cbranch_execz .LBB4_3973
; %bb.3968:                             ;   in Loop: Header=BB4_2583 Depth=4
	v_cmp_ne_u32_e32 vcc, s70, v16
	v_bfrev_b32_e32 v8, 1
	s_and_saveexec_b64 s[30:31], vcc
	s_cbranch_execz .LBB4_3972
; %bb.3969:                             ;   in Loop: Header=BB4_2583 Depth=4
	v_and_b32_e32 v9, 0x7f, v16
	v_cmp_ne_u32_e32 vcc, s68, v9
	v_mov_b32_e32 v8, 0x7f800001
	s_and_saveexec_b64 s[34:35], vcc
	s_cbranch_execz .LBB4_3971
; %bb.3970:                             ;   in Loop: Header=BB4_2583 Depth=4
	v_and_b32_e32 v8, 7, v16
	v_ffbh_u32_e32 v8, v8
	v_min_u32_e32 v8, 32, v8
	v_lshrrev_b32_e32 v12, 3, v9
	v_cmp_gt_u32_e32 vcc, 8, v9
	v_subrev_u32_e32 v9, 28, v8
	v_sub_u32_e32 v8, 29, v8
	v_cndmask_b32_e32 v12, v12, v8, vcc
	v_cndmask_b32_e32 v8, 0, v9, vcc
	v_lshlrev_b64 v[8:9], v8, v[2:3]
	v_lshlrev_b32_e32 v9, 24, v2
	v_lshlrev_b32_e32 v8, 20, v8
	v_and_b32_e32 v8, 0x700000, v8
	v_and_b32_e32 v9, 0x80000000, v9
	v_lshl_add_u32 v12, v12, 23, v5
	v_or3_b32 v8, v9, v12, v8
.LBB4_3971:                             ;   in Loop: Header=BB4_2583 Depth=4
	s_or_b64 exec, exec, s[34:35]
.LBB4_3972:                             ;   in Loop: Header=BB4_2583 Depth=4
	s_or_b64 exec, exec, s[30:31]
.LBB4_3973:                             ;   in Loop: Header=BB4_2583 Depth=4
	s_or_b64 exec, exec, s[28:29]
	v_cmp_ne_u16_sdwa vcc, v10, v3 src0_sel:BYTE_0 src1_sel:DWORD
	s_and_saveexec_b64 s[28:29], vcc
	s_cbranch_execz .LBB4_3979
; %bb.3974:                             ;   in Loop: Header=BB4_2583 Depth=4
	v_cmp_ne_u16_sdwa vcc, v10, s70 src0_sel:BYTE_0 src1_sel:DWORD
	v_bfrev_b32_e32 v4, 1
	s_and_saveexec_b64 s[30:31], vcc
	s_cbranch_execz .LBB4_3978
; %bb.3975:                             ;   in Loop: Header=BB4_2583 Depth=4
	v_and_b32_e32 v9, 0x7f, v10
	v_cmp_ne_u32_e32 vcc, s68, v9
	v_mov_b32_e32 v4, 0x7f800001
	s_and_saveexec_b64 s[34:35], vcc
	s_cbranch_execz .LBB4_3977
; %bb.3976:                             ;   in Loop: Header=BB4_2583 Depth=4
	v_and_b32_e32 v4, 7, v10
	v_ffbh_u32_e32 v4, v4
	v_min_u32_e32 v4, 32, v4
	v_lshrrev_b32_e32 v12, 3, v9
	v_cmp_gt_u32_e32 vcc, 8, v9
	v_subrev_u32_e32 v9, 28, v4
	v_sub_u32_e32 v4, 29, v4
	v_cndmask_b32_e32 v9, 0, v9, vcc
	v_cndmask_b32_e32 v4, v12, v4, vcc
	v_lshlrev_b64 v[12:13], v9, v[10:11]
	v_lshl_add_u32 v4, v4, 23, v5
	v_lshlrev_b32_e32 v9, 20, v12
	v_lshlrev_b32_e32 v12, 24, v10
	v_and_b32_e32 v9, 0x700000, v9
	v_and_b32_e32 v12, 0x80000000, v12
	v_or3_b32 v4, v12, v4, v9
.LBB4_3977:                             ;   in Loop: Header=BB4_2583 Depth=4
	s_or_b64 exec, exec, s[34:35]
.LBB4_3978:                             ;   in Loop: Header=BB4_2583 Depth=4
	s_or_b64 exec, exec, s[30:31]
.LBB4_3979:                             ;   in Loop: Header=BB4_2583 Depth=4
	s_or_b64 exec, exec, s[28:29]
	v_add_f32_e32 v8, v8, v4
	v_and_b32_e32 v12, 0x7f800000, v8
	v_mov_b32_e32 v13, v3
	v_cmp_ne_u64_e32 vcc, s[62:63], v[12:13]
                                        ; implicit-def: $vgpr4
	s_and_saveexec_b64 s[28:29], vcc
	s_xor_b64 s[30:31], exec, s[28:29]
	s_cbranch_execz .LBB4_3993
; %bb.3980:                             ;   in Loop: Header=BB4_2583 Depth=4
	v_and_b32_e32 v12, 0x7fffffff, v8
	v_mov_b32_e32 v13, v3
	v_cmp_gt_u64_e32 vcc, s[72:73], v[12:13]
	v_and_b32_sdwa v16, v8, s70 dst_sel:DWORD dst_unused:UNUSED_PAD src0_sel:BYTE_3 src1_sel:DWORD
                                        ; implicit-def: $vgpr4
	s_and_saveexec_b64 s[28:29], vcc
	s_xor_b64 s[34:35], exec, s[28:29]
	s_cbranch_execz .LBB4_3990
; %bb.3981:                             ;   in Loop: Header=BB4_2583 Depth=4
	v_mov_b32_e32 v4, 0
	v_cmp_ne_u32_e32 vcc, 0, v8
	s_and_saveexec_b64 s[36:37], vcc
	s_cbranch_execz .LBB4_3989
; %bb.3982:                             ;   in Loop: Header=BB4_2583 Depth=4
	v_bfe_u32 v4, v8, 23, 8
	v_and_b32_e32 v9, 0x7fffff, v8
	v_cmp_gt_u32_e64 s[28:29], s71, v4
	v_sub_u32_e32 v8, 0x79, v4
	v_cmp_eq_u32_e32 vcc, 0, v4
	v_cndmask_b32_e64 v8, 0, v8, s[28:29]
	v_mov_b32_e32 v13, 0x78
	v_or_b32_e32 v12, 0x800000, v9
	v_cndmask_b32_e32 v24, v8, v13, vcc
	v_cndmask_b32_e32 v8, v12, v9, vcc
	v_add_u32_e32 v12, 20, v24
	v_lshlrev_b64 v[12:13], v12, -1
	v_mov_b32_e32 v9, v3
	v_add_u32_e32 v22, 19, v24
	v_bfi_b32 v12, v12, 0, v8
	v_lshlrev_b64 v[22:23], v22, 1
	v_lshrrev_b64 v[8:9], v24, v[8:9]
	v_bfi_b32 v13, v13, 0, 0
	v_cmp_eq_u64_e64 s[28:29], v[12:13], v[22:23]
	v_mov_b32_e32 v13, v9
	v_mov_b32_e32 v12, v8
	s_and_saveexec_b64 s[38:39], s[28:29]
; %bb.3983:                             ;   in Loop: Header=BB4_2583 Depth=4
	v_bfe_u32 v9, v8, 20, 1
	v_add_co_u32_e64 v9, s[28:29], v8, v9
	v_add_co_u32_e64 v12, s[28:29], -1, v9
; %bb.3984:                             ;   in Loop: Header=BB4_2583 Depth=4
	s_or_b64 exec, exec, s[38:39]
	v_add_u32_e32 v4, 0xffffff81, v4
	v_mov_b32_e32 v9, 0xffffff82
	v_cndmask_b32_e32 v4, v4, v9, vcc
	v_lshrrev_b32_e32 v9, 23, v8
	v_add3_u32 v24, v24, v4, v9
	v_add_u32_e32 v13, 6, v24
	v_and_b32_e32 v4, 0xfffff, v12
	v_add_u32_e32 v8, v4, v8
	v_mov_b32_e32 v9, v3
	v_cmp_ne_u32_e32 vcc, 0, v13
                                        ; implicit-def: $vgpr4
	s_and_saveexec_b64 s[28:29], vcc
	s_xor_b64 s[28:29], exec, s[28:29]
; %bb.3985:                             ;   in Loop: Header=BB4_2583 Depth=4
	v_cmp_lt_u64_e32 vcc, s[74:75], v[8:9]
	v_add_u32_e32 v4, 7, v24
	v_cndmask_b32_e64 v12, 0, 1, vcc
	v_lshrrev_b64 v[8:9], v12, v[8:9]
	v_cndmask_b32_e32 v4, v13, v4, vcc
; %bb.3986:                             ;   in Loop: Header=BB4_2583 Depth=4
	s_andn2_saveexec_b64 s[28:29], s[28:29]
; %bb.3987:                             ;   in Loop: Header=BB4_2583 Depth=4
	v_bfe_u32 v4, v8, 23, 1
; %bb.3988:                             ;   in Loop: Header=BB4_2583 Depth=4
	s_or_b64 exec, exec, s[28:29]
	v_lshrrev_b64 v[8:9], 20, v[8:9]
	v_cmp_gt_i32_e32 vcc, 16, v4
	v_cndmask_b32_e32 v9, 0, v9, vcc
	v_cndmask_b32_e32 v8, 7, v8, vcc
	v_cmp_eq_u32_e32 vcc, 0, v4
	v_min_i32_e32 v4, 15, v4
	v_cmp_eq_u64_e64 s[28:29], 0, v[8:9]
	v_lshlrev_b32_e32 v4, 3, v4
	v_and_b32_e32 v4, 0xf8, v4
	v_and_or_b32 v4, v8, 7, v4
	s_and_b64 s[28:29], vcc, s[28:29]
	v_cndmask_b32_e64 v4, v4, 0, s[28:29]
	v_or_b32_e32 v4, v4, v16
.LBB4_3989:                             ;   in Loop: Header=BB4_2583 Depth=4
	s_or_b64 exec, exec, s[36:37]
                                        ; implicit-def: $vgpr16
.LBB4_3990:                             ;   in Loop: Header=BB4_2583 Depth=4
	s_andn2_saveexec_b64 s[28:29], s[34:35]
; %bb.3991:                             ;   in Loop: Header=BB4_2583 Depth=4
	v_or_b32_e32 v4, 0x7e, v16
; %bb.3992:                             ;   in Loop: Header=BB4_2583 Depth=4
	s_or_b64 exec, exec, s[28:29]
                                        ; implicit-def: $vgpr8
.LBB4_3993:                             ;   in Loop: Header=BB4_2583 Depth=4
	s_andn2_saveexec_b64 s[28:29], s[30:31]
; %bb.3994:                             ;   in Loop: Header=BB4_2583 Depth=4
	v_or_b32_sdwa v4, v8, s68 dst_sel:DWORD dst_unused:UNUSED_PAD src0_sel:BYTE_3 src1_sel:DWORD
; %bb.3995:                             ;   in Loop: Header=BB4_2583 Depth=4
	s_or_b64 exec, exec, s[28:29]
	v_lshrrev_b16_e32 v8, 8, v27
	v_cmp_ne_u16_e32 vcc, 0, v8
	v_mov_b32_e32 v9, 0
	v_mov_b32_e32 v12, 0
	s_and_saveexec_b64 s[28:29], vcc
	s_cbranch_execz .LBB4_4001
; %bb.3996:                             ;   in Loop: Header=BB4_2583 Depth=4
	v_cmp_ne_u16_e32 vcc, s70, v8
	v_bfrev_b32_e32 v12, 1
	s_and_saveexec_b64 s[30:31], vcc
	s_cbranch_execz .LBB4_4000
; %bb.3997:                             ;   in Loop: Header=BB4_2583 Depth=4
	v_and_b32_e32 v13, 0x7f, v8
	v_cmp_ne_u32_e32 vcc, s68, v13
	v_mov_b32_e32 v12, 0x7f800001
	s_and_saveexec_b64 s[34:35], vcc
	s_cbranch_execz .LBB4_3999
; %bb.3998:                             ;   in Loop: Header=BB4_2583 Depth=4
	v_and_b32_e32 v16, 7, v8
	v_ffbh_u32_e32 v12, v16
	v_min_u32_e32 v23, 32, v12
	v_subrev_u32_e32 v12, 28, v23
	v_lshrrev_b32_e32 v22, 3, v13
	v_cmp_gt_u32_e32 vcc, 8, v13
	v_lshlrev_b64 v[12:13], v12, v[8:9]
	v_sub_u32_e32 v8, 29, v23
	v_and_b32_e32 v12, 7, v12
	v_cndmask_b32_e32 v8, v22, v8, vcc
	v_cndmask_b32_e32 v12, v16, v12, vcc
	v_lshlrev_b32_e32 v13, 16, v27
	v_lshlrev_b32_e32 v12, 20, v12
	v_and_b32_e32 v13, 0x80000000, v13
	v_lshl_add_u32 v8, v8, 23, v5
	v_or3_b32 v12, v13, v8, v12
.LBB4_3999:                             ;   in Loop: Header=BB4_2583 Depth=4
	s_or_b64 exec, exec, s[34:35]
.LBB4_4000:                             ;   in Loop: Header=BB4_2583 Depth=4
	s_or_b64 exec, exec, s[30:31]
.LBB4_4001:                             ;   in Loop: Header=BB4_2583 Depth=4
	s_or_b64 exec, exec, s[28:29]
	v_lshrrev_b16_e32 v8, 8, v10
	v_cmp_ne_u16_e32 vcc, 0, v8
	s_and_saveexec_b64 s[28:29], vcc
	s_cbranch_execz .LBB4_4007
; %bb.4002:                             ;   in Loop: Header=BB4_2583 Depth=4
	v_cmp_ne_u16_e32 vcc, s70, v8
	v_bfrev_b32_e32 v9, 1
	s_and_saveexec_b64 s[30:31], vcc
	s_cbranch_execz .LBB4_4006
; %bb.4003:                             ;   in Loop: Header=BB4_2583 Depth=4
	v_and_b32_e32 v13, 0x7f, v8
	v_cmp_ne_u32_e32 vcc, s68, v13
	v_mov_b32_e32 v9, 0x7f800001
	s_and_saveexec_b64 s[34:35], vcc
	s_cbranch_execz .LBB4_4005
; %bb.4004:                             ;   in Loop: Header=BB4_2583 Depth=4
	v_and_b32_e32 v16, 7, v8
	v_ffbh_u32_e32 v9, v16
	v_lshrrev_b32_e32 v22, 3, v13
	v_cmp_gt_u32_e32 vcc, 8, v13
	v_min_u32_e32 v13, 32, v9
	v_subrev_u32_e32 v9, 28, v13
	v_lshlrev_b64 v[8:9], v9, v[8:9]
	v_sub_u32_e32 v9, 29, v13
	v_and_b32_e32 v8, 7, v8
	v_cndmask_b32_e32 v9, v22, v9, vcc
	v_cndmask_b32_e32 v8, v16, v8, vcc
	v_lshlrev_b32_e32 v13, 16, v10
	v_lshlrev_b32_e32 v8, 20, v8
	v_and_b32_e32 v13, 0x80000000, v13
	v_lshl_add_u32 v9, v9, 23, v5
	v_or3_b32 v9, v13, v9, v8
.LBB4_4005:                             ;   in Loop: Header=BB4_2583 Depth=4
	s_or_b64 exec, exec, s[34:35]
.LBB4_4006:                             ;   in Loop: Header=BB4_2583 Depth=4
	s_or_b64 exec, exec, s[30:31]
.LBB4_4007:                             ;   in Loop: Header=BB4_2583 Depth=4
	s_or_b64 exec, exec, s[28:29]
	v_add_f32_e32 v8, v12, v9
	v_and_b32_e32 v12, 0x7f800000, v8
	v_mov_b32_e32 v13, v3
	v_cmp_ne_u64_e32 vcc, s[62:63], v[12:13]
                                        ; implicit-def: $vgpr16
	s_and_saveexec_b64 s[28:29], vcc
	s_xor_b64 s[30:31], exec, s[28:29]
	s_cbranch_execz .LBB4_4021
; %bb.4008:                             ;   in Loop: Header=BB4_2583 Depth=4
	v_and_b32_e32 v12, 0x7fffffff, v8
	v_mov_b32_e32 v13, v3
	v_cmp_gt_u64_e32 vcc, s[72:73], v[12:13]
	v_and_b32_sdwa v24, v8, s70 dst_sel:DWORD dst_unused:UNUSED_PAD src0_sel:BYTE_3 src1_sel:DWORD
                                        ; implicit-def: $vgpr16
	s_and_saveexec_b64 s[28:29], vcc
	s_xor_b64 s[34:35], exec, s[28:29]
	s_cbranch_execz .LBB4_4018
; %bb.4009:                             ;   in Loop: Header=BB4_2583 Depth=4
	v_mov_b32_e32 v16, 0
	v_cmp_ne_u32_e32 vcc, 0, v8
	s_and_saveexec_b64 s[36:37], vcc
	s_cbranch_execz .LBB4_4017
; %bb.4010:                             ;   in Loop: Header=BB4_2583 Depth=4
	v_bfe_u32 v16, v8, 23, 8
	v_and_b32_e32 v9, 0x7fffff, v8
	v_cmp_gt_u32_e64 s[28:29], s71, v16
	v_sub_u32_e32 v8, 0x79, v16
	v_cmp_eq_u32_e32 vcc, 0, v16
	v_cndmask_b32_e64 v8, 0, v8, s[28:29]
	v_mov_b32_e32 v13, 0x78
	v_or_b32_e32 v12, 0x800000, v9
	v_cndmask_b32_e32 v27, v8, v13, vcc
	v_cndmask_b32_e32 v8, v12, v9, vcc
	v_add_u32_e32 v12, 20, v27
	v_lshlrev_b64 v[12:13], v12, -1
	v_mov_b32_e32 v9, v3
	v_add_u32_e32 v22, 19, v27
	v_bfi_b32 v12, v12, 0, v8
	v_lshlrev_b64 v[22:23], v22, 1
	v_lshrrev_b64 v[8:9], v27, v[8:9]
	v_bfi_b32 v13, v13, 0, 0
	v_cmp_eq_u64_e64 s[28:29], v[12:13], v[22:23]
	v_mov_b32_e32 v13, v9
	v_mov_b32_e32 v12, v8
	s_and_saveexec_b64 s[38:39], s[28:29]
; %bb.4011:                             ;   in Loop: Header=BB4_2583 Depth=4
	v_bfe_u32 v9, v8, 20, 1
	v_add_co_u32_e64 v9, s[28:29], v8, v9
	v_add_co_u32_e64 v12, s[28:29], -1, v9
; %bb.4012:                             ;   in Loop: Header=BB4_2583 Depth=4
	s_or_b64 exec, exec, s[38:39]
	v_add_u32_e32 v9, 0xffffff81, v16
	v_mov_b32_e32 v13, 0xffffff82
	v_cndmask_b32_e32 v9, v9, v13, vcc
	v_lshrrev_b32_e32 v13, 23, v8
	v_add3_u32 v16, v27, v9, v13
	v_add_u32_e32 v13, 6, v16
	v_and_b32_e32 v9, 0xfffff, v12
	v_add_u32_e32 v8, v9, v8
	v_mov_b32_e32 v9, v3
	v_cmp_ne_u32_e32 vcc, 0, v13
                                        ; implicit-def: $vgpr12
	s_and_saveexec_b64 s[28:29], vcc
	s_xor_b64 s[28:29], exec, s[28:29]
; %bb.4013:                             ;   in Loop: Header=BB4_2583 Depth=4
	v_cmp_lt_u64_e32 vcc, s[74:75], v[8:9]
	v_add_u32_e32 v12, 7, v16
	v_cndmask_b32_e32 v12, v13, v12, vcc
	v_cndmask_b32_e64 v13, 0, 1, vcc
	v_lshrrev_b64 v[8:9], v13, v[8:9]
; %bb.4014:                             ;   in Loop: Header=BB4_2583 Depth=4
	s_andn2_saveexec_b64 s[28:29], s[28:29]
; %bb.4015:                             ;   in Loop: Header=BB4_2583 Depth=4
	v_bfe_u32 v12, v8, 23, 1
; %bb.4016:                             ;   in Loop: Header=BB4_2583 Depth=4
	s_or_b64 exec, exec, s[28:29]
	v_lshrrev_b64 v[8:9], 20, v[8:9]
	v_cmp_gt_i32_e32 vcc, 16, v12
	v_cndmask_b32_e32 v9, 0, v9, vcc
	v_cndmask_b32_e32 v8, 7, v8, vcc
	v_cmp_eq_u64_e64 s[28:29], 0, v[8:9]
	v_min_i32_e32 v9, 15, v12
	v_lshlrev_b32_e32 v9, 3, v9
	v_cmp_eq_u32_e32 vcc, 0, v12
	v_and_b32_e32 v9, 0xf8, v9
	v_and_or_b32 v8, v8, 7, v9
	s_and_b64 s[28:29], vcc, s[28:29]
	v_cndmask_b32_e64 v8, v8, 0, s[28:29]
	v_or_b32_e32 v16, v8, v24
.LBB4_4017:                             ;   in Loop: Header=BB4_2583 Depth=4
	s_or_b64 exec, exec, s[36:37]
                                        ; implicit-def: $vgpr24
.LBB4_4018:                             ;   in Loop: Header=BB4_2583 Depth=4
	s_andn2_saveexec_b64 s[28:29], s[34:35]
; %bb.4019:                             ;   in Loop: Header=BB4_2583 Depth=4
	v_or_b32_e32 v16, 0x7e, v24
; %bb.4020:                             ;   in Loop: Header=BB4_2583 Depth=4
	s_or_b64 exec, exec, s[28:29]
                                        ; implicit-def: $vgpr8
.LBB4_4021:                             ;   in Loop: Header=BB4_2583 Depth=4
	s_andn2_saveexec_b64 s[28:29], s[30:31]
; %bb.4022:                             ;   in Loop: Header=BB4_2583 Depth=4
	v_or_b32_sdwa v16, v8, s68 dst_sel:DWORD dst_unused:UNUSED_PAD src0_sel:BYTE_3 src1_sel:DWORD
; %bb.4023:                             ;   in Loop: Header=BB4_2583 Depth=4
	s_or_b64 exec, exec, s[28:29]
	v_lshrrev_b32_e32 v8, 16, v2
	v_cmp_ne_u16_sdwa vcc, v8, v3 src0_sel:BYTE_0 src1_sel:DWORD
	v_mov_b32_e32 v9, 0
	v_mov_b32_e32 v12, 0
	s_and_saveexec_b64 s[28:29], vcc
	s_cbranch_execz .LBB4_4029
; %bb.4024:                             ;   in Loop: Header=BB4_2583 Depth=4
	v_cmp_ne_u16_sdwa vcc, v8, s70 src0_sel:BYTE_0 src1_sel:DWORD
	v_bfrev_b32_e32 v12, 1
	s_and_saveexec_b64 s[30:31], vcc
	s_cbranch_execz .LBB4_4028
; %bb.4025:                             ;   in Loop: Header=BB4_2583 Depth=4
	v_bfe_u32 v13, v2, 16, 7
	v_cmp_ne_u32_e32 vcc, s68, v13
	v_mov_b32_e32 v12, 0x7f800001
	s_and_saveexec_b64 s[34:35], vcc
	s_cbranch_execz .LBB4_4027
; %bb.4026:                             ;   in Loop: Header=BB4_2583 Depth=4
	v_and_b32_e32 v22, 7, v8
	v_ffbh_u32_e32 v12, v22
	v_min_u32_e32 v24, 32, v12
	v_subrev_u32_e32 v12, 28, v24
	v_lshrrev_b32_e32 v23, 3, v13
	v_cmp_gt_u32_e32 vcc, 8, v13
	v_lshlrev_b64 v[12:13], v12, v[8:9]
	v_sub_u32_e32 v13, 29, v24
	v_and_b32_e32 v12, 7, v12
	v_cndmask_b32_e32 v13, v23, v13, vcc
	v_cndmask_b32_e32 v12, v22, v12, vcc
	v_lshlrev_b32_e32 v8, 24, v8
	v_lshlrev_b32_e32 v12, 20, v12
	v_and_b32_e32 v8, 0x80000000, v8
	v_lshl_add_u32 v13, v13, 23, v5
	v_or3_b32 v12, v8, v13, v12
.LBB4_4027:                             ;   in Loop: Header=BB4_2583 Depth=4
	s_or_b64 exec, exec, s[34:35]
.LBB4_4028:                             ;   in Loop: Header=BB4_2583 Depth=4
	s_or_b64 exec, exec, s[30:31]
.LBB4_4029:                             ;   in Loop: Header=BB4_2583 Depth=4
	s_or_b64 exec, exec, s[28:29]
	v_lshrrev_b32_e32 v8, 16, v10
	v_cmp_ne_u16_sdwa vcc, v8, v3 src0_sel:BYTE_0 src1_sel:DWORD
	s_and_saveexec_b64 s[28:29], vcc
	s_cbranch_execz .LBB4_4035
; %bb.4030:                             ;   in Loop: Header=BB4_2583 Depth=4
	v_cmp_ne_u16_sdwa vcc, v8, s70 src0_sel:BYTE_0 src1_sel:DWORD
	v_bfrev_b32_e32 v9, 1
	s_and_saveexec_b64 s[30:31], vcc
	s_cbranch_execz .LBB4_4034
; %bb.4031:                             ;   in Loop: Header=BB4_2583 Depth=4
	v_bfe_u32 v13, v10, 16, 7
	v_cmp_ne_u32_e32 vcc, s68, v13
	v_mov_b32_e32 v9, 0x7f800001
	s_and_saveexec_b64 s[34:35], vcc
	s_cbranch_execz .LBB4_4033
; %bb.4032:                             ;   in Loop: Header=BB4_2583 Depth=4
	v_and_b32_e32 v22, 7, v8
	v_ffbh_u32_e32 v9, v22
	v_lshrrev_b32_e32 v23, 3, v13
	v_cmp_gt_u32_e32 vcc, 8, v13
	v_min_u32_e32 v13, 32, v9
	v_subrev_u32_e32 v9, 28, v13
	v_lshlrev_b64 v[8:9], v9, v[8:9]
	v_sub_u32_e32 v9, 29, v13
	v_and_b32_e32 v8, 7, v8
	v_cndmask_b32_e32 v9, v23, v9, vcc
	v_cndmask_b32_e32 v8, v22, v8, vcc
	v_lshlrev_b32_e32 v13, 8, v10
	v_lshlrev_b32_e32 v8, 20, v8
	v_and_b32_e32 v13, 0x80000000, v13
	v_lshl_add_u32 v9, v9, 23, v5
	v_or3_b32 v9, v13, v9, v8
.LBB4_4033:                             ;   in Loop: Header=BB4_2583 Depth=4
	s_or_b64 exec, exec, s[34:35]
.LBB4_4034:                             ;   in Loop: Header=BB4_2583 Depth=4
	s_or_b64 exec, exec, s[30:31]
.LBB4_4035:                             ;   in Loop: Header=BB4_2583 Depth=4
	s_or_b64 exec, exec, s[28:29]
	v_add_f32_e32 v8, v12, v9
	v_and_b32_e32 v12, 0x7f800000, v8
	v_mov_b32_e32 v13, v3
	v_cmp_ne_u64_e32 vcc, s[62:63], v[12:13]
                                        ; implicit-def: $vgpr24
	s_and_saveexec_b64 s[28:29], vcc
	s_xor_b64 s[30:31], exec, s[28:29]
	s_cbranch_execz .LBB4_4049
; %bb.4036:                             ;   in Loop: Header=BB4_2583 Depth=4
	v_and_b32_e32 v12, 0x7fffffff, v8
	v_mov_b32_e32 v13, v3
	v_cmp_gt_u64_e32 vcc, s[72:73], v[12:13]
	v_and_b32_sdwa v27, v8, s70 dst_sel:DWORD dst_unused:UNUSED_PAD src0_sel:BYTE_3 src1_sel:DWORD
                                        ; implicit-def: $vgpr24
	s_and_saveexec_b64 s[28:29], vcc
	s_xor_b64 s[34:35], exec, s[28:29]
	s_cbranch_execz .LBB4_4046
; %bb.4037:                             ;   in Loop: Header=BB4_2583 Depth=4
	v_mov_b32_e32 v24, 0
	v_cmp_ne_u32_e32 vcc, 0, v8
	s_and_saveexec_b64 s[36:37], vcc
	s_cbranch_execz .LBB4_4045
; %bb.4038:                             ;   in Loop: Header=BB4_2583 Depth=4
	v_bfe_u32 v24, v8, 23, 8
	v_and_b32_e32 v9, 0x7fffff, v8
	v_cmp_gt_u32_e64 s[28:29], s71, v24
	v_sub_u32_e32 v8, 0x79, v24
	v_cmp_eq_u32_e32 vcc, 0, v24
	v_cndmask_b32_e64 v8, 0, v8, s[28:29]
	v_mov_b32_e32 v13, 0x78
	v_or_b32_e32 v12, 0x800000, v9
	v_cndmask_b32_e32 v50, v8, v13, vcc
	v_cndmask_b32_e32 v8, v12, v9, vcc
	v_add_u32_e32 v12, 20, v50
	v_lshlrev_b64 v[12:13], v12, -1
	v_mov_b32_e32 v9, v3
	v_add_u32_e32 v22, 19, v50
	v_bfi_b32 v12, v12, 0, v8
	v_lshlrev_b64 v[22:23], v22, 1
	v_lshrrev_b64 v[8:9], v50, v[8:9]
	v_bfi_b32 v13, v13, 0, 0
	v_cmp_eq_u64_e64 s[28:29], v[12:13], v[22:23]
	v_mov_b32_e32 v13, v9
	v_mov_b32_e32 v12, v8
	s_and_saveexec_b64 s[38:39], s[28:29]
; %bb.4039:                             ;   in Loop: Header=BB4_2583 Depth=4
	v_bfe_u32 v9, v8, 20, 1
	v_add_co_u32_e64 v9, s[28:29], v8, v9
	v_add_co_u32_e64 v12, s[28:29], -1, v9
; %bb.4040:                             ;   in Loop: Header=BB4_2583 Depth=4
	s_or_b64 exec, exec, s[38:39]
	v_add_u32_e32 v9, 0xffffff81, v24
	v_mov_b32_e32 v13, 0xffffff82
	v_cndmask_b32_e32 v9, v9, v13, vcc
	v_lshrrev_b32_e32 v13, 23, v8
	v_add3_u32 v24, v50, v9, v13
	v_add_u32_e32 v13, 6, v24
	v_and_b32_e32 v9, 0xfffff, v12
	v_add_u32_e32 v8, v9, v8
	v_mov_b32_e32 v9, v3
	v_cmp_ne_u32_e32 vcc, 0, v13
                                        ; implicit-def: $vgpr12
	s_and_saveexec_b64 s[28:29], vcc
	s_xor_b64 s[28:29], exec, s[28:29]
; %bb.4041:                             ;   in Loop: Header=BB4_2583 Depth=4
	v_cmp_lt_u64_e32 vcc, s[74:75], v[8:9]
	v_add_u32_e32 v12, 7, v24
	v_cndmask_b32_e32 v12, v13, v12, vcc
	v_cndmask_b32_e64 v13, 0, 1, vcc
	v_lshrrev_b64 v[8:9], v13, v[8:9]
; %bb.4042:                             ;   in Loop: Header=BB4_2583 Depth=4
	s_andn2_saveexec_b64 s[28:29], s[28:29]
; %bb.4043:                             ;   in Loop: Header=BB4_2583 Depth=4
	v_bfe_u32 v12, v8, 23, 1
; %bb.4044:                             ;   in Loop: Header=BB4_2583 Depth=4
	s_or_b64 exec, exec, s[28:29]
	v_lshrrev_b64 v[8:9], 20, v[8:9]
	v_cmp_gt_i32_e32 vcc, 16, v12
	v_cndmask_b32_e32 v9, 0, v9, vcc
	v_cndmask_b32_e32 v8, 7, v8, vcc
	v_cmp_eq_u64_e64 s[28:29], 0, v[8:9]
	v_min_i32_e32 v9, 15, v12
	v_lshlrev_b32_e32 v9, 3, v9
	v_cmp_eq_u32_e32 vcc, 0, v12
	v_and_b32_e32 v9, 0xf8, v9
	v_and_or_b32 v8, v8, 7, v9
	s_and_b64 s[28:29], vcc, s[28:29]
	v_cndmask_b32_e64 v8, v8, 0, s[28:29]
	v_or_b32_e32 v24, v8, v27
.LBB4_4045:                             ;   in Loop: Header=BB4_2583 Depth=4
	s_or_b64 exec, exec, s[36:37]
                                        ; implicit-def: $vgpr27
.LBB4_4046:                             ;   in Loop: Header=BB4_2583 Depth=4
	s_andn2_saveexec_b64 s[28:29], s[34:35]
; %bb.4047:                             ;   in Loop: Header=BB4_2583 Depth=4
	v_or_b32_e32 v24, 0x7e, v27
; %bb.4048:                             ;   in Loop: Header=BB4_2583 Depth=4
	s_or_b64 exec, exec, s[28:29]
                                        ; implicit-def: $vgpr8
.LBB4_4049:                             ;   in Loop: Header=BB4_2583 Depth=4
	s_andn2_saveexec_b64 s[28:29], s[30:31]
; %bb.4050:                             ;   in Loop: Header=BB4_2583 Depth=4
	v_or_b32_sdwa v24, v8, s68 dst_sel:DWORD dst_unused:UNUSED_PAD src0_sel:BYTE_3 src1_sel:DWORD
; %bb.4051:                             ;   in Loop: Header=BB4_2583 Depth=4
	s_or_b64 exec, exec, s[28:29]
	v_cmp_lt_u32_e32 vcc, s57, v2
	v_mov_b32_e32 v9, 0
	v_mov_b32_e32 v12, 0
	s_and_saveexec_b64 s[28:29], vcc
	s_cbranch_execz .LBB4_4057
; %bb.4052:                             ;   in Loop: Header=BB4_2583 Depth=4
	v_lshrrev_b32_e32 v8, 24, v2
	v_cmp_ne_u32_sdwa vcc, v2, s70 src0_sel:BYTE_3 src1_sel:DWORD
	v_bfrev_b32_e32 v12, 1
	s_and_saveexec_b64 s[30:31], vcc
	s_cbranch_execz .LBB4_4056
; %bb.4053:                             ;   in Loop: Header=BB4_2583 Depth=4
	v_bfe_u32 v13, v2, 24, 7
	v_cmp_ne_u32_e32 vcc, s68, v13
	v_mov_b32_e32 v12, 0x7f800001
	s_and_saveexec_b64 s[34:35], vcc
	s_cbranch_execz .LBB4_4055
; %bb.4054:                             ;   in Loop: Header=BB4_2583 Depth=4
	v_and_b32_e32 v22, 7, v8
	v_ffbh_u32_e32 v12, v22
	v_min_u32_e32 v27, 32, v12
	v_subrev_u32_e32 v12, 28, v27
	v_lshrrev_b32_e32 v23, 3, v13
	v_cmp_gt_u32_e32 vcc, 8, v13
	v_lshlrev_b64 v[12:13], v12, v[8:9]
	v_sub_u32_e32 v8, 29, v27
	v_and_b32_e32 v12, 7, v12
	v_mov_b32_e32 v13, 24
	v_cndmask_b32_e32 v8, v23, v8, vcc
	v_cndmask_b32_e32 v12, v22, v12, vcc
	v_lshlrev_b32_sdwa v2, v13, v2 dst_sel:DWORD dst_unused:UNUSED_PAD src0_sel:DWORD src1_sel:BYTE_3
	v_lshlrev_b32_e32 v12, 20, v12
	v_and_b32_e32 v2, 0x80000000, v2
	v_lshl_add_u32 v8, v8, 23, v5
	v_or3_b32 v12, v2, v8, v12
.LBB4_4055:                             ;   in Loop: Header=BB4_2583 Depth=4
	s_or_b64 exec, exec, s[34:35]
.LBB4_4056:                             ;   in Loop: Header=BB4_2583 Depth=4
	s_or_b64 exec, exec, s[30:31]
.LBB4_4057:                             ;   in Loop: Header=BB4_2583 Depth=4
	s_or_b64 exec, exec, s[28:29]
	v_cmp_lt_u32_e32 vcc, s57, v10
	s_and_saveexec_b64 s[28:29], vcc
	s_cbranch_execz .LBB4_4063
; %bb.4058:                             ;   in Loop: Header=BB4_2583 Depth=4
	v_lshrrev_b32_e32 v2, 24, v10
	v_cmp_ne_u32_e32 vcc, s70, v2
	v_bfrev_b32_e32 v9, 1
	s_and_saveexec_b64 s[30:31], vcc
	s_cbranch_execz .LBB4_4062
; %bb.4059:                             ;   in Loop: Header=BB4_2583 Depth=4
	v_bfe_u32 v8, v10, 24, 7
	v_cmp_ne_u32_e32 vcc, s68, v8
	v_mov_b32_e32 v9, 0x7f800001
	s_and_saveexec_b64 s[34:35], vcc
	s_cbranch_execz .LBB4_4061
; %bb.4060:                             ;   in Loop: Header=BB4_2583 Depth=4
	v_and_b32_e32 v13, 7, v2
	v_lshrrev_b32_e32 v22, 3, v8
	v_cmp_gt_u32_e32 vcc, 8, v8
	v_ffbh_u32_e32 v8, v13
	v_min_u32_e32 v23, 32, v8
	v_subrev_u32_e32 v8, 28, v23
	v_lshlrev_b64 v[8:9], v8, v[2:3]
	v_sub_u32_e32 v9, 29, v23
	v_and_b32_e32 v8, 7, v8
	v_cndmask_b32_e32 v9, v22, v9, vcc
	v_cndmask_b32_e32 v8, v13, v8, vcc
	v_lshlrev_b32_e32 v2, 24, v2
	v_lshlrev_b32_e32 v8, 20, v8
	v_and_b32_e32 v2, 0x80000000, v2
	v_lshl_add_u32 v9, v9, 23, v5
	v_or3_b32 v9, v2, v9, v8
.LBB4_4061:                             ;   in Loop: Header=BB4_2583 Depth=4
	s_or_b64 exec, exec, s[34:35]
.LBB4_4062:                             ;   in Loop: Header=BB4_2583 Depth=4
	s_or_b64 exec, exec, s[30:31]
.LBB4_4063:                             ;   in Loop: Header=BB4_2583 Depth=4
	s_or_b64 exec, exec, s[28:29]
	v_add_f32_e32 v8, v12, v9
	v_and_b32_e32 v2, 0x7f800000, v8
	v_cmp_ne_u64_e32 vcc, s[62:63], v[2:3]
                                        ; implicit-def: $vgpr27
	s_and_saveexec_b64 s[28:29], vcc
	s_xor_b64 s[30:31], exec, s[28:29]
	s_cbranch_execz .LBB4_4077
; %bb.4064:                             ;   in Loop: Header=BB4_2583 Depth=4
	v_and_b32_e32 v2, 0x7fffffff, v8
	v_cmp_gt_u64_e32 vcc, s[72:73], v[2:3]
	v_and_b32_sdwa v50, v8, s70 dst_sel:DWORD dst_unused:UNUSED_PAD src0_sel:BYTE_3 src1_sel:DWORD
                                        ; implicit-def: $vgpr27
	s_and_saveexec_b64 s[28:29], vcc
	s_xor_b64 s[34:35], exec, s[28:29]
	s_cbranch_execz .LBB4_4074
; %bb.4065:                             ;   in Loop: Header=BB4_2583 Depth=4
	v_mov_b32_e32 v27, 0
	v_cmp_ne_u32_e32 vcc, 0, v8
	s_and_saveexec_b64 s[36:37], vcc
	s_cbranch_execz .LBB4_4073
; %bb.4066:                             ;   in Loop: Header=BB4_2583 Depth=4
	v_bfe_u32 v27, v8, 23, 8
	v_and_b32_e32 v2, 0x7fffff, v8
	v_cmp_gt_u32_e64 s[28:29], s71, v27
	v_sub_u32_e32 v8, 0x79, v27
	v_cmp_eq_u32_e32 vcc, 0, v27
	v_cndmask_b32_e64 v8, 0, v8, s[28:29]
	v_mov_b32_e32 v12, 0x78
	v_cndmask_b32_e32 v40, v8, v12, vcc
	v_or_b32_e32 v9, 0x800000, v2
	v_add_u32_e32 v8, 20, v40
	v_cndmask_b32_e32 v2, v9, v2, vcc
	v_lshlrev_b64 v[8:9], v8, -1
	v_add_u32_e32 v12, 19, v40
	v_lshlrev_b64 v[12:13], v12, 1
	v_bfi_b32 v9, v9, 0, 0
	v_bfi_b32 v8, v8, 0, v2
	v_cmp_eq_u64_e64 s[28:29], v[8:9], v[12:13]
	v_lshrrev_b64 v[8:9], v40, v[2:3]
	v_mov_b32_e32 v13, v9
	v_mov_b32_e32 v12, v8
	s_and_saveexec_b64 s[38:39], s[28:29]
; %bb.4067:                             ;   in Loop: Header=BB4_2583 Depth=4
	v_bfe_u32 v2, v8, 20, 1
	v_add_co_u32_e64 v2, s[28:29], v8, v2
	v_add_co_u32_e64 v12, s[28:29], -1, v2
; %bb.4068:                             ;   in Loop: Header=BB4_2583 Depth=4
	s_or_b64 exec, exec, s[38:39]
	v_add_u32_e32 v2, 0xffffff81, v27
	v_mov_b32_e32 v9, 0xffffff82
	v_cndmask_b32_e32 v2, v2, v9, vcc
	v_lshrrev_b32_e32 v9, 23, v8
	v_add3_u32 v27, v40, v2, v9
	v_add_u32_e32 v13, 6, v27
	v_and_b32_e32 v2, 0xfffff, v12
	v_add_u32_e32 v2, v2, v8
	v_cmp_ne_u32_e32 vcc, 0, v13
                                        ; implicit-def: $vgpr8_vgpr9
                                        ; implicit-def: $vgpr12
	s_and_saveexec_b64 s[28:29], vcc
	s_xor_b64 s[28:29], exec, s[28:29]
; %bb.4069:                             ;   in Loop: Header=BB4_2583 Depth=4
	v_cmp_lt_u64_e32 vcc, s[74:75], v[2:3]
	v_add_u32_e32 v8, 7, v27
	v_cndmask_b32_e32 v12, v13, v8, vcc
	v_cndmask_b32_e64 v8, 0, 1, vcc
	v_lshrrev_b64 v[8:9], v8, v[2:3]
; %bb.4070:                             ;   in Loop: Header=BB4_2583 Depth=4
	s_andn2_saveexec_b64 s[28:29], s[28:29]
; %bb.4071:                             ;   in Loop: Header=BB4_2583 Depth=4
	v_mov_b32_e32 v9, v3
	v_bfe_u32 v12, v2, 23, 1
	v_mov_b32_e32 v8, v2
; %bb.4072:                             ;   in Loop: Header=BB4_2583 Depth=4
	s_or_b64 exec, exec, s[28:29]
	v_lshrrev_b64 v[8:9], 20, v[8:9]
	v_cmp_gt_i32_e32 vcc, 16, v12
	v_cndmask_b32_e32 v9, 0, v9, vcc
	v_cndmask_b32_e32 v8, 7, v8, vcc
	v_min_i32_e32 v2, 15, v12
	v_cmp_eq_u64_e64 s[28:29], 0, v[8:9]
	v_lshlrev_b32_e32 v2, 3, v2
	v_cmp_eq_u32_e32 vcc, 0, v12
	v_and_b32_e32 v2, 0xf8, v2
	v_and_or_b32 v2, v8, 7, v2
	s_and_b64 s[28:29], vcc, s[28:29]
	v_cndmask_b32_e64 v2, v2, 0, s[28:29]
	v_or_b32_e32 v27, v2, v50
.LBB4_4073:                             ;   in Loop: Header=BB4_2583 Depth=4
	s_or_b64 exec, exec, s[36:37]
                                        ; implicit-def: $vgpr50
.LBB4_4074:                             ;   in Loop: Header=BB4_2583 Depth=4
	s_andn2_saveexec_b64 s[28:29], s[34:35]
; %bb.4075:                             ;   in Loop: Header=BB4_2583 Depth=4
	v_or_b32_e32 v27, 0x7e, v50
; %bb.4076:                             ;   in Loop: Header=BB4_2583 Depth=4
	s_or_b64 exec, exec, s[28:29]
                                        ; implicit-def: $vgpr8
.LBB4_4077:                             ;   in Loop: Header=BB4_2583 Depth=4
	s_andn2_saveexec_b64 s[28:29], s[30:31]
; %bb.4078:                             ;   in Loop: Header=BB4_2583 Depth=4
	v_or_b32_sdwa v27, v8, s68 dst_sel:DWORD dst_unused:UNUSED_PAD src0_sel:BYTE_3 src1_sel:DWORD
; %bb.4079:                             ;   in Loop: Header=BB4_2583 Depth=4
	s_or_b64 exec, exec, s[28:29]
	v_lshlrev_b32_e32 v2, 24, v25
	v_lshlrev_b32_e32 v8, 16, v31
	v_lshl_or_b32 v18, v18, 8, v6
	v_or3_b32 v2, v8, v2, v18
	v_cmp_ne_u32_e32 vcc, 0, v6
	v_mov_b32_e32 v9, 0
	v_mov_b32_e32 v8, 0
	s_and_saveexec_b64 s[28:29], vcc
	s_cbranch_execz .LBB4_4085
; %bb.4080:                             ;   in Loop: Header=BB4_2583 Depth=4
	v_cmp_ne_u32_e32 vcc, s70, v6
	v_bfrev_b32_e32 v8, 1
	s_and_saveexec_b64 s[30:31], vcc
	s_cbranch_execz .LBB4_4084
; %bb.4081:                             ;   in Loop: Header=BB4_2583 Depth=4
	v_and_b32_e32 v12, 0x7f, v6
	v_cmp_ne_u32_e32 vcc, s68, v12
	v_mov_b32_e32 v8, 0x7f800001
	s_and_saveexec_b64 s[34:35], vcc
	s_cbranch_execz .LBB4_4083
; %bb.4082:                             ;   in Loop: Header=BB4_2583 Depth=4
	v_and_b32_e32 v6, 7, v6
	v_ffbh_u32_e32 v6, v6
	v_min_u32_e32 v6, 32, v6
	v_lshrrev_b32_e32 v8, 3, v12
	v_cmp_gt_u32_e32 vcc, 8, v12
	v_subrev_u32_e32 v12, 28, v6
	v_sub_u32_e32 v6, 29, v6
	v_cndmask_b32_e32 v6, v8, v6, vcc
	v_cndmask_b32_e32 v8, 0, v12, vcc
	v_lshlrev_b64 v[12:13], v8, v[2:3]
	v_lshl_add_u32 v6, v6, 23, v5
	v_lshlrev_b32_e32 v8, 20, v12
	v_lshlrev_b32_e32 v12, 24, v2
	v_and_b32_e32 v8, 0x700000, v8
	v_and_b32_e32 v12, 0x80000000, v12
	v_or3_b32 v8, v12, v6, v8
.LBB4_4083:                             ;   in Loop: Header=BB4_2583 Depth=4
	s_or_b64 exec, exec, s[34:35]
.LBB4_4084:                             ;   in Loop: Header=BB4_2583 Depth=4
	s_or_b64 exec, exec, s[30:31]
.LBB4_4085:                             ;   in Loop: Header=BB4_2583 Depth=4
	s_or_b64 exec, exec, s[28:29]
	v_cmp_ne_u16_sdwa vcc, v11, v3 src0_sel:BYTE_0 src1_sel:DWORD
	s_and_saveexec_b64 s[28:29], vcc
	s_cbranch_execz .LBB4_4091
; %bb.4086:                             ;   in Loop: Header=BB4_2583 Depth=4
	v_cmp_ne_u16_sdwa vcc, v11, s70 src0_sel:BYTE_0 src1_sel:DWORD
	v_bfrev_b32_e32 v9, 1
	s_and_saveexec_b64 s[30:31], vcc
	s_cbranch_execz .LBB4_4090
; %bb.4087:                             ;   in Loop: Header=BB4_2583 Depth=4
	v_and_b32_e32 v6, 0x7f, v11
	v_cmp_ne_u32_e32 vcc, s68, v6
	v_mov_b32_e32 v9, 0x7f800001
	s_and_saveexec_b64 s[34:35], vcc
	s_cbranch_execz .LBB4_4089
; %bb.4088:                             ;   in Loop: Header=BB4_2583 Depth=4
	v_and_b32_e32 v9, 7, v11
	v_lshrrev_b32_e32 v22, 3, v6
	v_cmp_gt_u32_e32 vcc, 8, v6
	v_ffbh_u32_e32 v6, v9
	v_min_u32_e32 v6, 32, v6
	v_subrev_u32_e32 v9, 28, v6
	v_mov_b32_e32 v12, v11
	v_mov_b32_e32 v13, v3
	v_sub_u32_e32 v6, 29, v6
	v_cndmask_b32_e32 v9, 0, v9, vcc
	v_cndmask_b32_e32 v6, v22, v6, vcc
	v_lshlrev_b64 v[22:23], v9, v[12:13]
	v_lshlrev_b32_e32 v12, 24, v12
	v_lshlrev_b32_e32 v9, 20, v22
	v_and_b32_e32 v9, 0x700000, v9
	v_and_b32_e32 v12, 0x80000000, v12
	v_lshl_add_u32 v6, v6, 23, v5
	v_or3_b32 v9, v12, v6, v9
.LBB4_4089:                             ;   in Loop: Header=BB4_2583 Depth=4
	s_or_b64 exec, exec, s[34:35]
.LBB4_4090:                             ;   in Loop: Header=BB4_2583 Depth=4
	s_or_b64 exec, exec, s[30:31]
.LBB4_4091:                             ;   in Loop: Header=BB4_2583 Depth=4
	s_or_b64 exec, exec, s[28:29]
	v_add_f32_e32 v8, v8, v9
	v_and_b32_e32 v12, 0x7f800000, v8
	v_mov_b32_e32 v13, v3
	v_cmp_ne_u64_e32 vcc, s[62:63], v[12:13]
                                        ; implicit-def: $vgpr6
	s_and_saveexec_b64 s[28:29], vcc
	s_xor_b64 s[30:31], exec, s[28:29]
	s_cbranch_execz .LBB4_4105
; %bb.4092:                             ;   in Loop: Header=BB4_2583 Depth=4
	v_and_b32_e32 v12, 0x7fffffff, v8
	v_mov_b32_e32 v13, v3
	v_cmp_gt_u64_e32 vcc, s[72:73], v[12:13]
	v_and_b32_sdwa v25, v8, s70 dst_sel:DWORD dst_unused:UNUSED_PAD src0_sel:BYTE_3 src1_sel:DWORD
                                        ; implicit-def: $vgpr6
	s_and_saveexec_b64 s[28:29], vcc
	s_xor_b64 s[34:35], exec, s[28:29]
	s_cbranch_execz .LBB4_4102
; %bb.4093:                             ;   in Loop: Header=BB4_2583 Depth=4
	v_mov_b32_e32 v6, 0
	v_cmp_ne_u32_e32 vcc, 0, v8
	s_and_saveexec_b64 s[36:37], vcc
	s_cbranch_execz .LBB4_4101
; %bb.4094:                             ;   in Loop: Header=BB4_2583 Depth=4
	v_bfe_u32 v6, v8, 23, 8
	v_and_b32_e32 v9, 0x7fffff, v8
	v_cmp_gt_u32_e64 s[28:29], s71, v6
	v_sub_u32_e32 v8, 0x79, v6
	v_cmp_eq_u32_e32 vcc, 0, v6
	v_cndmask_b32_e64 v8, 0, v8, s[28:29]
	v_mov_b32_e32 v13, 0x78
	v_or_b32_e32 v12, 0x800000, v9
	v_cndmask_b32_e32 v31, v8, v13, vcc
	v_cndmask_b32_e32 v8, v12, v9, vcc
	v_add_u32_e32 v12, 20, v31
	v_lshlrev_b64 v[12:13], v12, -1
	v_mov_b32_e32 v9, v3
	v_add_u32_e32 v22, 19, v31
	v_bfi_b32 v12, v12, 0, v8
	v_lshlrev_b64 v[22:23], v22, 1
	v_lshrrev_b64 v[8:9], v31, v[8:9]
	v_bfi_b32 v13, v13, 0, 0
	v_cmp_eq_u64_e64 s[28:29], v[12:13], v[22:23]
	v_mov_b32_e32 v13, v9
	v_mov_b32_e32 v12, v8
	s_and_saveexec_b64 s[38:39], s[28:29]
; %bb.4095:                             ;   in Loop: Header=BB4_2583 Depth=4
	v_bfe_u32 v9, v8, 20, 1
	v_add_co_u32_e64 v9, s[28:29], v8, v9
	v_add_co_u32_e64 v12, s[28:29], -1, v9
; %bb.4096:                             ;   in Loop: Header=BB4_2583 Depth=4
	s_or_b64 exec, exec, s[38:39]
	v_add_u32_e32 v6, 0xffffff81, v6
	v_mov_b32_e32 v9, 0xffffff82
	v_cndmask_b32_e32 v6, v6, v9, vcc
	v_lshrrev_b32_e32 v9, 23, v8
	v_add3_u32 v31, v31, v6, v9
	v_add_u32_e32 v13, 6, v31
	v_and_b32_e32 v6, 0xfffff, v12
	v_add_u32_e32 v8, v6, v8
	v_mov_b32_e32 v9, v3
	v_cmp_ne_u32_e32 vcc, 0, v13
                                        ; implicit-def: $vgpr6
	s_and_saveexec_b64 s[28:29], vcc
	s_xor_b64 s[28:29], exec, s[28:29]
; %bb.4097:                             ;   in Loop: Header=BB4_2583 Depth=4
	v_cmp_lt_u64_e32 vcc, s[74:75], v[8:9]
	v_add_u32_e32 v6, 7, v31
	v_cndmask_b32_e64 v12, 0, 1, vcc
	v_lshrrev_b64 v[8:9], v12, v[8:9]
	v_cndmask_b32_e32 v6, v13, v6, vcc
; %bb.4098:                             ;   in Loop: Header=BB4_2583 Depth=4
	s_andn2_saveexec_b64 s[28:29], s[28:29]
; %bb.4099:                             ;   in Loop: Header=BB4_2583 Depth=4
	v_bfe_u32 v6, v8, 23, 1
; %bb.4100:                             ;   in Loop: Header=BB4_2583 Depth=4
	s_or_b64 exec, exec, s[28:29]
	v_lshrrev_b64 v[8:9], 20, v[8:9]
	v_cmp_gt_i32_e32 vcc, 16, v6
	v_cndmask_b32_e32 v9, 0, v9, vcc
	v_cndmask_b32_e32 v8, 7, v8, vcc
	v_cmp_eq_u32_e32 vcc, 0, v6
	v_min_i32_e32 v6, 15, v6
	v_cmp_eq_u64_e64 s[28:29], 0, v[8:9]
	v_lshlrev_b32_e32 v6, 3, v6
	v_and_b32_e32 v6, 0xf8, v6
	v_and_or_b32 v6, v8, 7, v6
	s_and_b64 s[28:29], vcc, s[28:29]
	v_cndmask_b32_e64 v6, v6, 0, s[28:29]
	v_or_b32_e32 v6, v6, v25
.LBB4_4101:                             ;   in Loop: Header=BB4_2583 Depth=4
	s_or_b64 exec, exec, s[36:37]
                                        ; implicit-def: $vgpr25
.LBB4_4102:                             ;   in Loop: Header=BB4_2583 Depth=4
	s_andn2_saveexec_b64 s[28:29], s[34:35]
; %bb.4103:                             ;   in Loop: Header=BB4_2583 Depth=4
	v_or_b32_e32 v6, 0x7e, v25
; %bb.4104:                             ;   in Loop: Header=BB4_2583 Depth=4
	s_or_b64 exec, exec, s[28:29]
                                        ; implicit-def: $vgpr8
.LBB4_4105:                             ;   in Loop: Header=BB4_2583 Depth=4
	s_andn2_saveexec_b64 s[28:29], s[30:31]
; %bb.4106:                             ;   in Loop: Header=BB4_2583 Depth=4
	v_or_b32_sdwa v6, v8, s68 dst_sel:DWORD dst_unused:UNUSED_PAD src0_sel:BYTE_3 src1_sel:DWORD
; %bb.4107:                             ;   in Loop: Header=BB4_2583 Depth=4
	s_or_b64 exec, exec, s[28:29]
	v_lshrrev_b16_e32 v8, 8, v18
	v_cmp_ne_u16_e32 vcc, 0, v8
	v_mov_b32_e32 v9, 0
	v_mov_b32_e32 v12, 0
	s_and_saveexec_b64 s[28:29], vcc
	s_cbranch_execz .LBB4_4113
; %bb.4108:                             ;   in Loop: Header=BB4_2583 Depth=4
	v_cmp_ne_u16_e32 vcc, s70, v8
	v_bfrev_b32_e32 v12, 1
	s_and_saveexec_b64 s[30:31], vcc
	s_cbranch_execz .LBB4_4112
; %bb.4109:                             ;   in Loop: Header=BB4_2583 Depth=4
	v_and_b32_e32 v13, 0x7f, v8
	v_cmp_ne_u32_e32 vcc, s68, v13
	v_mov_b32_e32 v12, 0x7f800001
	s_and_saveexec_b64 s[34:35], vcc
	s_cbranch_execz .LBB4_4111
; %bb.4110:                             ;   in Loop: Header=BB4_2583 Depth=4
	v_and_b32_e32 v22, 7, v8
	v_ffbh_u32_e32 v12, v22
	v_min_u32_e32 v25, 32, v12
	v_subrev_u32_e32 v12, 28, v25
	v_lshrrev_b32_e32 v23, 3, v13
	v_cmp_gt_u32_e32 vcc, 8, v13
	v_lshlrev_b64 v[12:13], v12, v[8:9]
	v_sub_u32_e32 v8, 29, v25
	v_and_b32_e32 v12, 7, v12
	v_cndmask_b32_e32 v8, v23, v8, vcc
	v_cndmask_b32_e32 v12, v22, v12, vcc
	v_lshlrev_b32_e32 v13, 16, v18
	v_lshlrev_b32_e32 v12, 20, v12
	v_and_b32_e32 v13, 0x80000000, v13
	v_lshl_add_u32 v8, v8, 23, v5
	v_or3_b32 v12, v13, v8, v12
.LBB4_4111:                             ;   in Loop: Header=BB4_2583 Depth=4
	s_or_b64 exec, exec, s[34:35]
.LBB4_4112:                             ;   in Loop: Header=BB4_2583 Depth=4
	s_or_b64 exec, exec, s[30:31]
.LBB4_4113:                             ;   in Loop: Header=BB4_2583 Depth=4
	s_or_b64 exec, exec, s[28:29]
	v_lshrrev_b16_e32 v8, 8, v11
	v_cmp_ne_u16_e32 vcc, 0, v8
	s_and_saveexec_b64 s[28:29], vcc
	s_cbranch_execz .LBB4_4119
; %bb.4114:                             ;   in Loop: Header=BB4_2583 Depth=4
	v_cmp_ne_u16_e32 vcc, s70, v8
	v_bfrev_b32_e32 v9, 1
	s_and_saveexec_b64 s[30:31], vcc
	s_cbranch_execz .LBB4_4118
; %bb.4115:                             ;   in Loop: Header=BB4_2583 Depth=4
	v_and_b32_e32 v13, 0x7f, v8
	v_cmp_ne_u32_e32 vcc, s68, v13
	v_mov_b32_e32 v9, 0x7f800001
	s_and_saveexec_b64 s[34:35], vcc
	s_cbranch_execz .LBB4_4117
; %bb.4116:                             ;   in Loop: Header=BB4_2583 Depth=4
	v_and_b32_e32 v18, 7, v8
	v_ffbh_u32_e32 v9, v18
	v_lshrrev_b32_e32 v22, 3, v13
	v_cmp_gt_u32_e32 vcc, 8, v13
	v_min_u32_e32 v13, 32, v9
	v_subrev_u32_e32 v9, 28, v13
	v_lshlrev_b64 v[8:9], v9, v[8:9]
	v_sub_u32_e32 v9, 29, v13
	v_and_b32_e32 v8, 7, v8
	v_cndmask_b32_e32 v9, v22, v9, vcc
	v_cndmask_b32_e32 v8, v18, v8, vcc
	v_lshlrev_b32_e32 v13, 16, v11
	v_lshlrev_b32_e32 v8, 20, v8
	v_and_b32_e32 v13, 0x80000000, v13
	v_lshl_add_u32 v9, v9, 23, v5
	v_or3_b32 v9, v13, v9, v8
.LBB4_4117:                             ;   in Loop: Header=BB4_2583 Depth=4
	s_or_b64 exec, exec, s[34:35]
.LBB4_4118:                             ;   in Loop: Header=BB4_2583 Depth=4
	s_or_b64 exec, exec, s[30:31]
.LBB4_4119:                             ;   in Loop: Header=BB4_2583 Depth=4
	s_or_b64 exec, exec, s[28:29]
	v_add_f32_e32 v8, v12, v9
	v_and_b32_e32 v12, 0x7f800000, v8
	v_mov_b32_e32 v13, v3
	v_cmp_ne_u64_e32 vcc, s[62:63], v[12:13]
                                        ; implicit-def: $vgpr18
	s_and_saveexec_b64 s[28:29], vcc
	s_xor_b64 s[30:31], exec, s[28:29]
	s_cbranch_execz .LBB4_4133
; %bb.4120:                             ;   in Loop: Header=BB4_2583 Depth=4
	v_and_b32_e32 v12, 0x7fffffff, v8
	v_mov_b32_e32 v13, v3
	v_cmp_gt_u64_e32 vcc, s[72:73], v[12:13]
	v_and_b32_sdwa v25, v8, s70 dst_sel:DWORD dst_unused:UNUSED_PAD src0_sel:BYTE_3 src1_sel:DWORD
                                        ; implicit-def: $vgpr18
	s_and_saveexec_b64 s[28:29], vcc
	s_xor_b64 s[34:35], exec, s[28:29]
	s_cbranch_execz .LBB4_4130
; %bb.4121:                             ;   in Loop: Header=BB4_2583 Depth=4
	v_mov_b32_e32 v18, 0
	v_cmp_ne_u32_e32 vcc, 0, v8
	s_and_saveexec_b64 s[36:37], vcc
	s_cbranch_execz .LBB4_4129
; %bb.4122:                             ;   in Loop: Header=BB4_2583 Depth=4
	v_bfe_u32 v18, v8, 23, 8
	v_and_b32_e32 v9, 0x7fffff, v8
	v_cmp_gt_u32_e64 s[28:29], s71, v18
	v_sub_u32_e32 v8, 0x79, v18
	v_cmp_eq_u32_e32 vcc, 0, v18
	v_cndmask_b32_e64 v8, 0, v8, s[28:29]
	v_mov_b32_e32 v13, 0x78
	v_or_b32_e32 v12, 0x800000, v9
	v_cndmask_b32_e32 v31, v8, v13, vcc
	v_cndmask_b32_e32 v8, v12, v9, vcc
	v_add_u32_e32 v12, 20, v31
	v_lshlrev_b64 v[12:13], v12, -1
	v_mov_b32_e32 v9, v3
	v_add_u32_e32 v22, 19, v31
	v_bfi_b32 v12, v12, 0, v8
	v_lshlrev_b64 v[22:23], v22, 1
	v_lshrrev_b64 v[8:9], v31, v[8:9]
	v_bfi_b32 v13, v13, 0, 0
	v_cmp_eq_u64_e64 s[28:29], v[12:13], v[22:23]
	v_mov_b32_e32 v13, v9
	v_mov_b32_e32 v12, v8
	s_and_saveexec_b64 s[38:39], s[28:29]
; %bb.4123:                             ;   in Loop: Header=BB4_2583 Depth=4
	v_bfe_u32 v9, v8, 20, 1
	v_add_co_u32_e64 v9, s[28:29], v8, v9
	v_add_co_u32_e64 v12, s[28:29], -1, v9
; %bb.4124:                             ;   in Loop: Header=BB4_2583 Depth=4
	s_or_b64 exec, exec, s[38:39]
	v_add_u32_e32 v9, 0xffffff81, v18
	v_mov_b32_e32 v13, 0xffffff82
	v_cndmask_b32_e32 v9, v9, v13, vcc
	v_lshrrev_b32_e32 v13, 23, v8
	v_add3_u32 v18, v31, v9, v13
	v_add_u32_e32 v13, 6, v18
	v_and_b32_e32 v9, 0xfffff, v12
	v_add_u32_e32 v8, v9, v8
	v_mov_b32_e32 v9, v3
	v_cmp_ne_u32_e32 vcc, 0, v13
                                        ; implicit-def: $vgpr12
	s_and_saveexec_b64 s[28:29], vcc
	s_xor_b64 s[28:29], exec, s[28:29]
; %bb.4125:                             ;   in Loop: Header=BB4_2583 Depth=4
	v_cmp_lt_u64_e32 vcc, s[74:75], v[8:9]
	v_add_u32_e32 v12, 7, v18
	v_cndmask_b32_e32 v12, v13, v12, vcc
	v_cndmask_b32_e64 v13, 0, 1, vcc
	v_lshrrev_b64 v[8:9], v13, v[8:9]
; %bb.4126:                             ;   in Loop: Header=BB4_2583 Depth=4
	s_andn2_saveexec_b64 s[28:29], s[28:29]
; %bb.4127:                             ;   in Loop: Header=BB4_2583 Depth=4
	v_bfe_u32 v12, v8, 23, 1
; %bb.4128:                             ;   in Loop: Header=BB4_2583 Depth=4
	s_or_b64 exec, exec, s[28:29]
	v_lshrrev_b64 v[8:9], 20, v[8:9]
	v_cmp_gt_i32_e32 vcc, 16, v12
	v_cndmask_b32_e32 v9, 0, v9, vcc
	v_cndmask_b32_e32 v8, 7, v8, vcc
	v_cmp_eq_u64_e64 s[28:29], 0, v[8:9]
	v_min_i32_e32 v9, 15, v12
	v_lshlrev_b32_e32 v9, 3, v9
	v_cmp_eq_u32_e32 vcc, 0, v12
	v_and_b32_e32 v9, 0xf8, v9
	v_and_or_b32 v8, v8, 7, v9
	s_and_b64 s[28:29], vcc, s[28:29]
	v_cndmask_b32_e64 v8, v8, 0, s[28:29]
	v_or_b32_e32 v18, v8, v25
.LBB4_4129:                             ;   in Loop: Header=BB4_2583 Depth=4
	s_or_b64 exec, exec, s[36:37]
                                        ; implicit-def: $vgpr25
.LBB4_4130:                             ;   in Loop: Header=BB4_2583 Depth=4
	s_andn2_saveexec_b64 s[28:29], s[34:35]
; %bb.4131:                             ;   in Loop: Header=BB4_2583 Depth=4
	v_or_b32_e32 v18, 0x7e, v25
; %bb.4132:                             ;   in Loop: Header=BB4_2583 Depth=4
	s_or_b64 exec, exec, s[28:29]
                                        ; implicit-def: $vgpr8
.LBB4_4133:                             ;   in Loop: Header=BB4_2583 Depth=4
	s_andn2_saveexec_b64 s[28:29], s[30:31]
; %bb.4134:                             ;   in Loop: Header=BB4_2583 Depth=4
	v_or_b32_sdwa v18, v8, s68 dst_sel:DWORD dst_unused:UNUSED_PAD src0_sel:BYTE_3 src1_sel:DWORD
; %bb.4135:                             ;   in Loop: Header=BB4_2583 Depth=4
	s_or_b64 exec, exec, s[28:29]
	v_lshrrev_b32_e32 v8, 16, v2
	v_cmp_ne_u16_sdwa vcc, v8, v3 src0_sel:BYTE_0 src1_sel:DWORD
	v_mov_b32_e32 v9, 0
	v_mov_b32_e32 v12, 0
	s_and_saveexec_b64 s[28:29], vcc
	s_cbranch_execz .LBB4_4141
; %bb.4136:                             ;   in Loop: Header=BB4_2583 Depth=4
	v_cmp_ne_u16_sdwa vcc, v8, s70 src0_sel:BYTE_0 src1_sel:DWORD
	v_bfrev_b32_e32 v12, 1
	s_and_saveexec_b64 s[30:31], vcc
	s_cbranch_execz .LBB4_4140
; %bb.4137:                             ;   in Loop: Header=BB4_2583 Depth=4
	v_bfe_u32 v13, v2, 16, 7
	v_cmp_ne_u32_e32 vcc, s68, v13
	v_mov_b32_e32 v12, 0x7f800001
	s_and_saveexec_b64 s[34:35], vcc
	s_cbranch_execz .LBB4_4139
; %bb.4138:                             ;   in Loop: Header=BB4_2583 Depth=4
	v_and_b32_e32 v22, 7, v8
	v_ffbh_u32_e32 v12, v22
	v_min_u32_e32 v25, 32, v12
	v_subrev_u32_e32 v12, 28, v25
	v_lshrrev_b32_e32 v23, 3, v13
	v_cmp_gt_u32_e32 vcc, 8, v13
	v_lshlrev_b64 v[12:13], v12, v[8:9]
	v_sub_u32_e32 v13, 29, v25
	v_and_b32_e32 v12, 7, v12
	v_cndmask_b32_e32 v13, v23, v13, vcc
	v_cndmask_b32_e32 v12, v22, v12, vcc
	v_lshlrev_b32_e32 v8, 24, v8
	v_lshlrev_b32_e32 v12, 20, v12
	v_and_b32_e32 v8, 0x80000000, v8
	v_lshl_add_u32 v13, v13, 23, v5
	v_or3_b32 v12, v8, v13, v12
.LBB4_4139:                             ;   in Loop: Header=BB4_2583 Depth=4
	s_or_b64 exec, exec, s[34:35]
.LBB4_4140:                             ;   in Loop: Header=BB4_2583 Depth=4
	s_or_b64 exec, exec, s[30:31]
.LBB4_4141:                             ;   in Loop: Header=BB4_2583 Depth=4
	s_or_b64 exec, exec, s[28:29]
	v_lshrrev_b32_e32 v8, 16, v11
	v_cmp_ne_u16_sdwa vcc, v8, v3 src0_sel:BYTE_0 src1_sel:DWORD
	s_and_saveexec_b64 s[28:29], vcc
	s_cbranch_execz .LBB4_4147
; %bb.4142:                             ;   in Loop: Header=BB4_2583 Depth=4
	v_cmp_ne_u16_sdwa vcc, v8, s70 src0_sel:BYTE_0 src1_sel:DWORD
	v_bfrev_b32_e32 v9, 1
	s_and_saveexec_b64 s[30:31], vcc
	s_cbranch_execz .LBB4_4146
; %bb.4143:                             ;   in Loop: Header=BB4_2583 Depth=4
	v_bfe_u32 v13, v11, 16, 7
	v_cmp_ne_u32_e32 vcc, s68, v13
	v_mov_b32_e32 v9, 0x7f800001
	s_and_saveexec_b64 s[34:35], vcc
	s_cbranch_execz .LBB4_4145
; %bb.4144:                             ;   in Loop: Header=BB4_2583 Depth=4
	v_and_b32_e32 v22, 7, v8
	v_ffbh_u32_e32 v9, v22
	v_lshrrev_b32_e32 v23, 3, v13
	v_cmp_gt_u32_e32 vcc, 8, v13
	v_min_u32_e32 v13, 32, v9
	v_subrev_u32_e32 v9, 28, v13
	v_lshlrev_b64 v[8:9], v9, v[8:9]
	v_sub_u32_e32 v9, 29, v13
	v_and_b32_e32 v8, 7, v8
	v_cndmask_b32_e32 v9, v23, v9, vcc
	v_cndmask_b32_e32 v8, v22, v8, vcc
	v_lshlrev_b32_e32 v13, 8, v11
	v_lshlrev_b32_e32 v8, 20, v8
	v_and_b32_e32 v13, 0x80000000, v13
	v_lshl_add_u32 v9, v9, 23, v5
	v_or3_b32 v9, v13, v9, v8
.LBB4_4145:                             ;   in Loop: Header=BB4_2583 Depth=4
	s_or_b64 exec, exec, s[34:35]
.LBB4_4146:                             ;   in Loop: Header=BB4_2583 Depth=4
	s_or_b64 exec, exec, s[30:31]
.LBB4_4147:                             ;   in Loop: Header=BB4_2583 Depth=4
	s_or_b64 exec, exec, s[28:29]
	v_add_f32_e32 v8, v12, v9
	v_and_b32_e32 v12, 0x7f800000, v8
	v_mov_b32_e32 v13, v3
	v_cmp_ne_u64_e32 vcc, s[62:63], v[12:13]
                                        ; implicit-def: $vgpr12
	s_and_saveexec_b64 s[28:29], vcc
	s_xor_b64 s[30:31], exec, s[28:29]
	s_cbranch_execz .LBB4_4161
; %bb.4148:                             ;   in Loop: Header=BB4_2583 Depth=4
	v_and_b32_e32 v12, 0x7fffffff, v8
	v_mov_b32_e32 v13, v3
	v_cmp_gt_u64_e32 vcc, s[72:73], v[12:13]
	v_and_b32_sdwa v25, v8, s70 dst_sel:DWORD dst_unused:UNUSED_PAD src0_sel:BYTE_3 src1_sel:DWORD
                                        ; implicit-def: $vgpr12
	s_and_saveexec_b64 s[28:29], vcc
	s_xor_b64 s[34:35], exec, s[28:29]
	s_cbranch_execz .LBB4_4158
; %bb.4149:                             ;   in Loop: Header=BB4_2583 Depth=4
	v_mov_b32_e32 v12, 0
	v_cmp_ne_u32_e32 vcc, 0, v8
	s_and_saveexec_b64 s[36:37], vcc
	s_cbranch_execz .LBB4_4157
; %bb.4150:                             ;   in Loop: Header=BB4_2583 Depth=4
	v_bfe_u32 v31, v8, 23, 8
	v_and_b32_e32 v9, 0x7fffff, v8
	v_cmp_gt_u32_e64 s[28:29], s71, v31
	v_sub_u32_e32 v8, 0x79, v31
	v_cmp_eq_u32_e32 vcc, 0, v31
	v_cndmask_b32_e64 v8, 0, v8, s[28:29]
	v_mov_b32_e32 v13, 0x78
	v_or_b32_e32 v12, 0x800000, v9
	v_cndmask_b32_e32 v50, v8, v13, vcc
	v_cndmask_b32_e32 v8, v12, v9, vcc
	v_add_u32_e32 v12, 20, v50
	v_lshlrev_b64 v[12:13], v12, -1
	v_mov_b32_e32 v9, v3
	v_add_u32_e32 v22, 19, v50
	v_bfi_b32 v12, v12, 0, v8
	v_lshlrev_b64 v[22:23], v22, 1
	v_lshrrev_b64 v[8:9], v50, v[8:9]
	v_bfi_b32 v13, v13, 0, 0
	v_cmp_eq_u64_e64 s[28:29], v[12:13], v[22:23]
	v_mov_b32_e32 v13, v9
	v_mov_b32_e32 v12, v8
	s_and_saveexec_b64 s[38:39], s[28:29]
; %bb.4151:                             ;   in Loop: Header=BB4_2583 Depth=4
	v_bfe_u32 v9, v8, 20, 1
	v_add_co_u32_e64 v9, s[28:29], v8, v9
	v_add_co_u32_e64 v12, s[28:29], -1, v9
; %bb.4152:                             ;   in Loop: Header=BB4_2583 Depth=4
	s_or_b64 exec, exec, s[38:39]
	v_add_u32_e32 v9, 0xffffff81, v31
	v_mov_b32_e32 v13, 0xffffff82
	v_cndmask_b32_e32 v9, v9, v13, vcc
	v_lshrrev_b32_e32 v13, 23, v8
	v_add3_u32 v31, v50, v9, v13
	v_add_u32_e32 v13, 6, v31
	v_and_b32_e32 v9, 0xfffff, v12
	v_add_u32_e32 v8, v9, v8
	v_mov_b32_e32 v9, v3
	v_cmp_ne_u32_e32 vcc, 0, v13
                                        ; implicit-def: $vgpr12
	s_and_saveexec_b64 s[28:29], vcc
	s_xor_b64 s[28:29], exec, s[28:29]
; %bb.4153:                             ;   in Loop: Header=BB4_2583 Depth=4
	v_cmp_lt_u64_e32 vcc, s[74:75], v[8:9]
	v_add_u32_e32 v12, 7, v31
	v_cndmask_b32_e32 v12, v13, v12, vcc
	v_cndmask_b32_e64 v13, 0, 1, vcc
	v_lshrrev_b64 v[8:9], v13, v[8:9]
; %bb.4154:                             ;   in Loop: Header=BB4_2583 Depth=4
	s_andn2_saveexec_b64 s[28:29], s[28:29]
; %bb.4155:                             ;   in Loop: Header=BB4_2583 Depth=4
	v_bfe_u32 v12, v8, 23, 1
; %bb.4156:                             ;   in Loop: Header=BB4_2583 Depth=4
	s_or_b64 exec, exec, s[28:29]
	v_lshrrev_b64 v[8:9], 20, v[8:9]
	v_cmp_gt_i32_e32 vcc, 16, v12
	v_cndmask_b32_e32 v9, 0, v9, vcc
	v_cndmask_b32_e32 v8, 7, v8, vcc
	v_cmp_eq_u64_e64 s[28:29], 0, v[8:9]
	v_min_i32_e32 v9, 15, v12
	v_lshlrev_b32_e32 v9, 3, v9
	v_cmp_eq_u32_e32 vcc, 0, v12
	v_and_b32_e32 v9, 0xf8, v9
	v_and_or_b32 v8, v8, 7, v9
	s_and_b64 s[28:29], vcc, s[28:29]
	v_cndmask_b32_e64 v8, v8, 0, s[28:29]
	v_or_b32_e32 v12, v8, v25
.LBB4_4157:                             ;   in Loop: Header=BB4_2583 Depth=4
	s_or_b64 exec, exec, s[36:37]
                                        ; implicit-def: $vgpr25
.LBB4_4158:                             ;   in Loop: Header=BB4_2583 Depth=4
	s_andn2_saveexec_b64 s[28:29], s[34:35]
; %bb.4159:                             ;   in Loop: Header=BB4_2583 Depth=4
	v_or_b32_e32 v12, 0x7e, v25
; %bb.4160:                             ;   in Loop: Header=BB4_2583 Depth=4
	s_or_b64 exec, exec, s[28:29]
                                        ; implicit-def: $vgpr8
.LBB4_4161:                             ;   in Loop: Header=BB4_2583 Depth=4
	s_andn2_saveexec_b64 s[28:29], s[30:31]
; %bb.4162:                             ;   in Loop: Header=BB4_2583 Depth=4
	v_or_b32_sdwa v12, v8, s68 dst_sel:DWORD dst_unused:UNUSED_PAD src0_sel:BYTE_3 src1_sel:DWORD
; %bb.4163:                             ;   in Loop: Header=BB4_2583 Depth=4
	s_or_b64 exec, exec, s[28:29]
	v_cmp_lt_u32_e32 vcc, s57, v2
	v_mov_b32_e32 v9, 0
	v_mov_b32_e32 v13, 0
	s_and_saveexec_b64 s[28:29], vcc
	s_cbranch_execz .LBB4_4169
; %bb.4164:                             ;   in Loop: Header=BB4_2583 Depth=4
	v_lshrrev_b32_e32 v8, 24, v2
	v_cmp_ne_u32_sdwa vcc, v2, s70 src0_sel:BYTE_3 src1_sel:DWORD
	v_bfrev_b32_e32 v13, 1
	s_and_saveexec_b64 s[30:31], vcc
	s_cbranch_execz .LBB4_4168
; %bb.4165:                             ;   in Loop: Header=BB4_2583 Depth=4
	v_bfe_u32 v25, v2, 24, 7
	v_cmp_ne_u32_e32 vcc, s68, v25
	v_mov_b32_e32 v13, 0x7f800001
	s_and_saveexec_b64 s[34:35], vcc
	s_cbranch_execz .LBB4_4167
; %bb.4166:                             ;   in Loop: Header=BB4_2583 Depth=4
	v_and_b32_e32 v13, 7, v8
	v_ffbh_u32_e32 v22, v13
	v_lshrrev_b32_e32 v31, 3, v25
	v_cmp_gt_u32_e32 vcc, 8, v25
	v_min_u32_e32 v25, 32, v22
	v_subrev_u32_e32 v22, 28, v25
	v_lshlrev_b64 v[22:23], v22, v[8:9]
	v_sub_u32_e32 v8, 29, v25
	v_and_b32_e32 v22, 7, v22
	v_cndmask_b32_e32 v13, v13, v22, vcc
	v_mov_b32_e32 v22, 24
	v_cndmask_b32_e32 v8, v31, v8, vcc
	v_lshlrev_b32_sdwa v2, v22, v2 dst_sel:DWORD dst_unused:UNUSED_PAD src0_sel:DWORD src1_sel:BYTE_3
	v_lshlrev_b32_e32 v13, 20, v13
	v_and_b32_e32 v2, 0x80000000, v2
	v_lshl_add_u32 v8, v8, 23, v5
	v_or3_b32 v13, v2, v8, v13
.LBB4_4167:                             ;   in Loop: Header=BB4_2583 Depth=4
	s_or_b64 exec, exec, s[34:35]
.LBB4_4168:                             ;   in Loop: Header=BB4_2583 Depth=4
	s_or_b64 exec, exec, s[30:31]
.LBB4_4169:                             ;   in Loop: Header=BB4_2583 Depth=4
	s_or_b64 exec, exec, s[28:29]
	v_cmp_lt_u64_e32 vcc, s[56:57], v[10:11]
	s_and_saveexec_b64 s[28:29], vcc
	s_cbranch_execz .LBB4_4175
; %bb.4170:                             ;   in Loop: Header=BB4_2583 Depth=4
	v_lshrrev_b32_e32 v2, 24, v11
	v_cmp_ne_u32_e32 vcc, s70, v2
	v_bfrev_b32_e32 v9, 1
	s_and_saveexec_b64 s[30:31], vcc
	s_cbranch_execz .LBB4_4174
; %bb.4171:                             ;   in Loop: Header=BB4_2583 Depth=4
	v_bfe_u32 v8, v11, 24, 7
	v_cmp_ne_u32_e32 vcc, s68, v8
	v_mov_b32_e32 v9, 0x7f800001
	s_and_saveexec_b64 s[34:35], vcc
	s_cbranch_execz .LBB4_4173
; %bb.4172:                             ;   in Loop: Header=BB4_2583 Depth=4
	v_and_b32_e32 v10, 7, v2
	v_lshrrev_b32_e32 v11, 3, v8
	v_cmp_gt_u32_e32 vcc, 8, v8
	v_ffbh_u32_e32 v8, v10
	v_min_u32_e32 v22, 32, v8
	v_subrev_u32_e32 v8, 28, v22
	v_lshlrev_b64 v[8:9], v8, v[2:3]
	v_sub_u32_e32 v9, 29, v22
	v_and_b32_e32 v8, 7, v8
	v_cndmask_b32_e32 v9, v11, v9, vcc
	v_cndmask_b32_e32 v8, v10, v8, vcc
	v_lshlrev_b32_e32 v2, 24, v2
	v_lshlrev_b32_e32 v8, 20, v8
	v_and_b32_e32 v2, 0x80000000, v2
	v_lshl_add_u32 v9, v9, 23, v5
	v_or3_b32 v9, v2, v9, v8
.LBB4_4173:                             ;   in Loop: Header=BB4_2583 Depth=4
	s_or_b64 exec, exec, s[34:35]
.LBB4_4174:                             ;   in Loop: Header=BB4_2583 Depth=4
	s_or_b64 exec, exec, s[30:31]
.LBB4_4175:                             ;   in Loop: Header=BB4_2583 Depth=4
	s_or_b64 exec, exec, s[28:29]
	v_add_f32_e32 v8, v13, v9
	v_and_b32_e32 v2, 0x7f800000, v8
	v_cmp_ne_u64_e32 vcc, s[62:63], v[2:3]
                                        ; implicit-def: $vgpr2
	s_and_saveexec_b64 s[28:29], vcc
	s_xor_b64 s[30:31], exec, s[28:29]
	s_cbranch_execz .LBB4_4189
; %bb.4176:                             ;   in Loop: Header=BB4_2583 Depth=4
	v_and_b32_e32 v2, 0x7fffffff, v8
	v_cmp_gt_u64_e32 vcc, s[72:73], v[2:3]
	v_and_b32_sdwa v11, v8, s70 dst_sel:DWORD dst_unused:UNUSED_PAD src0_sel:BYTE_3 src1_sel:DWORD
                                        ; implicit-def: $vgpr2
	s_and_saveexec_b64 s[28:29], vcc
	s_xor_b64 s[34:35], exec, s[28:29]
	s_cbranch_execz .LBB4_4186
; %bb.4177:                             ;   in Loop: Header=BB4_2583 Depth=4
	v_mov_b32_e32 v2, 0
	v_cmp_ne_u32_e32 vcc, 0, v8
	s_and_saveexec_b64 s[36:37], vcc
	s_cbranch_execz .LBB4_4185
; %bb.4178:                             ;   in Loop: Header=BB4_2583 Depth=4
	v_bfe_u32 v13, v8, 23, 8
	v_and_b32_e32 v2, 0x7fffff, v8
	v_cmp_gt_u32_e64 s[28:29], s71, v13
	v_sub_u32_e32 v8, 0x79, v13
	v_cmp_eq_u32_e32 vcc, 0, v13
	v_cndmask_b32_e64 v8, 0, v8, s[28:29]
	v_mov_b32_e32 v10, 0x78
	v_cndmask_b32_e32 v25, v8, v10, vcc
	v_or_b32_e32 v9, 0x800000, v2
	v_add_u32_e32 v8, 20, v25
	v_cndmask_b32_e32 v2, v9, v2, vcc
	v_lshlrev_b64 v[8:9], v8, -1
	v_add_u32_e32 v10, 19, v25
	v_lshlrev_b64 v[22:23], v10, 1
	v_bfi_b32 v9, v9, 0, 0
	v_bfi_b32 v8, v8, 0, v2
	v_cmp_eq_u64_e64 s[28:29], v[8:9], v[22:23]
	v_lshrrev_b64 v[8:9], v25, v[2:3]
	v_mov_b32_e32 v10, v9
	v_mov_b32_e32 v9, v8
	s_and_saveexec_b64 s[38:39], s[28:29]
; %bb.4179:                             ;   in Loop: Header=BB4_2583 Depth=4
	v_bfe_u32 v2, v8, 20, 1
	v_add_co_u32_e64 v2, s[28:29], v8, v2
	v_add_co_u32_e64 v9, s[28:29], -1, v2
; %bb.4180:                             ;   in Loop: Header=BB4_2583 Depth=4
	s_or_b64 exec, exec, s[38:39]
	v_add_u32_e32 v2, 0xffffff81, v13
	v_mov_b32_e32 v10, 0xffffff82
	v_cndmask_b32_e32 v2, v2, v10, vcc
	v_lshrrev_b32_e32 v10, 23, v8
	v_add3_u32 v25, v25, v2, v10
	v_add_u32_e32 v13, 6, v25
	v_and_b32_e32 v2, 0xfffff, v9
	v_add_u32_e32 v2, v2, v8
	v_cmp_ne_u32_e32 vcc, 0, v13
                                        ; implicit-def: $vgpr8_vgpr9
                                        ; implicit-def: $vgpr10
	s_and_saveexec_b64 s[28:29], vcc
	s_xor_b64 s[28:29], exec, s[28:29]
; %bb.4181:                             ;   in Loop: Header=BB4_2583 Depth=4
	v_cmp_lt_u64_e32 vcc, s[74:75], v[2:3]
	v_add_u32_e32 v8, 7, v25
	v_cndmask_b32_e32 v10, v13, v8, vcc
	v_cndmask_b32_e64 v8, 0, 1, vcc
	v_lshrrev_b64 v[8:9], v8, v[2:3]
; %bb.4182:                             ;   in Loop: Header=BB4_2583 Depth=4
	s_andn2_saveexec_b64 s[28:29], s[28:29]
; %bb.4183:                             ;   in Loop: Header=BB4_2583 Depth=4
	v_mov_b32_e32 v9, v3
	v_bfe_u32 v10, v2, 23, 1
	v_mov_b32_e32 v8, v2
; %bb.4184:                             ;   in Loop: Header=BB4_2583 Depth=4
	s_or_b64 exec, exec, s[28:29]
	v_lshrrev_b64 v[8:9], 20, v[8:9]
	v_cmp_gt_i32_e32 vcc, 16, v10
	v_cndmask_b32_e32 v9, 0, v9, vcc
	v_cndmask_b32_e32 v8, 7, v8, vcc
	v_min_i32_e32 v2, 15, v10
	v_cmp_eq_u64_e64 s[28:29], 0, v[8:9]
	v_lshlrev_b32_e32 v2, 3, v2
	v_cmp_eq_u32_e32 vcc, 0, v10
	v_and_b32_e32 v2, 0xf8, v2
	v_and_or_b32 v2, v8, 7, v2
	s_and_b64 s[28:29], vcc, s[28:29]
	v_cndmask_b32_e64 v2, v2, 0, s[28:29]
	v_or_b32_e32 v2, v2, v11
.LBB4_4185:                             ;   in Loop: Header=BB4_2583 Depth=4
	s_or_b64 exec, exec, s[36:37]
                                        ; implicit-def: $vgpr11
.LBB4_4186:                             ;   in Loop: Header=BB4_2583 Depth=4
	s_andn2_saveexec_b64 s[28:29], s[34:35]
; %bb.4187:                             ;   in Loop: Header=BB4_2583 Depth=4
	v_or_b32_e32 v2, 0x7e, v11
; %bb.4188:                             ;   in Loop: Header=BB4_2583 Depth=4
	s_or_b64 exec, exec, s[28:29]
                                        ; implicit-def: $vgpr8
.LBB4_4189:                             ;   in Loop: Header=BB4_2583 Depth=4
	s_andn2_saveexec_b64 s[28:29], s[30:31]
	s_cbranch_execz .LBB4_2582
; %bb.4190:                             ;   in Loop: Header=BB4_2583 Depth=4
	v_or_b32_sdwa v2, v8, s68 dst_sel:DWORD dst_unused:UNUSED_PAD src0_sel:BYTE_3 src1_sel:DWORD
	s_branch .LBB4_2582
.LBB4_4191:                             ;   in Loop: Header=BB4_2501 Depth=3
	s_or_b64 exec, exec, s[94:95]
	buffer_load_dword v21, off, s[0:3], s33 offset:220 ; 4-byte Folded Reload
	buffer_load_dword v22, off, s[0:3], s33 offset:224 ; 4-byte Folded Reload
	;; [unrolled: 1-line block ×5, first 2 shown]
.LBB4_4192:                             ;   in Loop: Header=BB4_2501 Depth=3
	s_or_b64 exec, exec, s[40:41]
	buffer_load_dword v1, off, s[0:3], s33 offset:148 ; 4-byte Folded Reload
	s_waitcnt vmcnt(1)
	v_lshlrev_b32_e32 v16, 11, v2
	s_mov_b64 s[28:29], 0
                                        ; implicit-def: $vgpr6
                                        ; implicit-def: $vgpr7
	s_waitcnt vmcnt(0)
	v_cmp_ne_u32_e32 vcc, v1, v16
	v_mov_b32_e32 v1, 0
	s_and_saveexec_b64 s[94:95], vcc
	s_cbranch_execz .LBB4_5006
; %bb.4193:                             ;   in Loop: Header=BB4_2501 Depth=3
	buffer_load_dword v1, off, s[0:3], s33 offset:148 ; 4-byte Folded Reload
	buffer_load_dword v2, off, s[0:3], s33 offset:336 ; 4-byte Folded Reload
	s_waitcnt vmcnt(1)
	v_sub_u32_e32 v4, v1, v16
	v_lshlrev_b32_e32 v1, 6, v51
	s_waitcnt vmcnt(0)
	v_sub_u32_e32 v1, v2, v1
	v_ashrrev_i32_e32 v2, 31, v1
	v_lshrrev_b32_e32 v2, 26, v2
	v_add_u32_e32 v2, v1, v2
	v_ashrrev_i32_e32 v8, 6, v2
	v_and_b32_e32 v2, 0xffffffc0, v2
	v_sub_u32_e32 v7, v1, v2
	v_lshlrev_b32_e32 v1, 4, v7
	v_lshl_add_u32 v2, v8, 10, v1
	v_ashrrev_i32_e32 v1, 31, v4
	v_lshrrev_b32_e32 v1, 22, v1
	v_add_u32_e32 v1, v4, v1
	v_ashrrev_i32_e32 v9, 10, v1
	v_and_b32_e32 v1, 0xfffffc00, v1
	v_sub_u32_e32 v6, v4, v1
	v_cmp_lt_i32_e64 s[28:29], 15, v6
	v_sub_u32_e32 v20, v4, v2
	v_addc_co_u32_e64 v4, vcc, 0, v9, s[28:29]
	v_sub_u32_e32 v18, v4, v8
	v_cmp_lt_i32_e32 vcc, 15, v20
	s_and_saveexec_b64 s[30:31], vcc
	s_cbranch_execz .LBB4_5005
; %bb.4194:                             ;   in Loop: Header=BB4_2501 Depth=3
	s_trap 2
	ds_read_b64 v[8:9], v0
	v_add_u32_e32 v2, v2, v16
	v_ashrrev_i32_e32 v4, 31, v2
	v_add_co_u32_e32 v12, vcc, v2, v13
	v_mov_b32_e32 v41, v14
	v_mov_b32_e32 v40, v13
	v_addc_co_u32_e32 v13, vcc, v4, v14, vcc
	s_waitcnt lgkmcnt(0)
	v_add_co_u32_e32 v14, vcc, v8, v2
	v_readfirstlane_b32 s40, v8
	v_addc_co_u32_e32 v15, vcc, v9, v4, vcc
	s_and_b32 s41, s40, 7
	v_add_co_u32_e32 v44, vcc, v2, v21
	s_flbit_i32_b32 s41, s41
	v_addc_co_u32_e32 v45, vcc, v4, v22, vcc
	s_min_u32 s41, s41, 32
	s_and_b32 s45, s40, 0x7f
	s_bfe_u32 vcc_lo, s40, 0x40003
	s_sub_i32 vcc_hi, s41, 28
	s_sub_i32 s41, 29, s41
	s_cmp_lt_u32 s45, 8
	s_cselect_b32 vcc_hi, vcc_hi, 0
	s_cselect_b32 s41, s41, vcc_lo
	v_lshlrev_b64 v[8:9], vcc_hi, v[8:9]
	s_lshl_b32 vcc_lo, s40, 24
	s_lshl_b32 s41, s41, 23
	s_and_b32 vcc_lo, vcc_lo, 0x80000000
	s_add_i32 s41, s41, 0x3c000000
	v_lshlrev_b32_e32 v2, 20, v8
	s_or_b32 s41, vcc_lo, s41
	v_and_b32_e32 v2, 0x700000, v2
	s_cmpk_lg_i32 s45, 0x7f
	v_mov_b32_e32 v54, v22
	v_or_b32_e32 v2, s41, v2
	s_cselect_b64 vcc, -1, 0
	v_mov_b32_e32 v4, 0x7f800001
	v_mov_b32_e32 v53, v21
	v_cndmask_b32_e32 v26, v4, v2, vcc
	s_mov_b64 s[34:35], 0
	s_and_b32 s45, s40, 0xff
	s_branch .LBB4_4196
.LBB4_4195:                             ;   in Loop: Header=BB4_4196 Depth=4
	s_or_b64 exec, exec, s[40:41]
	v_lshl_or_b32 v8, v37, 8, v29
	v_lshlrev_b32_e32 v9, 16, v39
	v_lshlrev_b32_e32 v10, 24, v30
	v_or3_b32 v9, v8, v9, v10
	v_lshl_or_b32 v4, v21, 8, v4
	v_lshlrev_b32_e32 v8, 16, v27
	v_lshlrev_b32_e32 v10, 24, v35
	v_or3_b32 v8, v4, v8, v10
	v_lshl_or_b32 v4, v31, 8, v24
	v_lshlrev_b32_e32 v10, 16, v36
	v_lshlrev_b32_e32 v11, 24, v38
	v_or3_b32 v10, v4, v10, v11
	v_lshlrev_b32_e32 v2, 24, v2
	v_lshlrev_b32_e32 v4, 16, v28
	v_lshl_or_b32 v11, v25, 8, v17
	v_or3_b32 v11, v11, v4, v2
	buffer_load_dword v2, off, s[0:3], s33 offset:92 ; 4-byte Folded Reload
	s_waitcnt vmcnt(0)
	v_add_co_u32_e32 v12, vcc, v12, v2
	v_addc_co_u32_e32 v13, vcc, 0, v13, vcc
	v_add_co_u32_e32 v14, vcc, v14, v2
	v_addc_co_u32_e32 v15, vcc, 0, v15, vcc
	global_store_dwordx4 v[44:45], v[8:11], off glc slc
	v_add_co_u32_e32 v44, vcc, v44, v2
	v_sub_u32_e32 v20, v20, v2
	buffer_load_dword v2, off, s[0:3], s33 offset:88 ; 4-byte Folded Reload
	v_addc_co_u32_e32 v45, vcc, 0, v45, vcc
	v_cmp_gt_i32_e32 vcc, 16, v20
	s_or_b64 s[34:35], vcc, s[34:35]
	s_waitcnt vmcnt(0)
	v_sub_u32_e32 v18, v18, v2
	s_andn2_b64 exec, exec, s[34:35]
	s_cbranch_execz .LBB4_5004
.LBB4_4196:                             ;   Parent Loop BB4_47 Depth=1
                                        ;     Parent Loop BB4_2498 Depth=2
                                        ;       Parent Loop BB4_2501 Depth=3
                                        ; =>      This Inner Loop Header: Depth=4
	s_cmpk_lt_i32 s45, 0x80
	s_cbranch_scc1 .LBB4_4200
; %bb.4197:                             ;   in Loop: Header=BB4_4196 Depth=4
	s_and_b32 vcc_lo, 0xffff, s45
	s_mov_b64 s[40:41], -1
	s_cmpk_eq_i32 vcc_lo, 0x80
	s_cbranch_scc0 .LBB4_4199
; %bb.4198:                             ;   in Loop: Header=BB4_4196 Depth=4
	s_mov_b64 s[40:41], 0
.LBB4_4199:                             ;   in Loop: Header=BB4_4196 Depth=4
	s_brev_b32 s36, 1
	s_branch .LBB4_4202
.LBB4_4200:                             ;   in Loop: Header=BB4_4196 Depth=4
	s_mov_b64 s[40:41], 0
	s_brev_b32 s36, 1
	s_cbranch_execz .LBB4_4202
; %bb.4201:                             ;   in Loop: Header=BB4_4196 Depth=4
	s_and_b32 s40, 0xffff, s45
	s_cmp_lg_u32 s40, 0
	s_mov_b32 s36, 0
	s_cselect_b64 s[40:41], -1, 0
.LBB4_4202:                             ;   in Loop: Header=BB4_4196 Depth=4
	s_andn2_b64 vcc, exec, s[40:41]
	v_mov_b32_e32 v21, s36
	s_cbranch_vccnz .LBB4_4204
; %bb.4203:                             ;   in Loop: Header=BB4_4196 Depth=4
	v_mov_b32_e32 v21, v26
.LBB4_4204:                             ;   in Loop: Header=BB4_4196 Depth=4
	global_load_dwordx4 v[8:11], v[12:13], off glc slc
	v_mov_b32_e32 v2, 0
	s_waitcnt vmcnt(0)
	v_cmp_ne_u16_sdwa vcc, v8, v3 src0_sel:BYTE_0 src1_sel:DWORD
	s_and_saveexec_b64 s[40:41], vcc
	s_cbranch_execz .LBB4_4210
; %bb.4205:                             ;   in Loop: Header=BB4_4196 Depth=4
	v_cmp_ne_u16_sdwa vcc, v8, s70 src0_sel:BYTE_0 src1_sel:DWORD
	v_bfrev_b32_e32 v2, 1
	s_and_saveexec_b64 s[36:37], vcc
	s_cbranch_execz .LBB4_4209
; %bb.4206:                             ;   in Loop: Header=BB4_4196 Depth=4
	v_and_b32_e32 v4, 0x7f, v8
	v_cmp_ne_u32_e32 vcc, s68, v4
	v_mov_b32_e32 v2, 0x7f800001
	s_and_saveexec_b64 s[38:39], vcc
	s_cbranch_execz .LBB4_4208
; %bb.4207:                             ;   in Loop: Header=BB4_4196 Depth=4
	v_and_b32_e32 v2, 7, v8
	v_ffbh_u32_e32 v2, v2
	v_min_u32_e32 v2, 32, v2
	v_lshrrev_b32_e32 v17, 3, v4
	v_cmp_gt_u32_e32 vcc, 8, v4
	v_subrev_u32_e32 v4, 28, v2
	v_cndmask_b32_e32 v4, 0, v4, vcc
	v_lshlrev_b64 v[22:23], v4, v[8:9]
	v_sub_u32_e32 v2, 29, v2
	v_cndmask_b32_e32 v2, v17, v2, vcc
	v_lshlrev_b32_e32 v4, 20, v22
	v_lshlrev_b32_e32 v17, 24, v8
	v_and_b32_e32 v4, 0x700000, v4
	v_and_b32_e32 v17, 0x80000000, v17
	v_lshl_add_u32 v2, v2, 23, v5
	v_or3_b32 v2, v17, v2, v4
.LBB4_4208:                             ;   in Loop: Header=BB4_4196 Depth=4
	s_or_b64 exec, exec, s[38:39]
.LBB4_4209:                             ;   in Loop: Header=BB4_4196 Depth=4
	s_or_b64 exec, exec, s[36:37]
.LBB4_4210:                             ;   in Loop: Header=BB4_4196 Depth=4
	s_or_b64 exec, exec, s[40:41]
	v_mul_f32_e32 v24, v21, v2
	v_and_b32_e32 v2, 0x7f800000, v24
	v_cmp_ne_u64_e32 vcc, s[62:63], v[2:3]
                                        ; implicit-def: $vgpr4
	s_and_saveexec_b64 s[40:41], vcc
	s_xor_b64 s[36:37], exec, s[40:41]
	s_cbranch_execz .LBB4_4224
; %bb.4211:                             ;   in Loop: Header=BB4_4196 Depth=4
	v_and_b32_e32 v2, 0x7fffffff, v24
	v_cmp_gt_u64_e32 vcc, s[72:73], v[2:3]
	v_and_b32_sdwa v17, v24, s70 dst_sel:DWORD dst_unused:UNUSED_PAD src0_sel:BYTE_3 src1_sel:DWORD
                                        ; implicit-def: $vgpr4
	s_and_saveexec_b64 s[40:41], vcc
	s_xor_b64 s[38:39], exec, s[40:41]
	s_cbranch_execz .LBB4_4221
; %bb.4212:                             ;   in Loop: Header=BB4_4196 Depth=4
	v_mov_b32_e32 v4, 0
	v_cmp_ne_u32_e32 vcc, 0, v24
	s_and_saveexec_b64 s[48:49], vcc
	s_cbranch_execz .LBB4_4220
; %bb.4213:                             ;   in Loop: Header=BB4_4196 Depth=4
	v_bfe_u32 v4, v24, 23, 8
	v_cmp_gt_u32_e64 s[40:41], s71, v4
	v_sub_u32_e32 v22, 0x79, v4
	v_and_b32_e32 v2, 0x7fffff, v24
	v_cmp_eq_u32_e32 vcc, 0, v4
	v_cndmask_b32_e64 v22, 0, v22, s[40:41]
	v_mov_b32_e32 v24, 0x78
	v_cndmask_b32_e32 v24, v22, v24, vcc
	v_or_b32_e32 v23, 0x800000, v2
	v_add_u32_e32 v22, 20, v24
	v_cndmask_b32_e32 v2, v23, v2, vcc
	v_lshlrev_b64 v[22:23], v22, -1
	v_add_u32_e32 v25, 19, v24
	v_lshlrev_b64 v[27:28], v25, 1
	v_lshrrev_b64 v[46:47], v24, v[2:3]
	v_bfi_b32 v23, v23, 0, 0
	v_bfi_b32 v22, v22, 0, v2
	v_cmp_eq_u64_e64 s[40:41], v[22:23], v[27:28]
	v_mov_b32_e32 v57, v47
	v_mov_b32_e32 v56, v46
	s_and_saveexec_b64 s[50:51], s[40:41]
; %bb.4214:                             ;   in Loop: Header=BB4_4196 Depth=4
	v_bfe_u32 v2, v46, 20, 1
	v_add_co_u32_e64 v2, s[40:41], v46, v2
	v_add_co_u32_e64 v56, s[40:41], -1, v2
; %bb.4215:                             ;   in Loop: Header=BB4_4196 Depth=4
	s_or_b64 exec, exec, s[50:51]
	v_add_u32_e32 v2, 0xffffff81, v4
	v_mov_b32_e32 v4, 0xffffff82
	v_cndmask_b32_e32 v2, v2, v4, vcc
	v_lshrrev_b32_e32 v4, 23, v46
	v_add3_u32 v25, v24, v2, v4
	v_add_u32_e32 v24, 6, v25
	v_and_b32_e32 v2, 0xfffff, v56
	v_add_u32_e32 v2, v2, v46
	v_cmp_ne_u32_e32 vcc, 0, v24
                                        ; implicit-def: $vgpr46_vgpr47
                                        ; implicit-def: $vgpr4
	s_and_saveexec_b64 s[40:41], vcc
	s_xor_b64 s[40:41], exec, s[40:41]
; %bb.4216:                             ;   in Loop: Header=BB4_4196 Depth=4
	v_cmp_lt_u64_e32 vcc, s[74:75], v[2:3]
	v_add_u32_e32 v4, 7, v25
	v_cndmask_b32_e64 v22, 0, 1, vcc
	v_cndmask_b32_e32 v4, v24, v4, vcc
	v_lshrrev_b64 v[46:47], v22, v[2:3]
; %bb.4217:                             ;   in Loop: Header=BB4_4196 Depth=4
	s_andn2_saveexec_b64 s[40:41], s[40:41]
; %bb.4218:                             ;   in Loop: Header=BB4_4196 Depth=4
	v_mov_b32_e32 v47, v3
	v_bfe_u32 v4, v2, 23, 1
	v_mov_b32_e32 v46, v2
; %bb.4219:                             ;   in Loop: Header=BB4_4196 Depth=4
	s_or_b64 exec, exec, s[40:41]
	v_lshrrev_b64 v[22:23], 20, v[46:47]
	v_cmp_gt_i32_e32 vcc, 16, v4
	v_cndmask_b32_e32 v23, 0, v23, vcc
	v_cndmask_b32_e32 v22, 7, v22, vcc
	v_min_i32_e32 v2, 15, v4
	v_cmp_eq_u64_e64 s[40:41], 0, v[22:23]
	v_lshlrev_b32_e32 v2, 3, v2
	v_cmp_eq_u32_e32 vcc, 0, v4
	v_and_b32_e32 v2, 0xf8, v2
	v_and_or_b32 v2, v22, 7, v2
	s_and_b64 s[40:41], vcc, s[40:41]
	v_cndmask_b32_e64 v2, v2, 0, s[40:41]
	v_or_b32_e32 v4, v2, v17
.LBB4_4220:                             ;   in Loop: Header=BB4_4196 Depth=4
	s_or_b64 exec, exec, s[48:49]
                                        ; implicit-def: $vgpr17
.LBB4_4221:                             ;   in Loop: Header=BB4_4196 Depth=4
	s_andn2_saveexec_b64 s[40:41], s[38:39]
; %bb.4222:                             ;   in Loop: Header=BB4_4196 Depth=4
	v_or_b32_e32 v4, 0x7e, v17
; %bb.4223:                             ;   in Loop: Header=BB4_4196 Depth=4
	s_or_b64 exec, exec, s[40:41]
                                        ; implicit-def: $vgpr24
.LBB4_4224:                             ;   in Loop: Header=BB4_4196 Depth=4
	s_andn2_saveexec_b64 s[40:41], s[36:37]
; %bb.4225:                             ;   in Loop: Header=BB4_4196 Depth=4
	v_or_b32_sdwa v4, v24, s68 dst_sel:DWORD dst_unused:UNUSED_PAD src0_sel:BYTE_3 src1_sel:DWORD
; %bb.4226:                             ;   in Loop: Header=BB4_4196 Depth=4
	s_or_b64 exec, exec, s[40:41]
	v_lshrrev_b16_e32 v2, 8, v8
	v_cmp_ne_u16_e32 vcc, 0, v2
	v_mov_b32_e32 v17, 0
	s_and_saveexec_b64 s[40:41], vcc
	s_cbranch_execz .LBB4_4232
; %bb.4227:                             ;   in Loop: Header=BB4_4196 Depth=4
	v_cmp_ne_u16_e32 vcc, s70, v2
	v_bfrev_b32_e32 v17, 1
	s_and_saveexec_b64 s[36:37], vcc
	s_cbranch_execz .LBB4_4231
; %bb.4228:                             ;   in Loop: Header=BB4_4196 Depth=4
	v_and_b32_e32 v24, 0x7f, v2
	v_cmp_ne_u32_e32 vcc, s68, v24
	v_mov_b32_e32 v17, 0x7f800001
	s_and_saveexec_b64 s[38:39], vcc
	s_cbranch_execz .LBB4_4230
; %bb.4229:                             ;   in Loop: Header=BB4_4196 Depth=4
	v_and_b32_e32 v17, 7, v2
	v_ffbh_u32_e32 v22, v17
	v_lshrrev_b32_e32 v25, 3, v24
	v_cmp_gt_u32_e32 vcc, 8, v24
	v_min_u32_e32 v24, 32, v22
	v_subrev_u32_e32 v22, 28, v24
	v_lshlrev_b64 v[22:23], v22, v[2:3]
	v_sub_u32_e32 v2, 29, v24
	v_and_b32_e32 v22, 7, v22
	v_cndmask_b32_e32 v2, v25, v2, vcc
	v_cndmask_b32_e32 v17, v17, v22, vcc
	v_lshlrev_b32_e32 v22, 16, v8
	v_lshlrev_b32_e32 v17, 20, v17
	v_and_b32_e32 v22, 0x80000000, v22
	v_lshl_add_u32 v2, v2, 23, v5
	v_or3_b32 v17, v22, v2, v17
.LBB4_4230:                             ;   in Loop: Header=BB4_4196 Depth=4
	s_or_b64 exec, exec, s[38:39]
.LBB4_4231:                             ;   in Loop: Header=BB4_4196 Depth=4
	s_or_b64 exec, exec, s[36:37]
.LBB4_4232:                             ;   in Loop: Header=BB4_4196 Depth=4
	s_or_b64 exec, exec, s[40:41]
	v_mul_f32_e32 v24, v21, v17
	v_and_b32_e32 v2, 0x7f800000, v24
	v_cmp_ne_u64_e32 vcc, s[62:63], v[2:3]
                                        ; implicit-def: $vgpr27
	s_and_saveexec_b64 s[40:41], vcc
	s_xor_b64 s[36:37], exec, s[40:41]
	s_cbranch_execz .LBB4_4246
; %bb.4233:                             ;   in Loop: Header=BB4_4196 Depth=4
	v_and_b32_e32 v2, 0x7fffffff, v24
	v_cmp_gt_u64_e32 vcc, s[72:73], v[2:3]
	v_and_b32_sdwa v17, v24, s70 dst_sel:DWORD dst_unused:UNUSED_PAD src0_sel:BYTE_3 src1_sel:DWORD
                                        ; implicit-def: $vgpr27
	s_and_saveexec_b64 s[40:41], vcc
	s_xor_b64 s[38:39], exec, s[40:41]
	s_cbranch_execz .LBB4_4243
; %bb.4234:                             ;   in Loop: Header=BB4_4196 Depth=4
	v_mov_b32_e32 v27, 0
	v_cmp_ne_u32_e32 vcc, 0, v24
	s_and_saveexec_b64 s[48:49], vcc
	s_cbranch_execz .LBB4_4242
; %bb.4235:                             ;   in Loop: Header=BB4_4196 Depth=4
	v_and_b32_e32 v2, 0x7fffff, v24
	v_bfe_u32 v24, v24, 23, 8
	v_cmp_gt_u32_e64 s[40:41], s71, v24
	v_sub_u32_e32 v22, 0x79, v24
	v_cmp_eq_u32_e32 vcc, 0, v24
	v_cndmask_b32_e64 v22, 0, v22, s[40:41]
	v_mov_b32_e32 v25, 0x78
	v_cndmask_b32_e32 v25, v22, v25, vcc
	v_or_b32_e32 v23, 0x800000, v2
	v_add_u32_e32 v22, 20, v25
	v_cndmask_b32_e32 v2, v23, v2, vcc
	v_lshlrev_b64 v[22:23], v22, -1
	v_add_u32_e32 v27, 19, v25
	v_lshlrev_b64 v[27:28], v27, 1
	v_lshrrev_b64 v[46:47], v25, v[2:3]
	v_bfi_b32 v23, v23, 0, 0
	v_bfi_b32 v22, v22, 0, v2
	v_cmp_eq_u64_e64 s[40:41], v[22:23], v[27:28]
	v_mov_b32_e32 v57, v47
	v_mov_b32_e32 v56, v46
	s_and_saveexec_b64 s[50:51], s[40:41]
; %bb.4236:                             ;   in Loop: Header=BB4_4196 Depth=4
	v_bfe_u32 v2, v46, 20, 1
	v_add_co_u32_e64 v2, s[40:41], v46, v2
	v_add_co_u32_e64 v56, s[40:41], -1, v2
; %bb.4237:                             ;   in Loop: Header=BB4_4196 Depth=4
	s_or_b64 exec, exec, s[50:51]
	v_add_u32_e32 v2, 0xffffff81, v24
	v_mov_b32_e32 v22, 0xffffff82
	v_cndmask_b32_e32 v2, v2, v22, vcc
	v_lshrrev_b32_e32 v22, 23, v46
	v_add3_u32 v27, v25, v2, v22
	v_add_u32_e32 v25, 6, v27
	v_and_b32_e32 v2, 0xfffff, v56
	v_add_u32_e32 v2, v2, v46
	v_cmp_ne_u32_e32 vcc, 0, v25
                                        ; implicit-def: $vgpr46_vgpr47
                                        ; implicit-def: $vgpr24
	s_and_saveexec_b64 s[40:41], vcc
	s_xor_b64 s[40:41], exec, s[40:41]
; %bb.4238:                             ;   in Loop: Header=BB4_4196 Depth=4
	v_cmp_lt_u64_e32 vcc, s[74:75], v[2:3]
	v_add_u32_e32 v22, 7, v27
	v_cndmask_b32_e32 v24, v25, v22, vcc
	v_cndmask_b32_e64 v22, 0, 1, vcc
	v_lshrrev_b64 v[46:47], v22, v[2:3]
; %bb.4239:                             ;   in Loop: Header=BB4_4196 Depth=4
	s_andn2_saveexec_b64 s[40:41], s[40:41]
; %bb.4240:                             ;   in Loop: Header=BB4_4196 Depth=4
	v_mov_b32_e32 v47, v3
	v_bfe_u32 v24, v2, 23, 1
	v_mov_b32_e32 v46, v2
; %bb.4241:                             ;   in Loop: Header=BB4_4196 Depth=4
	s_or_b64 exec, exec, s[40:41]
	v_lshrrev_b64 v[22:23], 20, v[46:47]
	v_cmp_gt_i32_e32 vcc, 16, v24
	v_cndmask_b32_e32 v23, 0, v23, vcc
	v_cndmask_b32_e32 v22, 7, v22, vcc
	v_min_i32_e32 v2, 15, v24
	v_cmp_eq_u64_e64 s[40:41], 0, v[22:23]
	v_lshlrev_b32_e32 v2, 3, v2
	v_cmp_eq_u32_e32 vcc, 0, v24
	v_and_b32_e32 v2, 0xf8, v2
	v_and_or_b32 v2, v22, 7, v2
	s_and_b64 s[40:41], vcc, s[40:41]
	v_cndmask_b32_e64 v2, v2, 0, s[40:41]
	v_or_b32_e32 v27, v2, v17
.LBB4_4242:                             ;   in Loop: Header=BB4_4196 Depth=4
	s_or_b64 exec, exec, s[48:49]
                                        ; implicit-def: $vgpr17
.LBB4_4243:                             ;   in Loop: Header=BB4_4196 Depth=4
	s_andn2_saveexec_b64 s[40:41], s[38:39]
; %bb.4244:                             ;   in Loop: Header=BB4_4196 Depth=4
	v_or_b32_e32 v27, 0x7e, v17
; %bb.4245:                             ;   in Loop: Header=BB4_4196 Depth=4
	s_or_b64 exec, exec, s[40:41]
                                        ; implicit-def: $vgpr24
.LBB4_4246:                             ;   in Loop: Header=BB4_4196 Depth=4
	s_andn2_saveexec_b64 s[40:41], s[36:37]
; %bb.4247:                             ;   in Loop: Header=BB4_4196 Depth=4
	v_or_b32_sdwa v27, v24, s68 dst_sel:DWORD dst_unused:UNUSED_PAD src0_sel:BYTE_3 src1_sel:DWORD
; %bb.4248:                             ;   in Loop: Header=BB4_4196 Depth=4
	s_or_b64 exec, exec, s[40:41]
	v_lshrrev_b32_e32 v2, 16, v8
	v_cmp_ne_u16_sdwa vcc, v2, v3 src0_sel:BYTE_0 src1_sel:DWORD
	v_mov_b32_e32 v17, 0
	s_and_saveexec_b64 s[40:41], vcc
	s_cbranch_execz .LBB4_4254
; %bb.4249:                             ;   in Loop: Header=BB4_4196 Depth=4
	v_cmp_ne_u16_sdwa vcc, v2, s70 src0_sel:BYTE_0 src1_sel:DWORD
	v_bfrev_b32_e32 v17, 1
	s_and_saveexec_b64 s[36:37], vcc
	s_cbranch_execz .LBB4_4253
; %bb.4250:                             ;   in Loop: Header=BB4_4196 Depth=4
	v_bfe_u32 v24, v8, 16, 7
	v_cmp_ne_u32_e32 vcc, s68, v24
	v_mov_b32_e32 v17, 0x7f800001
	s_and_saveexec_b64 s[38:39], vcc
	s_cbranch_execz .LBB4_4252
; %bb.4251:                             ;   in Loop: Header=BB4_4196 Depth=4
	v_and_b32_e32 v17, 7, v2
	v_ffbh_u32_e32 v22, v17
	v_lshrrev_b32_e32 v25, 3, v24
	v_cmp_gt_u32_e32 vcc, 8, v24
	v_min_u32_e32 v24, 32, v22
	v_subrev_u32_e32 v22, 28, v24
	v_lshlrev_b64 v[22:23], v22, v[2:3]
	v_sub_u32_e32 v23, 29, v24
	v_and_b32_e32 v22, 7, v22
	v_cndmask_b32_e32 v23, v25, v23, vcc
	v_cndmask_b32_e32 v17, v17, v22, vcc
	v_lshlrev_b32_e32 v2, 24, v2
	v_lshlrev_b32_e32 v17, 20, v17
	v_and_b32_e32 v2, 0x80000000, v2
	v_lshl_add_u32 v22, v23, 23, v5
	v_or3_b32 v17, v2, v22, v17
.LBB4_4252:                             ;   in Loop: Header=BB4_4196 Depth=4
	s_or_b64 exec, exec, s[38:39]
.LBB4_4253:                             ;   in Loop: Header=BB4_4196 Depth=4
	s_or_b64 exec, exec, s[36:37]
.LBB4_4254:                             ;   in Loop: Header=BB4_4196 Depth=4
	s_or_b64 exec, exec, s[40:41]
	v_mul_f32_e32 v24, v21, v17
	v_and_b32_e32 v2, 0x7f800000, v24
	v_cmp_ne_u64_e32 vcc, s[62:63], v[2:3]
                                        ; implicit-def: $vgpr35
	s_and_saveexec_b64 s[40:41], vcc
	s_xor_b64 s[36:37], exec, s[40:41]
	s_cbranch_execz .LBB4_4268
; %bb.4255:                             ;   in Loop: Header=BB4_4196 Depth=4
	v_and_b32_e32 v2, 0x7fffffff, v24
	v_cmp_gt_u64_e32 vcc, s[72:73], v[2:3]
	v_and_b32_sdwa v17, v24, s70 dst_sel:DWORD dst_unused:UNUSED_PAD src0_sel:BYTE_3 src1_sel:DWORD
                                        ; implicit-def: $vgpr35
	s_and_saveexec_b64 s[40:41], vcc
	s_xor_b64 s[38:39], exec, s[40:41]
	s_cbranch_execz .LBB4_4265
; %bb.4256:                             ;   in Loop: Header=BB4_4196 Depth=4
	v_mov_b32_e32 v35, 0
	v_cmp_ne_u32_e32 vcc, 0, v24
	s_and_saveexec_b64 s[48:49], vcc
	s_cbranch_execz .LBB4_4264
; %bb.4257:                             ;   in Loop: Header=BB4_4196 Depth=4
	v_and_b32_e32 v2, 0x7fffff, v24
	v_bfe_u32 v24, v24, 23, 8
	v_cmp_gt_u32_e64 s[40:41], s71, v24
	v_sub_u32_e32 v22, 0x79, v24
	v_cmp_eq_u32_e32 vcc, 0, v24
	v_cndmask_b32_e64 v22, 0, v22, s[40:41]
	v_mov_b32_e32 v25, 0x78
	v_cndmask_b32_e32 v25, v22, v25, vcc
	v_or_b32_e32 v23, 0x800000, v2
	v_add_u32_e32 v22, 20, v25
	v_cndmask_b32_e32 v2, v23, v2, vcc
	v_lshlrev_b64 v[22:23], v22, -1
	v_add_u32_e32 v28, 19, v25
	v_lshlrev_b64 v[28:29], v28, 1
	v_lshrrev_b64 v[46:47], v25, v[2:3]
	v_bfi_b32 v23, v23, 0, 0
	v_bfi_b32 v22, v22, 0, v2
	v_cmp_eq_u64_e64 s[40:41], v[22:23], v[28:29]
	v_mov_b32_e32 v57, v47
	v_mov_b32_e32 v56, v46
	s_and_saveexec_b64 s[50:51], s[40:41]
; %bb.4258:                             ;   in Loop: Header=BB4_4196 Depth=4
	v_bfe_u32 v2, v46, 20, 1
	v_add_co_u32_e64 v2, s[40:41], v46, v2
	v_add_co_u32_e64 v56, s[40:41], -1, v2
; %bb.4259:                             ;   in Loop: Header=BB4_4196 Depth=4
	s_or_b64 exec, exec, s[50:51]
	v_add_u32_e32 v2, 0xffffff81, v24
	v_mov_b32_e32 v22, 0xffffff82
	v_cndmask_b32_e32 v2, v2, v22, vcc
	v_lshrrev_b32_e32 v22, 23, v46
	v_add3_u32 v28, v25, v2, v22
	v_add_u32_e32 v25, 6, v28
	v_and_b32_e32 v2, 0xfffff, v56
	v_add_u32_e32 v2, v2, v46
	v_cmp_ne_u32_e32 vcc, 0, v25
                                        ; implicit-def: $vgpr46_vgpr47
                                        ; implicit-def: $vgpr24
	s_and_saveexec_b64 s[40:41], vcc
	s_xor_b64 s[40:41], exec, s[40:41]
; %bb.4260:                             ;   in Loop: Header=BB4_4196 Depth=4
	v_cmp_lt_u64_e32 vcc, s[74:75], v[2:3]
	v_add_u32_e32 v22, 7, v28
	v_cndmask_b32_e32 v24, v25, v22, vcc
	v_cndmask_b32_e64 v22, 0, 1, vcc
	v_lshrrev_b64 v[46:47], v22, v[2:3]
; %bb.4261:                             ;   in Loop: Header=BB4_4196 Depth=4
	s_andn2_saveexec_b64 s[40:41], s[40:41]
; %bb.4262:                             ;   in Loop: Header=BB4_4196 Depth=4
	v_mov_b32_e32 v47, v3
	v_bfe_u32 v24, v2, 23, 1
	v_mov_b32_e32 v46, v2
; %bb.4263:                             ;   in Loop: Header=BB4_4196 Depth=4
	s_or_b64 exec, exec, s[40:41]
	v_lshrrev_b64 v[22:23], 20, v[46:47]
	v_cmp_gt_i32_e32 vcc, 16, v24
	v_cndmask_b32_e32 v23, 0, v23, vcc
	v_cndmask_b32_e32 v22, 7, v22, vcc
	v_min_i32_e32 v2, 15, v24
	v_cmp_eq_u64_e64 s[40:41], 0, v[22:23]
	v_lshlrev_b32_e32 v2, 3, v2
	v_cmp_eq_u32_e32 vcc, 0, v24
	v_and_b32_e32 v2, 0xf8, v2
	v_and_or_b32 v2, v22, 7, v2
	s_and_b64 s[40:41], vcc, s[40:41]
	v_cndmask_b32_e64 v2, v2, 0, s[40:41]
	v_or_b32_e32 v35, v2, v17
.LBB4_4264:                             ;   in Loop: Header=BB4_4196 Depth=4
	s_or_b64 exec, exec, s[48:49]
                                        ; implicit-def: $vgpr17
.LBB4_4265:                             ;   in Loop: Header=BB4_4196 Depth=4
	s_andn2_saveexec_b64 s[40:41], s[38:39]
; %bb.4266:                             ;   in Loop: Header=BB4_4196 Depth=4
	v_or_b32_e32 v35, 0x7e, v17
; %bb.4267:                             ;   in Loop: Header=BB4_4196 Depth=4
	s_or_b64 exec, exec, s[40:41]
                                        ; implicit-def: $vgpr24
.LBB4_4268:                             ;   in Loop: Header=BB4_4196 Depth=4
	s_andn2_saveexec_b64 s[40:41], s[36:37]
; %bb.4269:                             ;   in Loop: Header=BB4_4196 Depth=4
	v_or_b32_sdwa v35, v24, s68 dst_sel:DWORD dst_unused:UNUSED_PAD src0_sel:BYTE_3 src1_sel:DWORD
; %bb.4270:                             ;   in Loop: Header=BB4_4196 Depth=4
	s_or_b64 exec, exec, s[40:41]
	v_cmp_lt_u32_e32 vcc, s57, v8
	v_mov_b32_e32 v17, 0
	s_and_saveexec_b64 s[40:41], vcc
	s_cbranch_execz .LBB4_4276
; %bb.4271:                             ;   in Loop: Header=BB4_4196 Depth=4
	v_lshrrev_b32_e32 v2, 24, v8
	v_cmp_ne_u32_e32 vcc, s70, v2
	v_bfrev_b32_e32 v17, 1
	s_and_saveexec_b64 s[36:37], vcc
	s_cbranch_execz .LBB4_4275
; %bb.4272:                             ;   in Loop: Header=BB4_4196 Depth=4
	v_bfe_u32 v24, v8, 24, 7
	v_cmp_ne_u32_e32 vcc, s68, v24
	v_mov_b32_e32 v17, 0x7f800001
	s_and_saveexec_b64 s[38:39], vcc
	s_cbranch_execz .LBB4_4274
; %bb.4273:                             ;   in Loop: Header=BB4_4196 Depth=4
	v_and_b32_e32 v17, 7, v2
	v_ffbh_u32_e32 v22, v17
	v_lshrrev_b32_e32 v25, 3, v24
	v_cmp_gt_u32_e32 vcc, 8, v24
	v_min_u32_e32 v24, 32, v22
	v_subrev_u32_e32 v22, 28, v24
	v_lshlrev_b64 v[22:23], v22, v[2:3]
	v_sub_u32_e32 v23, 29, v24
	v_and_b32_e32 v22, 7, v22
	v_cndmask_b32_e32 v23, v25, v23, vcc
	v_cndmask_b32_e32 v17, v17, v22, vcc
	v_lshlrev_b32_e32 v2, 24, v2
	v_lshlrev_b32_e32 v17, 20, v17
	v_and_b32_e32 v2, 0x80000000, v2
	v_lshl_add_u32 v22, v23, 23, v5
	v_or3_b32 v17, v2, v22, v17
.LBB4_4274:                             ;   in Loop: Header=BB4_4196 Depth=4
	s_or_b64 exec, exec, s[38:39]
.LBB4_4275:                             ;   in Loop: Header=BB4_4196 Depth=4
	s_or_b64 exec, exec, s[36:37]
.LBB4_4276:                             ;   in Loop: Header=BB4_4196 Depth=4
	s_or_b64 exec, exec, s[40:41]
	v_mul_f32_e32 v24, v21, v17
	v_and_b32_e32 v2, 0x7f800000, v24
	v_cmp_ne_u64_e32 vcc, s[62:63], v[2:3]
                                        ; implicit-def: $vgpr49
	s_and_saveexec_b64 s[40:41], vcc
	s_xor_b64 s[36:37], exec, s[40:41]
	s_cbranch_execz .LBB4_4290
; %bb.4277:                             ;   in Loop: Header=BB4_4196 Depth=4
	v_and_b32_e32 v2, 0x7fffffff, v24
	v_cmp_gt_u64_e32 vcc, s[72:73], v[2:3]
	v_and_b32_sdwa v17, v24, s70 dst_sel:DWORD dst_unused:UNUSED_PAD src0_sel:BYTE_3 src1_sel:DWORD
                                        ; implicit-def: $vgpr49
	s_and_saveexec_b64 s[40:41], vcc
	s_xor_b64 s[38:39], exec, s[40:41]
	s_cbranch_execz .LBB4_4287
; %bb.4278:                             ;   in Loop: Header=BB4_4196 Depth=4
	v_mov_b32_e32 v49, 0
	v_cmp_ne_u32_e32 vcc, 0, v24
	s_and_saveexec_b64 s[48:49], vcc
	s_cbranch_execz .LBB4_4286
; %bb.4279:                             ;   in Loop: Header=BB4_4196 Depth=4
	v_and_b32_e32 v2, 0x7fffff, v24
	v_bfe_u32 v24, v24, 23, 8
	v_cmp_gt_u32_e64 s[40:41], s71, v24
	v_sub_u32_e32 v22, 0x79, v24
	v_cmp_eq_u32_e32 vcc, 0, v24
	v_cndmask_b32_e64 v22, 0, v22, s[40:41]
	v_mov_b32_e32 v25, 0x78
	v_cndmask_b32_e32 v25, v22, v25, vcc
	v_or_b32_e32 v23, 0x800000, v2
	v_add_u32_e32 v22, 20, v25
	v_cndmask_b32_e32 v2, v23, v2, vcc
	v_lshlrev_b64 v[22:23], v22, -1
	v_add_u32_e32 v28, 19, v25
	v_lshlrev_b64 v[28:29], v28, 1
	v_lshrrev_b64 v[46:47], v25, v[2:3]
	v_bfi_b32 v23, v23, 0, 0
	v_bfi_b32 v22, v22, 0, v2
	v_cmp_eq_u64_e64 s[40:41], v[22:23], v[28:29]
	v_mov_b32_e32 v57, v47
	v_mov_b32_e32 v56, v46
	s_and_saveexec_b64 s[50:51], s[40:41]
; %bb.4280:                             ;   in Loop: Header=BB4_4196 Depth=4
	v_bfe_u32 v2, v46, 20, 1
	v_add_co_u32_e64 v2, s[40:41], v46, v2
	v_add_co_u32_e64 v56, s[40:41], -1, v2
; %bb.4281:                             ;   in Loop: Header=BB4_4196 Depth=4
	s_or_b64 exec, exec, s[50:51]
	v_add_u32_e32 v2, 0xffffff81, v24
	v_mov_b32_e32 v22, 0xffffff82
	v_cndmask_b32_e32 v2, v2, v22, vcc
	v_lshrrev_b32_e32 v22, 23, v46
	v_add3_u32 v28, v25, v2, v22
	v_add_u32_e32 v25, 6, v28
	v_and_b32_e32 v2, 0xfffff, v56
	v_add_u32_e32 v2, v2, v46
	v_cmp_ne_u32_e32 vcc, 0, v25
                                        ; implicit-def: $vgpr46_vgpr47
                                        ; implicit-def: $vgpr24
	s_and_saveexec_b64 s[40:41], vcc
	s_xor_b64 s[40:41], exec, s[40:41]
; %bb.4282:                             ;   in Loop: Header=BB4_4196 Depth=4
	v_cmp_lt_u64_e32 vcc, s[74:75], v[2:3]
	v_add_u32_e32 v22, 7, v28
	v_cndmask_b32_e32 v24, v25, v22, vcc
	v_cndmask_b32_e64 v22, 0, 1, vcc
	v_lshrrev_b64 v[46:47], v22, v[2:3]
; %bb.4283:                             ;   in Loop: Header=BB4_4196 Depth=4
	s_andn2_saveexec_b64 s[40:41], s[40:41]
; %bb.4284:                             ;   in Loop: Header=BB4_4196 Depth=4
	v_mov_b32_e32 v47, v3
	v_bfe_u32 v24, v2, 23, 1
	v_mov_b32_e32 v46, v2
; %bb.4285:                             ;   in Loop: Header=BB4_4196 Depth=4
	s_or_b64 exec, exec, s[40:41]
	v_lshrrev_b64 v[22:23], 20, v[46:47]
	v_cmp_gt_i32_e32 vcc, 16, v24
	v_cndmask_b32_e32 v23, 0, v23, vcc
	v_cndmask_b32_e32 v22, 7, v22, vcc
	v_min_i32_e32 v2, 15, v24
	v_cmp_eq_u64_e64 s[40:41], 0, v[22:23]
	v_lshlrev_b32_e32 v2, 3, v2
	v_cmp_eq_u32_e32 vcc, 0, v24
	v_and_b32_e32 v2, 0xf8, v2
	v_and_or_b32 v2, v22, 7, v2
	s_and_b64 s[40:41], vcc, s[40:41]
	v_cndmask_b32_e64 v2, v2, 0, s[40:41]
	v_or_b32_e32 v49, v2, v17
.LBB4_4286:                             ;   in Loop: Header=BB4_4196 Depth=4
	s_or_b64 exec, exec, s[48:49]
                                        ; implicit-def: $vgpr17
.LBB4_4287:                             ;   in Loop: Header=BB4_4196 Depth=4
	s_andn2_saveexec_b64 s[40:41], s[38:39]
; %bb.4288:                             ;   in Loop: Header=BB4_4196 Depth=4
	v_or_b32_e32 v49, 0x7e, v17
; %bb.4289:                             ;   in Loop: Header=BB4_4196 Depth=4
	s_or_b64 exec, exec, s[40:41]
                                        ; implicit-def: $vgpr24
.LBB4_4290:                             ;   in Loop: Header=BB4_4196 Depth=4
	s_andn2_saveexec_b64 s[40:41], s[36:37]
; %bb.4291:                             ;   in Loop: Header=BB4_4196 Depth=4
	v_or_b32_sdwa v49, v24, s68 dst_sel:DWORD dst_unused:UNUSED_PAD src0_sel:BYTE_3 src1_sel:DWORD
; %bb.4292:                             ;   in Loop: Header=BB4_4196 Depth=4
	s_or_b64 exec, exec, s[40:41]
	v_mov_b32_e32 v2, v9
	v_cmp_ne_u16_sdwa vcc, v9, v3 src0_sel:BYTE_0 src1_sel:DWORD
	v_mov_b32_e32 v17, 0
	s_and_saveexec_b64 s[40:41], vcc
	s_cbranch_execz .LBB4_4298
; %bb.4293:                             ;   in Loop: Header=BB4_4196 Depth=4
	v_cmp_ne_u16_sdwa vcc, v9, s70 src0_sel:BYTE_0 src1_sel:DWORD
	v_bfrev_b32_e32 v17, 1
	s_and_saveexec_b64 s[36:37], vcc
	s_cbranch_execz .LBB4_4297
; %bb.4294:                             ;   in Loop: Header=BB4_4196 Depth=4
	v_and_b32_e32 v24, 0x7f, v9
	v_cmp_ne_u32_e32 vcc, s68, v24
	v_mov_b32_e32 v17, 0x7f800001
	s_and_saveexec_b64 s[38:39], vcc
	s_cbranch_execz .LBB4_4296
; %bb.4295:                             ;   in Loop: Header=BB4_4196 Depth=4
	v_and_b32_e32 v17, 7, v9
	v_ffbh_u32_e32 v17, v17
	v_min_u32_e32 v17, 32, v17
	v_lshrrev_b32_e32 v22, 3, v24
	v_cmp_gt_u32_e32 vcc, 8, v24
	v_subrev_u32_e32 v23, 28, v17
	v_sub_u32_e32 v17, 29, v17
	v_cndmask_b32_e32 v17, v22, v17, vcc
	v_cndmask_b32_e32 v22, 0, v23, vcc
	v_lshlrev_b64 v[22:23], v22, v[2:3]
	v_lshlrev_b32_e32 v23, 24, v2
	v_lshlrev_b32_e32 v22, 20, v22
	v_and_b32_e32 v22, 0x700000, v22
	v_and_b32_e32 v23, 0x80000000, v23
	v_lshl_add_u32 v17, v17, 23, v5
	v_or3_b32 v17, v23, v17, v22
.LBB4_4296:                             ;   in Loop: Header=BB4_4196 Depth=4
	s_or_b64 exec, exec, s[38:39]
.LBB4_4297:                             ;   in Loop: Header=BB4_4196 Depth=4
	s_or_b64 exec, exec, s[36:37]
.LBB4_4298:                             ;   in Loop: Header=BB4_4196 Depth=4
	s_or_b64 exec, exec, s[40:41]
	v_mul_f32_e32 v24, v21, v17
	v_and_b32_e32 v22, 0x7f800000, v24
	v_mov_b32_e32 v23, v3
	v_cmp_ne_u64_e32 vcc, s[62:63], v[22:23]
                                        ; implicit-def: $vgpr29
	s_and_saveexec_b64 s[40:41], vcc
	s_xor_b64 s[36:37], exec, s[40:41]
	s_cbranch_execz .LBB4_4312
; %bb.4299:                             ;   in Loop: Header=BB4_4196 Depth=4
	v_and_b32_e32 v22, 0x7fffffff, v24
	v_mov_b32_e32 v23, v3
	v_cmp_gt_u64_e32 vcc, s[72:73], v[22:23]
	v_and_b32_sdwa v17, v24, s70 dst_sel:DWORD dst_unused:UNUSED_PAD src0_sel:BYTE_3 src1_sel:DWORD
                                        ; implicit-def: $vgpr29
	s_and_saveexec_b64 s[40:41], vcc
	s_xor_b64 s[38:39], exec, s[40:41]
	s_cbranch_execz .LBB4_4309
; %bb.4300:                             ;   in Loop: Header=BB4_4196 Depth=4
	v_mov_b32_e32 v29, 0
	v_cmp_ne_u32_e32 vcc, 0, v24
	s_and_saveexec_b64 s[48:49], vcc
	s_cbranch_execz .LBB4_4308
; %bb.4301:                             ;   in Loop: Header=BB4_4196 Depth=4
	v_and_b32_e32 v22, 0x7fffff, v24
	v_bfe_u32 v24, v24, 23, 8
	v_cmp_gt_u32_e64 s[40:41], s71, v24
	v_sub_u32_e32 v23, 0x79, v24
	v_cmp_eq_u32_e32 vcc, 0, v24
	v_cndmask_b32_e64 v23, 0, v23, s[40:41]
	v_mov_b32_e32 v25, 0x78
	v_or_b32_e32 v28, 0x800000, v22
	v_cndmask_b32_e32 v25, v23, v25, vcc
	v_cndmask_b32_e32 v22, v28, v22, vcc
	v_add_u32_e32 v28, 20, v25
	v_mov_b32_e32 v23, v3
	v_lshlrev_b64 v[28:29], v28, -1
	v_add_u32_e32 v30, 19, v25
	v_lshlrev_b64 v[30:31], v30, 1
	v_lshrrev_b64 v[46:47], v25, v[22:23]
	v_bfi_b32 v29, v29, 0, 0
	v_bfi_b32 v28, v28, 0, v22
	v_cmp_eq_u64_e64 s[40:41], v[28:29], v[30:31]
	v_mov_b32_e32 v57, v47
	v_mov_b32_e32 v56, v46
	s_and_saveexec_b64 s[50:51], s[40:41]
; %bb.4302:                             ;   in Loop: Header=BB4_4196 Depth=4
	v_bfe_u32 v22, v46, 20, 1
	v_add_co_u32_e64 v22, s[40:41], v46, v22
	v_add_co_u32_e64 v56, s[40:41], -1, v22
; %bb.4303:                             ;   in Loop: Header=BB4_4196 Depth=4
	s_or_b64 exec, exec, s[50:51]
	v_add_u32_e32 v22, 0xffffff81, v24
	v_mov_b32_e32 v23, 0xffffff82
	v_cndmask_b32_e32 v22, v22, v23, vcc
	v_lshrrev_b32_e32 v23, 23, v46
	v_add3_u32 v28, v25, v22, v23
	v_add_u32_e32 v25, 6, v28
	v_and_b32_e32 v22, 0xfffff, v56
	v_add_u32_e32 v46, v22, v46
	v_mov_b32_e32 v47, v3
	v_cmp_ne_u32_e32 vcc, 0, v25
                                        ; implicit-def: $vgpr24
	s_and_saveexec_b64 s[40:41], vcc
	s_xor_b64 s[40:41], exec, s[40:41]
; %bb.4304:                             ;   in Loop: Header=BB4_4196 Depth=4
	v_cmp_lt_u64_e32 vcc, s[74:75], v[46:47]
	v_add_u32_e32 v22, 7, v28
	v_cndmask_b32_e32 v24, v25, v22, vcc
	v_cndmask_b32_e64 v22, 0, 1, vcc
	v_lshrrev_b64 v[46:47], v22, v[46:47]
; %bb.4305:                             ;   in Loop: Header=BB4_4196 Depth=4
	s_andn2_saveexec_b64 s[40:41], s[40:41]
; %bb.4306:                             ;   in Loop: Header=BB4_4196 Depth=4
	v_bfe_u32 v24, v46, 23, 1
; %bb.4307:                             ;   in Loop: Header=BB4_4196 Depth=4
	s_or_b64 exec, exec, s[40:41]
	v_lshrrev_b64 v[22:23], 20, v[46:47]
	v_cmp_gt_i32_e32 vcc, 16, v24
	v_cndmask_b32_e32 v23, 0, v23, vcc
	v_cndmask_b32_e32 v22, 7, v22, vcc
	v_cmp_eq_u64_e64 s[40:41], 0, v[22:23]
	v_min_i32_e32 v23, 15, v24
	v_lshlrev_b32_e32 v23, 3, v23
	v_cmp_eq_u32_e32 vcc, 0, v24
	v_and_b32_e32 v23, 0xf8, v23
	v_and_or_b32 v22, v22, 7, v23
	s_and_b64 s[40:41], vcc, s[40:41]
	v_cndmask_b32_e64 v22, v22, 0, s[40:41]
	v_or_b32_e32 v29, v22, v17
.LBB4_4308:                             ;   in Loop: Header=BB4_4196 Depth=4
	s_or_b64 exec, exec, s[48:49]
                                        ; implicit-def: $vgpr17
.LBB4_4309:                             ;   in Loop: Header=BB4_4196 Depth=4
	s_andn2_saveexec_b64 s[40:41], s[38:39]
; %bb.4310:                             ;   in Loop: Header=BB4_4196 Depth=4
	v_or_b32_e32 v29, 0x7e, v17
; %bb.4311:                             ;   in Loop: Header=BB4_4196 Depth=4
	s_or_b64 exec, exec, s[40:41]
                                        ; implicit-def: $vgpr24
.LBB4_4312:                             ;   in Loop: Header=BB4_4196 Depth=4
	s_andn2_saveexec_b64 s[40:41], s[36:37]
; %bb.4313:                             ;   in Loop: Header=BB4_4196 Depth=4
	v_or_b32_sdwa v29, v24, s68 dst_sel:DWORD dst_unused:UNUSED_PAD src0_sel:BYTE_3 src1_sel:DWORD
; %bb.4314:                             ;   in Loop: Header=BB4_4196 Depth=4
	s_or_b64 exec, exec, s[40:41]
	v_lshrrev_b16_e32 v30, 8, v2
	v_cmp_ne_u16_e32 vcc, 0, v30
	v_mov_b32_e32 v17, 0
	s_and_saveexec_b64 s[40:41], vcc
	s_cbranch_execz .LBB4_4320
; %bb.4315:                             ;   in Loop: Header=BB4_4196 Depth=4
	v_cmp_ne_u16_e32 vcc, s70, v30
	v_bfrev_b32_e32 v17, 1
	s_and_saveexec_b64 s[36:37], vcc
	s_cbranch_execz .LBB4_4319
; %bb.4316:                             ;   in Loop: Header=BB4_4196 Depth=4
	v_and_b32_e32 v24, 0x7f, v30
	v_cmp_ne_u32_e32 vcc, s68, v24
	v_mov_b32_e32 v17, 0x7f800001
	s_and_saveexec_b64 s[38:39], vcc
	s_cbranch_execz .LBB4_4318
; %bb.4317:                             ;   in Loop: Header=BB4_4196 Depth=4
	v_and_b32_e32 v17, 7, v30
	v_ffbh_u32_e32 v22, v17
	v_lshrrev_b32_e32 v25, 3, v24
	v_cmp_gt_u32_e32 vcc, 8, v24
	v_min_u32_e32 v24, 32, v22
	v_subrev_u32_e32 v22, 28, v24
	v_lshlrev_b64 v[22:23], v22, v[30:31]
	v_sub_u32_e32 v23, 29, v24
	v_and_b32_e32 v22, 7, v22
	v_cndmask_b32_e32 v23, v25, v23, vcc
	v_cndmask_b32_e32 v17, v17, v22, vcc
	v_lshlrev_b32_e32 v2, 16, v2
	v_lshlrev_b32_e32 v17, 20, v17
	v_and_b32_e32 v2, 0x80000000, v2
	v_lshl_add_u32 v22, v23, 23, v5
	v_or3_b32 v17, v2, v22, v17
.LBB4_4318:                             ;   in Loop: Header=BB4_4196 Depth=4
	s_or_b64 exec, exec, s[38:39]
.LBB4_4319:                             ;   in Loop: Header=BB4_4196 Depth=4
	s_or_b64 exec, exec, s[36:37]
.LBB4_4320:                             ;   in Loop: Header=BB4_4196 Depth=4
	s_or_b64 exec, exec, s[40:41]
	v_mul_f32_e32 v24, v21, v17
	v_and_b32_e32 v2, 0x7f800000, v24
	v_cmp_ne_u64_e32 vcc, s[62:63], v[2:3]
                                        ; implicit-def: $vgpr37
	s_and_saveexec_b64 s[40:41], vcc
	s_xor_b64 s[36:37], exec, s[40:41]
	s_cbranch_execz .LBB4_4334
; %bb.4321:                             ;   in Loop: Header=BB4_4196 Depth=4
	v_and_b32_e32 v2, 0x7fffffff, v24
	v_cmp_gt_u64_e32 vcc, s[72:73], v[2:3]
	v_and_b32_sdwa v17, v24, s70 dst_sel:DWORD dst_unused:UNUSED_PAD src0_sel:BYTE_3 src1_sel:DWORD
                                        ; implicit-def: $vgpr37
	s_and_saveexec_b64 s[40:41], vcc
	s_xor_b64 s[38:39], exec, s[40:41]
	s_cbranch_execz .LBB4_4331
; %bb.4322:                             ;   in Loop: Header=BB4_4196 Depth=4
	v_mov_b32_e32 v37, 0
	v_cmp_ne_u32_e32 vcc, 0, v24
	s_and_saveexec_b64 s[48:49], vcc
	s_cbranch_execz .LBB4_4330
; %bb.4323:                             ;   in Loop: Header=BB4_4196 Depth=4
	v_and_b32_e32 v2, 0x7fffff, v24
	v_bfe_u32 v24, v24, 23, 8
	v_cmp_gt_u32_e64 s[40:41], s71, v24
	v_sub_u32_e32 v22, 0x79, v24
	v_cmp_eq_u32_e32 vcc, 0, v24
	v_cndmask_b32_e64 v22, 0, v22, s[40:41]
	v_mov_b32_e32 v25, 0x78
	v_cndmask_b32_e32 v25, v22, v25, vcc
	v_or_b32_e32 v23, 0x800000, v2
	v_add_u32_e32 v22, 20, v25
	v_cndmask_b32_e32 v2, v23, v2, vcc
	v_lshlrev_b64 v[22:23], v22, -1
	v_add_u32_e32 v28, 19, v25
	v_lshlrev_b64 v[30:31], v28, 1
	v_lshrrev_b64 v[46:47], v25, v[2:3]
	v_bfi_b32 v23, v23, 0, 0
	v_bfi_b32 v22, v22, 0, v2
	v_cmp_eq_u64_e64 s[40:41], v[22:23], v[30:31]
	v_mov_b32_e32 v57, v47
	v_mov_b32_e32 v56, v46
	s_and_saveexec_b64 s[50:51], s[40:41]
; %bb.4324:                             ;   in Loop: Header=BB4_4196 Depth=4
	v_bfe_u32 v2, v46, 20, 1
	v_add_co_u32_e64 v2, s[40:41], v46, v2
	v_add_co_u32_e64 v56, s[40:41], -1, v2
; %bb.4325:                             ;   in Loop: Header=BB4_4196 Depth=4
	s_or_b64 exec, exec, s[50:51]
	v_add_u32_e32 v2, 0xffffff81, v24
	v_mov_b32_e32 v22, 0xffffff82
	v_cndmask_b32_e32 v2, v2, v22, vcc
	v_lshrrev_b32_e32 v22, 23, v46
	v_add3_u32 v28, v25, v2, v22
	v_add_u32_e32 v25, 6, v28
	v_and_b32_e32 v2, 0xfffff, v56
	v_add_u32_e32 v2, v2, v46
	v_cmp_ne_u32_e32 vcc, 0, v25
                                        ; implicit-def: $vgpr46_vgpr47
                                        ; implicit-def: $vgpr24
	s_and_saveexec_b64 s[40:41], vcc
	s_xor_b64 s[40:41], exec, s[40:41]
; %bb.4326:                             ;   in Loop: Header=BB4_4196 Depth=4
	v_cmp_lt_u64_e32 vcc, s[74:75], v[2:3]
	v_add_u32_e32 v22, 7, v28
	v_cndmask_b32_e32 v24, v25, v22, vcc
	v_cndmask_b32_e64 v22, 0, 1, vcc
	v_lshrrev_b64 v[46:47], v22, v[2:3]
; %bb.4327:                             ;   in Loop: Header=BB4_4196 Depth=4
	s_andn2_saveexec_b64 s[40:41], s[40:41]
; %bb.4328:                             ;   in Loop: Header=BB4_4196 Depth=4
	v_mov_b32_e32 v47, v3
	v_bfe_u32 v24, v2, 23, 1
	v_mov_b32_e32 v46, v2
; %bb.4329:                             ;   in Loop: Header=BB4_4196 Depth=4
	s_or_b64 exec, exec, s[40:41]
	v_lshrrev_b64 v[22:23], 20, v[46:47]
	v_cmp_gt_i32_e32 vcc, 16, v24
	v_cndmask_b32_e32 v23, 0, v23, vcc
	v_cndmask_b32_e32 v22, 7, v22, vcc
	v_min_i32_e32 v2, 15, v24
	v_cmp_eq_u64_e64 s[40:41], 0, v[22:23]
	v_lshlrev_b32_e32 v2, 3, v2
	v_cmp_eq_u32_e32 vcc, 0, v24
	v_and_b32_e32 v2, 0xf8, v2
	v_and_or_b32 v2, v22, 7, v2
	s_and_b64 s[40:41], vcc, s[40:41]
	v_cndmask_b32_e64 v2, v2, 0, s[40:41]
	v_or_b32_e32 v37, v2, v17
.LBB4_4330:                             ;   in Loop: Header=BB4_4196 Depth=4
	s_or_b64 exec, exec, s[48:49]
                                        ; implicit-def: $vgpr17
.LBB4_4331:                             ;   in Loop: Header=BB4_4196 Depth=4
	s_andn2_saveexec_b64 s[40:41], s[38:39]
; %bb.4332:                             ;   in Loop: Header=BB4_4196 Depth=4
	v_or_b32_e32 v37, 0x7e, v17
; %bb.4333:                             ;   in Loop: Header=BB4_4196 Depth=4
	s_or_b64 exec, exec, s[40:41]
                                        ; implicit-def: $vgpr24
.LBB4_4334:                             ;   in Loop: Header=BB4_4196 Depth=4
	s_andn2_saveexec_b64 s[40:41], s[36:37]
; %bb.4335:                             ;   in Loop: Header=BB4_4196 Depth=4
	v_or_b32_sdwa v37, v24, s68 dst_sel:DWORD dst_unused:UNUSED_PAD src0_sel:BYTE_3 src1_sel:DWORD
; %bb.4336:                             ;   in Loop: Header=BB4_4196 Depth=4
	s_or_b64 exec, exec, s[40:41]
	v_lshrrev_b32_e32 v2, 16, v9
	v_cmp_ne_u16_sdwa vcc, v2, v3 src0_sel:BYTE_0 src1_sel:DWORD
	v_mov_b32_e32 v17, 0
	s_and_saveexec_b64 s[40:41], vcc
	s_cbranch_execz .LBB4_4342
; %bb.4337:                             ;   in Loop: Header=BB4_4196 Depth=4
	v_cmp_ne_u16_sdwa vcc, v2, s70 src0_sel:BYTE_0 src1_sel:DWORD
	v_bfrev_b32_e32 v17, 1
	s_and_saveexec_b64 s[36:37], vcc
	s_cbranch_execz .LBB4_4341
; %bb.4338:                             ;   in Loop: Header=BB4_4196 Depth=4
	v_bfe_u32 v24, v9, 16, 7
	v_cmp_ne_u32_e32 vcc, s68, v24
	v_mov_b32_e32 v17, 0x7f800001
	s_and_saveexec_b64 s[38:39], vcc
	s_cbranch_execz .LBB4_4340
; %bb.4339:                             ;   in Loop: Header=BB4_4196 Depth=4
	v_and_b32_e32 v17, 7, v2
	v_ffbh_u32_e32 v22, v17
	v_lshrrev_b32_e32 v25, 3, v24
	v_cmp_gt_u32_e32 vcc, 8, v24
	v_min_u32_e32 v24, 32, v22
	v_subrev_u32_e32 v22, 28, v24
	v_lshlrev_b64 v[22:23], v22, v[2:3]
	v_sub_u32_e32 v23, 29, v24
	v_and_b32_e32 v22, 7, v22
	v_cndmask_b32_e32 v23, v25, v23, vcc
	v_cndmask_b32_e32 v17, v17, v22, vcc
	v_lshlrev_b32_e32 v2, 24, v2
	v_lshlrev_b32_e32 v17, 20, v17
	v_and_b32_e32 v2, 0x80000000, v2
	v_lshl_add_u32 v22, v23, 23, v5
	v_or3_b32 v17, v2, v22, v17
.LBB4_4340:                             ;   in Loop: Header=BB4_4196 Depth=4
	s_or_b64 exec, exec, s[38:39]
.LBB4_4341:                             ;   in Loop: Header=BB4_4196 Depth=4
	s_or_b64 exec, exec, s[36:37]
.LBB4_4342:                             ;   in Loop: Header=BB4_4196 Depth=4
	s_or_b64 exec, exec, s[40:41]
	v_mul_f32_e32 v24, v21, v17
	v_and_b32_e32 v2, 0x7f800000, v24
	v_cmp_ne_u64_e32 vcc, s[62:63], v[2:3]
                                        ; implicit-def: $vgpr39
	s_and_saveexec_b64 s[40:41], vcc
	s_xor_b64 s[36:37], exec, s[40:41]
	s_cbranch_execz .LBB4_4356
; %bb.4343:                             ;   in Loop: Header=BB4_4196 Depth=4
	v_and_b32_e32 v2, 0x7fffffff, v24
	v_cmp_gt_u64_e32 vcc, s[72:73], v[2:3]
	v_and_b32_sdwa v17, v24, s70 dst_sel:DWORD dst_unused:UNUSED_PAD src0_sel:BYTE_3 src1_sel:DWORD
                                        ; implicit-def: $vgpr39
	s_and_saveexec_b64 s[40:41], vcc
	s_xor_b64 s[38:39], exec, s[40:41]
	s_cbranch_execz .LBB4_4353
; %bb.4344:                             ;   in Loop: Header=BB4_4196 Depth=4
	v_mov_b32_e32 v39, 0
	v_cmp_ne_u32_e32 vcc, 0, v24
	s_and_saveexec_b64 s[48:49], vcc
	s_cbranch_execz .LBB4_4352
; %bb.4345:                             ;   in Loop: Header=BB4_4196 Depth=4
	v_and_b32_e32 v2, 0x7fffff, v24
	v_bfe_u32 v24, v24, 23, 8
	v_cmp_gt_u32_e64 s[40:41], s71, v24
	v_sub_u32_e32 v22, 0x79, v24
	v_cmp_eq_u32_e32 vcc, 0, v24
	v_cndmask_b32_e64 v22, 0, v22, s[40:41]
	v_mov_b32_e32 v25, 0x78
	v_cndmask_b32_e32 v25, v22, v25, vcc
	v_or_b32_e32 v23, 0x800000, v2
	v_add_u32_e32 v22, 20, v25
	v_cndmask_b32_e32 v2, v23, v2, vcc
	v_lshlrev_b64 v[22:23], v22, -1
	v_add_u32_e32 v28, 19, v25
	v_lshlrev_b64 v[30:31], v28, 1
	v_lshrrev_b64 v[46:47], v25, v[2:3]
	v_bfi_b32 v23, v23, 0, 0
	v_bfi_b32 v22, v22, 0, v2
	v_cmp_eq_u64_e64 s[40:41], v[22:23], v[30:31]
	v_mov_b32_e32 v57, v47
	v_mov_b32_e32 v56, v46
	s_and_saveexec_b64 s[50:51], s[40:41]
; %bb.4346:                             ;   in Loop: Header=BB4_4196 Depth=4
	v_bfe_u32 v2, v46, 20, 1
	v_add_co_u32_e64 v2, s[40:41], v46, v2
	v_add_co_u32_e64 v56, s[40:41], -1, v2
; %bb.4347:                             ;   in Loop: Header=BB4_4196 Depth=4
	s_or_b64 exec, exec, s[50:51]
	v_add_u32_e32 v2, 0xffffff81, v24
	v_mov_b32_e32 v22, 0xffffff82
	v_cndmask_b32_e32 v2, v2, v22, vcc
	v_lshrrev_b32_e32 v22, 23, v46
	v_add3_u32 v28, v25, v2, v22
	v_add_u32_e32 v25, 6, v28
	v_and_b32_e32 v2, 0xfffff, v56
	v_add_u32_e32 v2, v2, v46
	v_cmp_ne_u32_e32 vcc, 0, v25
                                        ; implicit-def: $vgpr46_vgpr47
                                        ; implicit-def: $vgpr24
	s_and_saveexec_b64 s[40:41], vcc
	s_xor_b64 s[40:41], exec, s[40:41]
; %bb.4348:                             ;   in Loop: Header=BB4_4196 Depth=4
	v_cmp_lt_u64_e32 vcc, s[74:75], v[2:3]
	v_add_u32_e32 v22, 7, v28
	v_cndmask_b32_e32 v24, v25, v22, vcc
	v_cndmask_b32_e64 v22, 0, 1, vcc
	v_lshrrev_b64 v[46:47], v22, v[2:3]
; %bb.4349:                             ;   in Loop: Header=BB4_4196 Depth=4
	s_andn2_saveexec_b64 s[40:41], s[40:41]
; %bb.4350:                             ;   in Loop: Header=BB4_4196 Depth=4
	v_mov_b32_e32 v47, v3
	v_bfe_u32 v24, v2, 23, 1
	v_mov_b32_e32 v46, v2
; %bb.4351:                             ;   in Loop: Header=BB4_4196 Depth=4
	s_or_b64 exec, exec, s[40:41]
	v_lshrrev_b64 v[22:23], 20, v[46:47]
	v_cmp_gt_i32_e32 vcc, 16, v24
	v_cndmask_b32_e32 v23, 0, v23, vcc
	v_cndmask_b32_e32 v22, 7, v22, vcc
	v_min_i32_e32 v2, 15, v24
	v_cmp_eq_u64_e64 s[40:41], 0, v[22:23]
	v_lshlrev_b32_e32 v2, 3, v2
	v_cmp_eq_u32_e32 vcc, 0, v24
	v_and_b32_e32 v2, 0xf8, v2
	v_and_or_b32 v2, v22, 7, v2
	s_and_b64 s[40:41], vcc, s[40:41]
	v_cndmask_b32_e64 v2, v2, 0, s[40:41]
	v_or_b32_e32 v39, v2, v17
.LBB4_4352:                             ;   in Loop: Header=BB4_4196 Depth=4
	s_or_b64 exec, exec, s[48:49]
                                        ; implicit-def: $vgpr17
.LBB4_4353:                             ;   in Loop: Header=BB4_4196 Depth=4
	s_andn2_saveexec_b64 s[40:41], s[38:39]
; %bb.4354:                             ;   in Loop: Header=BB4_4196 Depth=4
	v_or_b32_e32 v39, 0x7e, v17
; %bb.4355:                             ;   in Loop: Header=BB4_4196 Depth=4
	s_or_b64 exec, exec, s[40:41]
                                        ; implicit-def: $vgpr24
.LBB4_4356:                             ;   in Loop: Header=BB4_4196 Depth=4
	s_andn2_saveexec_b64 s[40:41], s[36:37]
; %bb.4357:                             ;   in Loop: Header=BB4_4196 Depth=4
	v_or_b32_sdwa v39, v24, s68 dst_sel:DWORD dst_unused:UNUSED_PAD src0_sel:BYTE_3 src1_sel:DWORD
; %bb.4358:                             ;   in Loop: Header=BB4_4196 Depth=4
	s_or_b64 exec, exec, s[40:41]
	v_cmp_lt_u64_e32 vcc, s[56:57], v[8:9]
	v_mov_b32_e32 v8, 0
	s_and_saveexec_b64 s[40:41], vcc
	s_cbranch_execz .LBB4_4364
; %bb.4359:                             ;   in Loop: Header=BB4_4196 Depth=4
	v_lshrrev_b32_e32 v2, 24, v9
	v_cmp_ne_u32_e32 vcc, s70, v2
	v_bfrev_b32_e32 v8, 1
	s_and_saveexec_b64 s[36:37], vcc
	s_cbranch_execz .LBB4_4363
; %bb.4360:                             ;   in Loop: Header=BB4_4196 Depth=4
	v_bfe_u32 v9, v9, 24, 7
	v_cmp_ne_u32_e32 vcc, s68, v9
	v_mov_b32_e32 v8, 0x7f800001
	s_and_saveexec_b64 s[38:39], vcc
	s_cbranch_execz .LBB4_4362
; %bb.4361:                             ;   in Loop: Header=BB4_4196 Depth=4
	v_and_b32_e32 v17, 7, v2
	v_ffbh_u32_e32 v8, v17
	v_min_u32_e32 v23, 32, v8
	v_subrev_u32_e32 v8, 28, v23
	v_lshrrev_b32_e32 v22, 3, v9
	v_cmp_gt_u32_e32 vcc, 8, v9
	v_lshlrev_b64 v[8:9], v8, v[2:3]
	v_sub_u32_e32 v9, 29, v23
	v_and_b32_e32 v8, 7, v8
	v_cndmask_b32_e32 v9, v22, v9, vcc
	v_cndmask_b32_e32 v8, v17, v8, vcc
	v_lshlrev_b32_e32 v2, 24, v2
	v_lshlrev_b32_e32 v8, 20, v8
	v_and_b32_e32 v2, 0x80000000, v2
	v_lshl_add_u32 v9, v9, 23, v5
	v_or3_b32 v8, v2, v9, v8
.LBB4_4362:                             ;   in Loop: Header=BB4_4196 Depth=4
	s_or_b64 exec, exec, s[38:39]
.LBB4_4363:                             ;   in Loop: Header=BB4_4196 Depth=4
	s_or_b64 exec, exec, s[36:37]
.LBB4_4364:                             ;   in Loop: Header=BB4_4196 Depth=4
	s_or_b64 exec, exec, s[40:41]
	v_mul_f32_e32 v8, v21, v8
	v_and_b32_e32 v2, 0x7f800000, v8
	v_cmp_ne_u64_e32 vcc, s[62:63], v[2:3]
                                        ; implicit-def: $vgpr48
	s_and_saveexec_b64 s[40:41], vcc
	s_xor_b64 s[36:37], exec, s[40:41]
	s_cbranch_execz .LBB4_4378
; %bb.4365:                             ;   in Loop: Header=BB4_4196 Depth=4
	v_and_b32_e32 v2, 0x7fffffff, v8
	v_cmp_gt_u64_e32 vcc, s[72:73], v[2:3]
	v_and_b32_sdwa v17, v8, s70 dst_sel:DWORD dst_unused:UNUSED_PAD src0_sel:BYTE_3 src1_sel:DWORD
                                        ; implicit-def: $vgpr48
	s_and_saveexec_b64 s[40:41], vcc
	s_xor_b64 s[38:39], exec, s[40:41]
	s_cbranch_execz .LBB4_4375
; %bb.4366:                             ;   in Loop: Header=BB4_4196 Depth=4
	v_mov_b32_e32 v48, 0
	v_cmp_ne_u32_e32 vcc, 0, v8
	s_and_saveexec_b64 s[48:49], vcc
	s_cbranch_execz .LBB4_4374
; %bb.4367:                             ;   in Loop: Header=BB4_4196 Depth=4
	v_bfe_u32 v24, v8, 23, 8
	v_and_b32_e32 v2, 0x7fffff, v8
	v_cmp_gt_u32_e64 s[40:41], s71, v24
	v_sub_u32_e32 v8, 0x79, v24
	v_cmp_eq_u32_e32 vcc, 0, v24
	v_cndmask_b32_e64 v8, 0, v8, s[40:41]
	v_mov_b32_e32 v22, 0x78
	v_cndmask_b32_e32 v25, v8, v22, vcc
	v_or_b32_e32 v9, 0x800000, v2
	v_add_u32_e32 v8, 20, v25
	v_cndmask_b32_e32 v2, v9, v2, vcc
	v_lshlrev_b64 v[8:9], v8, -1
	v_add_u32_e32 v22, 19, v25
	v_lshlrev_b64 v[22:23], v22, 1
	v_bfi_b32 v9, v9, 0, 0
	v_bfi_b32 v8, v8, 0, v2
	v_cmp_eq_u64_e64 s[40:41], v[8:9], v[22:23]
	v_lshrrev_b64 v[8:9], v25, v[2:3]
	v_mov_b32_e32 v47, v9
	v_mov_b32_e32 v46, v8
	s_and_saveexec_b64 s[50:51], s[40:41]
; %bb.4368:                             ;   in Loop: Header=BB4_4196 Depth=4
	v_bfe_u32 v2, v8, 20, 1
	v_add_co_u32_e64 v2, s[40:41], v8, v2
	v_add_co_u32_e64 v46, s[40:41], -1, v2
; %bb.4369:                             ;   in Loop: Header=BB4_4196 Depth=4
	s_or_b64 exec, exec, s[50:51]
	v_add_u32_e32 v2, 0xffffff81, v24
	v_mov_b32_e32 v9, 0xffffff82
	v_cndmask_b32_e32 v2, v2, v9, vcc
	v_lshrrev_b32_e32 v9, 23, v8
	v_add3_u32 v28, v25, v2, v9
	v_add_u32_e32 v25, 6, v28
	v_and_b32_e32 v2, 0xfffff, v46
	v_add_u32_e32 v2, v2, v8
	v_cmp_ne_u32_e32 vcc, 0, v25
                                        ; implicit-def: $vgpr8_vgpr9
                                        ; implicit-def: $vgpr24
	s_and_saveexec_b64 s[40:41], vcc
	s_xor_b64 s[40:41], exec, s[40:41]
; %bb.4370:                             ;   in Loop: Header=BB4_4196 Depth=4
	v_cmp_lt_u64_e32 vcc, s[74:75], v[2:3]
	v_add_u32_e32 v8, 7, v28
	v_cndmask_b32_e32 v24, v25, v8, vcc
	v_cndmask_b32_e64 v8, 0, 1, vcc
	v_lshrrev_b64 v[8:9], v8, v[2:3]
; %bb.4371:                             ;   in Loop: Header=BB4_4196 Depth=4
	s_andn2_saveexec_b64 s[40:41], s[40:41]
; %bb.4372:                             ;   in Loop: Header=BB4_4196 Depth=4
	v_mov_b32_e32 v9, v3
	v_bfe_u32 v24, v2, 23, 1
	v_mov_b32_e32 v8, v2
; %bb.4373:                             ;   in Loop: Header=BB4_4196 Depth=4
	s_or_b64 exec, exec, s[40:41]
	v_lshrrev_b64 v[8:9], 20, v[8:9]
	v_cmp_gt_i32_e32 vcc, 16, v24
	v_cndmask_b32_e32 v9, 0, v9, vcc
	v_cndmask_b32_e32 v8, 7, v8, vcc
	v_min_i32_e32 v2, 15, v24
	v_cmp_eq_u64_e64 s[40:41], 0, v[8:9]
	v_lshlrev_b32_e32 v2, 3, v2
	v_cmp_eq_u32_e32 vcc, 0, v24
	v_and_b32_e32 v2, 0xf8, v2
	v_and_or_b32 v2, v8, 7, v2
	s_and_b64 s[40:41], vcc, s[40:41]
	v_cndmask_b32_e64 v2, v2, 0, s[40:41]
	v_or_b32_e32 v48, v2, v17
.LBB4_4374:                             ;   in Loop: Header=BB4_4196 Depth=4
	s_or_b64 exec, exec, s[48:49]
                                        ; implicit-def: $vgpr17
.LBB4_4375:                             ;   in Loop: Header=BB4_4196 Depth=4
	s_andn2_saveexec_b64 s[40:41], s[38:39]
; %bb.4376:                             ;   in Loop: Header=BB4_4196 Depth=4
	v_or_b32_e32 v48, 0x7e, v17
; %bb.4377:                             ;   in Loop: Header=BB4_4196 Depth=4
	s_or_b64 exec, exec, s[40:41]
                                        ; implicit-def: $vgpr8
.LBB4_4378:                             ;   in Loop: Header=BB4_4196 Depth=4
	s_andn2_saveexec_b64 s[40:41], s[36:37]
; %bb.4379:                             ;   in Loop: Header=BB4_4196 Depth=4
	v_or_b32_sdwa v48, v8, s68 dst_sel:DWORD dst_unused:UNUSED_PAD src0_sel:BYTE_3 src1_sel:DWORD
; %bb.4380:                             ;   in Loop: Header=BB4_4196 Depth=4
	s_or_b64 exec, exec, s[40:41]
	v_cmp_ne_u16_sdwa vcc, v10, v3 src0_sel:BYTE_0 src1_sel:DWORD
	v_mov_b32_e32 v2, 0
	s_and_saveexec_b64 s[40:41], vcc
	s_cbranch_execz .LBB4_4386
; %bb.4381:                             ;   in Loop: Header=BB4_4196 Depth=4
	v_cmp_ne_u16_sdwa vcc, v10, s70 src0_sel:BYTE_0 src1_sel:DWORD
	v_bfrev_b32_e32 v2, 1
	s_and_saveexec_b64 s[36:37], vcc
	s_cbranch_execz .LBB4_4385
; %bb.4382:                             ;   in Loop: Header=BB4_4196 Depth=4
	v_and_b32_e32 v8, 0x7f, v10
	v_cmp_ne_u32_e32 vcc, s68, v8
	v_mov_b32_e32 v2, 0x7f800001
	s_and_saveexec_b64 s[38:39], vcc
	s_cbranch_execz .LBB4_4384
; %bb.4383:                             ;   in Loop: Header=BB4_4196 Depth=4
	v_and_b32_e32 v2, 7, v10
	v_ffbh_u32_e32 v2, v2
	v_min_u32_e32 v2, 32, v2
	v_lshrrev_b32_e32 v9, 3, v8
	v_cmp_gt_u32_e32 vcc, 8, v8
	v_subrev_u32_e32 v8, 28, v2
	v_sub_u32_e32 v2, 29, v2
	v_cndmask_b32_e32 v8, 0, v8, vcc
	v_cndmask_b32_e32 v2, v9, v2, vcc
	v_lshlrev_b64 v[8:9], v8, v[10:11]
	v_lshlrev_b32_e32 v9, 24, v10
	v_lshlrev_b32_e32 v8, 20, v8
	v_and_b32_e32 v8, 0x700000, v8
	v_and_b32_e32 v9, 0x80000000, v9
	v_lshl_add_u32 v2, v2, 23, v5
	v_or3_b32 v2, v9, v2, v8
.LBB4_4384:                             ;   in Loop: Header=BB4_4196 Depth=4
	s_or_b64 exec, exec, s[38:39]
.LBB4_4385:                             ;   in Loop: Header=BB4_4196 Depth=4
	s_or_b64 exec, exec, s[36:37]
.LBB4_4386:                             ;   in Loop: Header=BB4_4196 Depth=4
	s_or_b64 exec, exec, s[40:41]
	v_mul_f32_e32 v8, v21, v2
	v_and_b32_e32 v2, 0x7f800000, v8
	v_cmp_ne_u64_e32 vcc, s[62:63], v[2:3]
                                        ; implicit-def: $vgpr24
	s_and_saveexec_b64 s[40:41], vcc
	s_xor_b64 s[36:37], exec, s[40:41]
	s_cbranch_execz .LBB4_4400
; %bb.4387:                             ;   in Loop: Header=BB4_4196 Depth=4
	v_and_b32_e32 v2, 0x7fffffff, v8
	v_cmp_gt_u64_e32 vcc, s[72:73], v[2:3]
	v_and_b32_sdwa v17, v8, s70 dst_sel:DWORD dst_unused:UNUSED_PAD src0_sel:BYTE_3 src1_sel:DWORD
                                        ; implicit-def: $vgpr24
	s_and_saveexec_b64 s[40:41], vcc
	s_xor_b64 s[38:39], exec, s[40:41]
	s_cbranch_execz .LBB4_4397
; %bb.4388:                             ;   in Loop: Header=BB4_4196 Depth=4
	v_mov_b32_e32 v24, 0
	v_cmp_ne_u32_e32 vcc, 0, v8
	s_and_saveexec_b64 s[48:49], vcc
	s_cbranch_execz .LBB4_4396
; %bb.4389:                             ;   in Loop: Header=BB4_4196 Depth=4
	v_bfe_u32 v24, v8, 23, 8
	v_and_b32_e32 v2, 0x7fffff, v8
	v_cmp_gt_u32_e64 s[40:41], s71, v24
	v_sub_u32_e32 v8, 0x79, v24
	v_cmp_eq_u32_e32 vcc, 0, v24
	v_cndmask_b32_e64 v8, 0, v8, s[40:41]
	v_mov_b32_e32 v22, 0x78
	v_cndmask_b32_e32 v25, v8, v22, vcc
	v_or_b32_e32 v9, 0x800000, v2
	v_add_u32_e32 v8, 20, v25
	v_cndmask_b32_e32 v2, v9, v2, vcc
	v_lshlrev_b64 v[8:9], v8, -1
	v_add_u32_e32 v22, 19, v25
	v_lshlrev_b64 v[22:23], v22, 1
	v_bfi_b32 v9, v9, 0, 0
	v_bfi_b32 v8, v8, 0, v2
	v_cmp_eq_u64_e64 s[40:41], v[8:9], v[22:23]
	v_lshrrev_b64 v[8:9], v25, v[2:3]
	v_mov_b32_e32 v47, v9
	v_mov_b32_e32 v46, v8
	s_and_saveexec_b64 s[50:51], s[40:41]
; %bb.4390:                             ;   in Loop: Header=BB4_4196 Depth=4
	v_bfe_u32 v2, v8, 20, 1
	v_add_co_u32_e64 v2, s[40:41], v8, v2
	v_add_co_u32_e64 v46, s[40:41], -1, v2
; %bb.4391:                             ;   in Loop: Header=BB4_4196 Depth=4
	s_or_b64 exec, exec, s[50:51]
	v_add_u32_e32 v2, 0xffffff81, v24
	v_mov_b32_e32 v9, 0xffffff82
	v_cndmask_b32_e32 v2, v2, v9, vcc
	v_lshrrev_b32_e32 v9, 23, v8
	v_add3_u32 v28, v25, v2, v9
	v_add_u32_e32 v25, 6, v28
	v_and_b32_e32 v2, 0xfffff, v46
	v_add_u32_e32 v2, v2, v8
	v_cmp_ne_u32_e32 vcc, 0, v25
                                        ; implicit-def: $vgpr8_vgpr9
                                        ; implicit-def: $vgpr24
	s_and_saveexec_b64 s[40:41], vcc
	s_xor_b64 s[40:41], exec, s[40:41]
; %bb.4392:                             ;   in Loop: Header=BB4_4196 Depth=4
	v_cmp_lt_u64_e32 vcc, s[74:75], v[2:3]
	v_add_u32_e32 v8, 7, v28
	v_cndmask_b32_e32 v24, v25, v8, vcc
	v_cndmask_b32_e64 v8, 0, 1, vcc
	v_lshrrev_b64 v[8:9], v8, v[2:3]
; %bb.4393:                             ;   in Loop: Header=BB4_4196 Depth=4
	s_andn2_saveexec_b64 s[40:41], s[40:41]
; %bb.4394:                             ;   in Loop: Header=BB4_4196 Depth=4
	v_mov_b32_e32 v9, v3
	v_bfe_u32 v24, v2, 23, 1
	v_mov_b32_e32 v8, v2
; %bb.4395:                             ;   in Loop: Header=BB4_4196 Depth=4
	s_or_b64 exec, exec, s[40:41]
	v_lshrrev_b64 v[8:9], 20, v[8:9]
	v_cmp_gt_i32_e32 vcc, 16, v24
	v_cndmask_b32_e32 v9, 0, v9, vcc
	v_cndmask_b32_e32 v8, 7, v8, vcc
	v_min_i32_e32 v2, 15, v24
	v_cmp_eq_u64_e64 s[40:41], 0, v[8:9]
	v_lshlrev_b32_e32 v2, 3, v2
	v_cmp_eq_u32_e32 vcc, 0, v24
	v_and_b32_e32 v2, 0xf8, v2
	v_and_or_b32 v2, v8, 7, v2
	s_and_b64 s[40:41], vcc, s[40:41]
	v_cndmask_b32_e64 v2, v2, 0, s[40:41]
	v_or_b32_e32 v24, v2, v17
.LBB4_4396:                             ;   in Loop: Header=BB4_4196 Depth=4
	s_or_b64 exec, exec, s[48:49]
                                        ; implicit-def: $vgpr17
.LBB4_4397:                             ;   in Loop: Header=BB4_4196 Depth=4
	s_andn2_saveexec_b64 s[40:41], s[38:39]
; %bb.4398:                             ;   in Loop: Header=BB4_4196 Depth=4
	v_or_b32_e32 v24, 0x7e, v17
; %bb.4399:                             ;   in Loop: Header=BB4_4196 Depth=4
	s_or_b64 exec, exec, s[40:41]
                                        ; implicit-def: $vgpr8
.LBB4_4400:                             ;   in Loop: Header=BB4_4196 Depth=4
	s_andn2_saveexec_b64 s[40:41], s[36:37]
; %bb.4401:                             ;   in Loop: Header=BB4_4196 Depth=4
	v_or_b32_sdwa v24, v8, s68 dst_sel:DWORD dst_unused:UNUSED_PAD src0_sel:BYTE_3 src1_sel:DWORD
; %bb.4402:                             ;   in Loop: Header=BB4_4196 Depth=4
	s_or_b64 exec, exec, s[40:41]
	v_lshrrev_b16_e32 v2, 8, v10
	v_cmp_ne_u16_e32 vcc, 0, v2
	v_mov_b32_e32 v8, 0
	s_and_saveexec_b64 s[40:41], vcc
	s_cbranch_execz .LBB4_4408
; %bb.4403:                             ;   in Loop: Header=BB4_4196 Depth=4
	v_cmp_ne_u16_e32 vcc, s70, v2
	v_bfrev_b32_e32 v8, 1
	s_and_saveexec_b64 s[36:37], vcc
	s_cbranch_execz .LBB4_4407
; %bb.4404:                             ;   in Loop: Header=BB4_4196 Depth=4
	v_and_b32_e32 v9, 0x7f, v2
	v_cmp_ne_u32_e32 vcc, s68, v9
	v_mov_b32_e32 v8, 0x7f800001
	s_and_saveexec_b64 s[38:39], vcc
	s_cbranch_execz .LBB4_4406
; %bb.4405:                             ;   in Loop: Header=BB4_4196 Depth=4
	v_and_b32_e32 v17, 7, v2
	v_ffbh_u32_e32 v8, v17
	v_min_u32_e32 v23, 32, v8
	v_subrev_u32_e32 v8, 28, v23
	v_lshrrev_b32_e32 v22, 3, v9
	v_cmp_gt_u32_e32 vcc, 8, v9
	v_lshlrev_b64 v[8:9], v8, v[2:3]
	v_sub_u32_e32 v2, 29, v23
	v_and_b32_e32 v8, 7, v8
	v_cndmask_b32_e32 v2, v22, v2, vcc
	v_cndmask_b32_e32 v8, v17, v8, vcc
	v_lshlrev_b32_e32 v9, 16, v10
	v_lshlrev_b32_e32 v8, 20, v8
	v_and_b32_e32 v9, 0x80000000, v9
	v_lshl_add_u32 v2, v2, 23, v5
	v_or3_b32 v8, v9, v2, v8
.LBB4_4406:                             ;   in Loop: Header=BB4_4196 Depth=4
	s_or_b64 exec, exec, s[38:39]
.LBB4_4407:                             ;   in Loop: Header=BB4_4196 Depth=4
	s_or_b64 exec, exec, s[36:37]
.LBB4_4408:                             ;   in Loop: Header=BB4_4196 Depth=4
	s_or_b64 exec, exec, s[40:41]
	v_mul_f32_e32 v8, v21, v8
	v_and_b32_e32 v2, 0x7f800000, v8
	v_cmp_ne_u64_e32 vcc, s[62:63], v[2:3]
                                        ; implicit-def: $vgpr31
	s_and_saveexec_b64 s[40:41], vcc
	s_xor_b64 s[36:37], exec, s[40:41]
	s_cbranch_execz .LBB4_4422
; %bb.4409:                             ;   in Loop: Header=BB4_4196 Depth=4
	v_and_b32_e32 v2, 0x7fffffff, v8
	v_cmp_gt_u64_e32 vcc, s[72:73], v[2:3]
	v_and_b32_sdwa v17, v8, s70 dst_sel:DWORD dst_unused:UNUSED_PAD src0_sel:BYTE_3 src1_sel:DWORD
                                        ; implicit-def: $vgpr31
	s_and_saveexec_b64 s[40:41], vcc
	s_xor_b64 s[38:39], exec, s[40:41]
	s_cbranch_execz .LBB4_4419
; %bb.4410:                             ;   in Loop: Header=BB4_4196 Depth=4
	v_mov_b32_e32 v31, 0
	v_cmp_ne_u32_e32 vcc, 0, v8
	s_and_saveexec_b64 s[48:49], vcc
	s_cbranch_execz .LBB4_4418
; %bb.4411:                             ;   in Loop: Header=BB4_4196 Depth=4
	v_bfe_u32 v25, v8, 23, 8
	v_and_b32_e32 v2, 0x7fffff, v8
	v_cmp_gt_u32_e64 s[40:41], s71, v25
	v_sub_u32_e32 v8, 0x79, v25
	v_cmp_eq_u32_e32 vcc, 0, v25
	v_cndmask_b32_e64 v8, 0, v8, s[40:41]
	v_mov_b32_e32 v22, 0x78
	v_cndmask_b32_e32 v28, v8, v22, vcc
	v_or_b32_e32 v9, 0x800000, v2
	v_add_u32_e32 v8, 20, v28
	v_cndmask_b32_e32 v2, v9, v2, vcc
	v_lshlrev_b64 v[8:9], v8, -1
	v_add_u32_e32 v22, 19, v28
	v_lshlrev_b64 v[22:23], v22, 1
	v_bfi_b32 v9, v9, 0, 0
	v_bfi_b32 v8, v8, 0, v2
	v_cmp_eq_u64_e64 s[40:41], v[8:9], v[22:23]
	v_lshrrev_b64 v[8:9], v28, v[2:3]
	v_mov_b32_e32 v47, v9
	v_mov_b32_e32 v46, v8
	s_and_saveexec_b64 s[50:51], s[40:41]
; %bb.4412:                             ;   in Loop: Header=BB4_4196 Depth=4
	v_bfe_u32 v2, v8, 20, 1
	v_add_co_u32_e64 v2, s[40:41], v8, v2
	v_add_co_u32_e64 v46, s[40:41], -1, v2
; %bb.4413:                             ;   in Loop: Header=BB4_4196 Depth=4
	s_or_b64 exec, exec, s[50:51]
	v_add_u32_e32 v2, 0xffffff81, v25
	v_mov_b32_e32 v9, 0xffffff82
	v_cndmask_b32_e32 v2, v2, v9, vcc
	v_lshrrev_b32_e32 v9, 23, v8
	v_add3_u32 v30, v28, v2, v9
	v_add_u32_e32 v28, 6, v30
	v_and_b32_e32 v2, 0xfffff, v46
	v_add_u32_e32 v2, v2, v8
	v_cmp_ne_u32_e32 vcc, 0, v28
                                        ; implicit-def: $vgpr8_vgpr9
                                        ; implicit-def: $vgpr25
	s_and_saveexec_b64 s[40:41], vcc
	s_xor_b64 s[40:41], exec, s[40:41]
; %bb.4414:                             ;   in Loop: Header=BB4_4196 Depth=4
	v_cmp_lt_u64_e32 vcc, s[74:75], v[2:3]
	v_add_u32_e32 v8, 7, v30
	v_cndmask_b32_e32 v25, v28, v8, vcc
	v_cndmask_b32_e64 v8, 0, 1, vcc
	v_lshrrev_b64 v[8:9], v8, v[2:3]
; %bb.4415:                             ;   in Loop: Header=BB4_4196 Depth=4
	s_andn2_saveexec_b64 s[40:41], s[40:41]
; %bb.4416:                             ;   in Loop: Header=BB4_4196 Depth=4
	v_mov_b32_e32 v9, v3
	v_bfe_u32 v25, v2, 23, 1
	v_mov_b32_e32 v8, v2
; %bb.4417:                             ;   in Loop: Header=BB4_4196 Depth=4
	s_or_b64 exec, exec, s[40:41]
	v_lshrrev_b64 v[8:9], 20, v[8:9]
	v_cmp_gt_i32_e32 vcc, 16, v25
	v_cndmask_b32_e32 v9, 0, v9, vcc
	v_cndmask_b32_e32 v8, 7, v8, vcc
	v_min_i32_e32 v2, 15, v25
	v_cmp_eq_u64_e64 s[40:41], 0, v[8:9]
	v_lshlrev_b32_e32 v2, 3, v2
	v_cmp_eq_u32_e32 vcc, 0, v25
	v_and_b32_e32 v2, 0xf8, v2
	v_and_or_b32 v2, v8, 7, v2
	s_and_b64 s[40:41], vcc, s[40:41]
	v_cndmask_b32_e64 v2, v2, 0, s[40:41]
	v_or_b32_e32 v31, v2, v17
.LBB4_4418:                             ;   in Loop: Header=BB4_4196 Depth=4
	s_or_b64 exec, exec, s[48:49]
                                        ; implicit-def: $vgpr17
.LBB4_4419:                             ;   in Loop: Header=BB4_4196 Depth=4
	s_andn2_saveexec_b64 s[40:41], s[38:39]
; %bb.4420:                             ;   in Loop: Header=BB4_4196 Depth=4
	v_or_b32_e32 v31, 0x7e, v17
; %bb.4421:                             ;   in Loop: Header=BB4_4196 Depth=4
	s_or_b64 exec, exec, s[40:41]
                                        ; implicit-def: $vgpr8
.LBB4_4422:                             ;   in Loop: Header=BB4_4196 Depth=4
	s_andn2_saveexec_b64 s[40:41], s[36:37]
; %bb.4423:                             ;   in Loop: Header=BB4_4196 Depth=4
	v_or_b32_sdwa v31, v8, s68 dst_sel:DWORD dst_unused:UNUSED_PAD src0_sel:BYTE_3 src1_sel:DWORD
; %bb.4424:                             ;   in Loop: Header=BB4_4196 Depth=4
	s_or_b64 exec, exec, s[40:41]
	v_lshrrev_b32_e32 v2, 16, v10
	v_cmp_ne_u16_sdwa vcc, v2, v3 src0_sel:BYTE_0 src1_sel:DWORD
	v_mov_b32_e32 v8, 0
	s_and_saveexec_b64 s[40:41], vcc
	s_cbranch_execz .LBB4_4430
; %bb.4425:                             ;   in Loop: Header=BB4_4196 Depth=4
	v_cmp_ne_u16_sdwa vcc, v2, s70 src0_sel:BYTE_0 src1_sel:DWORD
	v_bfrev_b32_e32 v8, 1
	s_and_saveexec_b64 s[36:37], vcc
	s_cbranch_execz .LBB4_4429
; %bb.4426:                             ;   in Loop: Header=BB4_4196 Depth=4
	v_bfe_u32 v9, v10, 16, 7
	v_cmp_ne_u32_e32 vcc, s68, v9
	v_mov_b32_e32 v8, 0x7f800001
	s_and_saveexec_b64 s[38:39], vcc
	s_cbranch_execz .LBB4_4428
; %bb.4427:                             ;   in Loop: Header=BB4_4196 Depth=4
	v_and_b32_e32 v17, 7, v2
	v_ffbh_u32_e32 v8, v17
	v_min_u32_e32 v23, 32, v8
	v_subrev_u32_e32 v8, 28, v23
	v_lshrrev_b32_e32 v22, 3, v9
	v_cmp_gt_u32_e32 vcc, 8, v9
	v_lshlrev_b64 v[8:9], v8, v[2:3]
	v_sub_u32_e32 v9, 29, v23
	v_and_b32_e32 v8, 7, v8
	v_cndmask_b32_e32 v9, v22, v9, vcc
	v_cndmask_b32_e32 v8, v17, v8, vcc
	v_lshlrev_b32_e32 v2, 24, v2
	v_lshlrev_b32_e32 v8, 20, v8
	v_and_b32_e32 v2, 0x80000000, v2
	v_lshl_add_u32 v9, v9, 23, v5
	v_or3_b32 v8, v2, v9, v8
.LBB4_4428:                             ;   in Loop: Header=BB4_4196 Depth=4
	s_or_b64 exec, exec, s[38:39]
.LBB4_4429:                             ;   in Loop: Header=BB4_4196 Depth=4
	s_or_b64 exec, exec, s[36:37]
.LBB4_4430:                             ;   in Loop: Header=BB4_4196 Depth=4
	s_or_b64 exec, exec, s[40:41]
	v_mul_f32_e32 v8, v21, v8
	v_and_b32_e32 v2, 0x7f800000, v8
	v_cmp_ne_u64_e32 vcc, s[62:63], v[2:3]
                                        ; implicit-def: $vgpr36
	s_and_saveexec_b64 s[40:41], vcc
	s_xor_b64 s[36:37], exec, s[40:41]
	s_cbranch_execz .LBB4_4444
; %bb.4431:                             ;   in Loop: Header=BB4_4196 Depth=4
	v_and_b32_e32 v2, 0x7fffffff, v8
	v_cmp_gt_u64_e32 vcc, s[72:73], v[2:3]
	v_and_b32_sdwa v17, v8, s70 dst_sel:DWORD dst_unused:UNUSED_PAD src0_sel:BYTE_3 src1_sel:DWORD
                                        ; implicit-def: $vgpr36
	s_and_saveexec_b64 s[40:41], vcc
	s_xor_b64 s[38:39], exec, s[40:41]
	s_cbranch_execz .LBB4_4441
; %bb.4432:                             ;   in Loop: Header=BB4_4196 Depth=4
	v_mov_b32_e32 v36, 0
	v_cmp_ne_u32_e32 vcc, 0, v8
	s_and_saveexec_b64 s[48:49], vcc
	s_cbranch_execz .LBB4_4440
; %bb.4433:                             ;   in Loop: Header=BB4_4196 Depth=4
	v_bfe_u32 v25, v8, 23, 8
	v_and_b32_e32 v2, 0x7fffff, v8
	v_cmp_gt_u32_e64 s[40:41], s71, v25
	v_sub_u32_e32 v8, 0x79, v25
	v_cmp_eq_u32_e32 vcc, 0, v25
	v_cndmask_b32_e64 v8, 0, v8, s[40:41]
	v_mov_b32_e32 v22, 0x78
	v_cndmask_b32_e32 v28, v8, v22, vcc
	v_or_b32_e32 v9, 0x800000, v2
	v_add_u32_e32 v8, 20, v28
	v_cndmask_b32_e32 v2, v9, v2, vcc
	v_lshlrev_b64 v[8:9], v8, -1
	v_add_u32_e32 v22, 19, v28
	v_lshlrev_b64 v[22:23], v22, 1
	v_bfi_b32 v9, v9, 0, 0
	v_bfi_b32 v8, v8, 0, v2
	v_cmp_eq_u64_e64 s[40:41], v[8:9], v[22:23]
	v_lshrrev_b64 v[8:9], v28, v[2:3]
	v_mov_b32_e32 v47, v9
	v_mov_b32_e32 v46, v8
	s_and_saveexec_b64 s[50:51], s[40:41]
; %bb.4434:                             ;   in Loop: Header=BB4_4196 Depth=4
	v_bfe_u32 v2, v8, 20, 1
	v_add_co_u32_e64 v2, s[40:41], v8, v2
	v_add_co_u32_e64 v46, s[40:41], -1, v2
; %bb.4435:                             ;   in Loop: Header=BB4_4196 Depth=4
	s_or_b64 exec, exec, s[50:51]
	v_add_u32_e32 v2, 0xffffff81, v25
	v_mov_b32_e32 v9, 0xffffff82
	v_cndmask_b32_e32 v2, v2, v9, vcc
	v_lshrrev_b32_e32 v9, 23, v8
	v_add3_u32 v30, v28, v2, v9
	v_add_u32_e32 v28, 6, v30
	v_and_b32_e32 v2, 0xfffff, v46
	v_add_u32_e32 v2, v2, v8
	v_cmp_ne_u32_e32 vcc, 0, v28
                                        ; implicit-def: $vgpr8_vgpr9
                                        ; implicit-def: $vgpr25
	s_and_saveexec_b64 s[40:41], vcc
	s_xor_b64 s[40:41], exec, s[40:41]
; %bb.4436:                             ;   in Loop: Header=BB4_4196 Depth=4
	v_cmp_lt_u64_e32 vcc, s[74:75], v[2:3]
	v_add_u32_e32 v8, 7, v30
	v_cndmask_b32_e32 v25, v28, v8, vcc
	v_cndmask_b32_e64 v8, 0, 1, vcc
	v_lshrrev_b64 v[8:9], v8, v[2:3]
; %bb.4437:                             ;   in Loop: Header=BB4_4196 Depth=4
	s_andn2_saveexec_b64 s[40:41], s[40:41]
; %bb.4438:                             ;   in Loop: Header=BB4_4196 Depth=4
	v_mov_b32_e32 v9, v3
	v_bfe_u32 v25, v2, 23, 1
	v_mov_b32_e32 v8, v2
; %bb.4439:                             ;   in Loop: Header=BB4_4196 Depth=4
	s_or_b64 exec, exec, s[40:41]
	v_lshrrev_b64 v[8:9], 20, v[8:9]
	v_cmp_gt_i32_e32 vcc, 16, v25
	v_cndmask_b32_e32 v9, 0, v9, vcc
	v_cndmask_b32_e32 v8, 7, v8, vcc
	v_min_i32_e32 v2, 15, v25
	v_cmp_eq_u64_e64 s[40:41], 0, v[8:9]
	v_lshlrev_b32_e32 v2, 3, v2
	v_cmp_eq_u32_e32 vcc, 0, v25
	v_and_b32_e32 v2, 0xf8, v2
	v_and_or_b32 v2, v8, 7, v2
	s_and_b64 s[40:41], vcc, s[40:41]
	v_cndmask_b32_e64 v2, v2, 0, s[40:41]
	v_or_b32_e32 v36, v2, v17
.LBB4_4440:                             ;   in Loop: Header=BB4_4196 Depth=4
	s_or_b64 exec, exec, s[48:49]
                                        ; implicit-def: $vgpr17
.LBB4_4441:                             ;   in Loop: Header=BB4_4196 Depth=4
	s_andn2_saveexec_b64 s[40:41], s[38:39]
; %bb.4442:                             ;   in Loop: Header=BB4_4196 Depth=4
	v_or_b32_e32 v36, 0x7e, v17
; %bb.4443:                             ;   in Loop: Header=BB4_4196 Depth=4
	s_or_b64 exec, exec, s[40:41]
                                        ; implicit-def: $vgpr8
.LBB4_4444:                             ;   in Loop: Header=BB4_4196 Depth=4
	s_andn2_saveexec_b64 s[40:41], s[36:37]
; %bb.4445:                             ;   in Loop: Header=BB4_4196 Depth=4
	v_or_b32_sdwa v36, v8, s68 dst_sel:DWORD dst_unused:UNUSED_PAD src0_sel:BYTE_3 src1_sel:DWORD
; %bb.4446:                             ;   in Loop: Header=BB4_4196 Depth=4
	s_or_b64 exec, exec, s[40:41]
	v_cmp_lt_u32_e32 vcc, s57, v10
	v_mov_b32_e32 v8, 0
	s_and_saveexec_b64 s[40:41], vcc
	s_cbranch_execz .LBB4_4452
; %bb.4447:                             ;   in Loop: Header=BB4_4196 Depth=4
	v_lshrrev_b32_e32 v2, 24, v10
	v_cmp_ne_u32_e32 vcc, s70, v2
	v_bfrev_b32_e32 v8, 1
	s_and_saveexec_b64 s[36:37], vcc
	s_cbranch_execz .LBB4_4451
; %bb.4448:                             ;   in Loop: Header=BB4_4196 Depth=4
	v_bfe_u32 v9, v10, 24, 7
	v_cmp_ne_u32_e32 vcc, s68, v9
	v_mov_b32_e32 v8, 0x7f800001
	s_and_saveexec_b64 s[38:39], vcc
	s_cbranch_execz .LBB4_4450
; %bb.4449:                             ;   in Loop: Header=BB4_4196 Depth=4
	v_and_b32_e32 v17, 7, v2
	v_ffbh_u32_e32 v8, v17
	v_min_u32_e32 v23, 32, v8
	v_subrev_u32_e32 v8, 28, v23
	v_lshrrev_b32_e32 v22, 3, v9
	v_cmp_gt_u32_e32 vcc, 8, v9
	v_lshlrev_b64 v[8:9], v8, v[2:3]
	v_sub_u32_e32 v9, 29, v23
	v_and_b32_e32 v8, 7, v8
	v_cndmask_b32_e32 v9, v22, v9, vcc
	v_cndmask_b32_e32 v8, v17, v8, vcc
	v_lshlrev_b32_e32 v2, 24, v2
	v_lshlrev_b32_e32 v8, 20, v8
	v_and_b32_e32 v2, 0x80000000, v2
	v_lshl_add_u32 v9, v9, 23, v5
	v_or3_b32 v8, v2, v9, v8
.LBB4_4450:                             ;   in Loop: Header=BB4_4196 Depth=4
	s_or_b64 exec, exec, s[38:39]
.LBB4_4451:                             ;   in Loop: Header=BB4_4196 Depth=4
	s_or_b64 exec, exec, s[36:37]
.LBB4_4452:                             ;   in Loop: Header=BB4_4196 Depth=4
	s_or_b64 exec, exec, s[40:41]
	v_mul_f32_e32 v8, v21, v8
	v_and_b32_e32 v2, 0x7f800000, v8
	v_cmp_ne_u64_e32 vcc, s[62:63], v[2:3]
                                        ; implicit-def: $vgpr38
	s_and_saveexec_b64 s[40:41], vcc
	s_xor_b64 s[36:37], exec, s[40:41]
	s_cbranch_execz .LBB4_4466
; %bb.4453:                             ;   in Loop: Header=BB4_4196 Depth=4
	v_and_b32_e32 v2, 0x7fffffff, v8
	v_cmp_gt_u64_e32 vcc, s[72:73], v[2:3]
	v_and_b32_sdwa v17, v8, s70 dst_sel:DWORD dst_unused:UNUSED_PAD src0_sel:BYTE_3 src1_sel:DWORD
                                        ; implicit-def: $vgpr38
	s_and_saveexec_b64 s[40:41], vcc
	s_xor_b64 s[38:39], exec, s[40:41]
	s_cbranch_execz .LBB4_4463
; %bb.4454:                             ;   in Loop: Header=BB4_4196 Depth=4
	v_mov_b32_e32 v38, 0
	v_cmp_ne_u32_e32 vcc, 0, v8
	s_and_saveexec_b64 s[48:49], vcc
	s_cbranch_execz .LBB4_4462
; %bb.4455:                             ;   in Loop: Header=BB4_4196 Depth=4
	v_bfe_u32 v25, v8, 23, 8
	v_and_b32_e32 v2, 0x7fffff, v8
	v_cmp_gt_u32_e64 s[40:41], s71, v25
	v_sub_u32_e32 v8, 0x79, v25
	v_cmp_eq_u32_e32 vcc, 0, v25
	v_cndmask_b32_e64 v8, 0, v8, s[40:41]
	v_mov_b32_e32 v22, 0x78
	v_cndmask_b32_e32 v28, v8, v22, vcc
	v_or_b32_e32 v9, 0x800000, v2
	v_add_u32_e32 v8, 20, v28
	v_cndmask_b32_e32 v2, v9, v2, vcc
	v_lshlrev_b64 v[8:9], v8, -1
	v_add_u32_e32 v22, 19, v28
	v_lshlrev_b64 v[22:23], v22, 1
	v_bfi_b32 v9, v9, 0, 0
	v_bfi_b32 v8, v8, 0, v2
	v_cmp_eq_u64_e64 s[40:41], v[8:9], v[22:23]
	v_lshrrev_b64 v[8:9], v28, v[2:3]
	v_mov_b32_e32 v47, v9
	v_mov_b32_e32 v46, v8
	s_and_saveexec_b64 s[50:51], s[40:41]
; %bb.4456:                             ;   in Loop: Header=BB4_4196 Depth=4
	v_bfe_u32 v2, v8, 20, 1
	v_add_co_u32_e64 v2, s[40:41], v8, v2
	v_add_co_u32_e64 v46, s[40:41], -1, v2
; %bb.4457:                             ;   in Loop: Header=BB4_4196 Depth=4
	s_or_b64 exec, exec, s[50:51]
	v_add_u32_e32 v2, 0xffffff81, v25
	v_mov_b32_e32 v9, 0xffffff82
	v_cndmask_b32_e32 v2, v2, v9, vcc
	v_lshrrev_b32_e32 v9, 23, v8
	v_add3_u32 v30, v28, v2, v9
	v_add_u32_e32 v28, 6, v30
	v_and_b32_e32 v2, 0xfffff, v46
	v_add_u32_e32 v2, v2, v8
	v_cmp_ne_u32_e32 vcc, 0, v28
                                        ; implicit-def: $vgpr8_vgpr9
                                        ; implicit-def: $vgpr25
	s_and_saveexec_b64 s[40:41], vcc
	s_xor_b64 s[40:41], exec, s[40:41]
; %bb.4458:                             ;   in Loop: Header=BB4_4196 Depth=4
	v_cmp_lt_u64_e32 vcc, s[74:75], v[2:3]
	v_add_u32_e32 v8, 7, v30
	v_cndmask_b32_e32 v25, v28, v8, vcc
	v_cndmask_b32_e64 v8, 0, 1, vcc
	v_lshrrev_b64 v[8:9], v8, v[2:3]
; %bb.4459:                             ;   in Loop: Header=BB4_4196 Depth=4
	s_andn2_saveexec_b64 s[40:41], s[40:41]
; %bb.4460:                             ;   in Loop: Header=BB4_4196 Depth=4
	v_mov_b32_e32 v9, v3
	v_bfe_u32 v25, v2, 23, 1
	v_mov_b32_e32 v8, v2
; %bb.4461:                             ;   in Loop: Header=BB4_4196 Depth=4
	s_or_b64 exec, exec, s[40:41]
	v_lshrrev_b64 v[8:9], 20, v[8:9]
	v_cmp_gt_i32_e32 vcc, 16, v25
	v_cndmask_b32_e32 v9, 0, v9, vcc
	v_cndmask_b32_e32 v8, 7, v8, vcc
	v_min_i32_e32 v2, 15, v25
	v_cmp_eq_u64_e64 s[40:41], 0, v[8:9]
	v_lshlrev_b32_e32 v2, 3, v2
	v_cmp_eq_u32_e32 vcc, 0, v25
	v_and_b32_e32 v2, 0xf8, v2
	v_and_or_b32 v2, v8, 7, v2
	s_and_b64 s[40:41], vcc, s[40:41]
	v_cndmask_b32_e64 v2, v2, 0, s[40:41]
	v_or_b32_e32 v38, v2, v17
.LBB4_4462:                             ;   in Loop: Header=BB4_4196 Depth=4
	s_or_b64 exec, exec, s[48:49]
                                        ; implicit-def: $vgpr17
.LBB4_4463:                             ;   in Loop: Header=BB4_4196 Depth=4
	s_andn2_saveexec_b64 s[40:41], s[38:39]
; %bb.4464:                             ;   in Loop: Header=BB4_4196 Depth=4
	v_or_b32_e32 v38, 0x7e, v17
; %bb.4465:                             ;   in Loop: Header=BB4_4196 Depth=4
	s_or_b64 exec, exec, s[40:41]
                                        ; implicit-def: $vgpr8
.LBB4_4466:                             ;   in Loop: Header=BB4_4196 Depth=4
	s_andn2_saveexec_b64 s[40:41], s[36:37]
; %bb.4467:                             ;   in Loop: Header=BB4_4196 Depth=4
	v_or_b32_sdwa v38, v8, s68 dst_sel:DWORD dst_unused:UNUSED_PAD src0_sel:BYTE_3 src1_sel:DWORD
; %bb.4468:                             ;   in Loop: Header=BB4_4196 Depth=4
	s_or_b64 exec, exec, s[40:41]
	v_mov_b32_e32 v2, v11
	v_cmp_ne_u16_sdwa vcc, v11, v3 src0_sel:BYTE_0 src1_sel:DWORD
	v_mov_b32_e32 v8, 0
	s_and_saveexec_b64 s[40:41], vcc
	s_cbranch_execz .LBB4_4474
; %bb.4469:                             ;   in Loop: Header=BB4_4196 Depth=4
	v_cmp_ne_u16_sdwa vcc, v11, s70 src0_sel:BYTE_0 src1_sel:DWORD
	v_bfrev_b32_e32 v8, 1
	s_and_saveexec_b64 s[36:37], vcc
	s_cbranch_execz .LBB4_4473
; %bb.4470:                             ;   in Loop: Header=BB4_4196 Depth=4
	v_and_b32_e32 v9, 0x7f, v11
	v_cmp_ne_u32_e32 vcc, s68, v9
	v_mov_b32_e32 v8, 0x7f800001
	s_and_saveexec_b64 s[38:39], vcc
	s_cbranch_execz .LBB4_4472
; %bb.4471:                             ;   in Loop: Header=BB4_4196 Depth=4
	v_and_b32_e32 v8, 7, v11
	v_ffbh_u32_e32 v8, v8
	v_min_u32_e32 v8, 32, v8
	v_lshrrev_b32_e32 v17, 3, v9
	v_cmp_gt_u32_e32 vcc, 8, v9
	v_subrev_u32_e32 v9, 28, v8
	v_sub_u32_e32 v8, 29, v8
	v_cndmask_b32_e32 v17, v17, v8, vcc
	v_cndmask_b32_e32 v8, 0, v9, vcc
	v_lshlrev_b64 v[8:9], v8, v[2:3]
	v_lshlrev_b32_e32 v9, 24, v2
	v_lshlrev_b32_e32 v8, 20, v8
	v_and_b32_e32 v8, 0x700000, v8
	v_and_b32_e32 v9, 0x80000000, v9
	v_lshl_add_u32 v17, v17, 23, v5
	v_or3_b32 v8, v9, v17, v8
.LBB4_4472:                             ;   in Loop: Header=BB4_4196 Depth=4
	s_or_b64 exec, exec, s[38:39]
.LBB4_4473:                             ;   in Loop: Header=BB4_4196 Depth=4
	s_or_b64 exec, exec, s[36:37]
.LBB4_4474:                             ;   in Loop: Header=BB4_4196 Depth=4
	s_or_b64 exec, exec, s[40:41]
	v_mul_f32_e32 v8, v21, v8
	v_and_b32_e32 v22, 0x7f800000, v8
	v_mov_b32_e32 v23, v3
	v_cmp_ne_u64_e32 vcc, s[62:63], v[22:23]
                                        ; implicit-def: $vgpr17
	s_and_saveexec_b64 s[40:41], vcc
	s_xor_b64 s[36:37], exec, s[40:41]
	s_cbranch_execz .LBB4_4488
; %bb.4475:                             ;   in Loop: Header=BB4_4196 Depth=4
	v_and_b32_e32 v22, 0x7fffffff, v8
	v_mov_b32_e32 v23, v3
	v_cmp_gt_u64_e32 vcc, s[72:73], v[22:23]
	v_and_b32_sdwa v25, v8, s70 dst_sel:DWORD dst_unused:UNUSED_PAD src0_sel:BYTE_3 src1_sel:DWORD
                                        ; implicit-def: $vgpr17
	s_and_saveexec_b64 s[40:41], vcc
	s_xor_b64 s[38:39], exec, s[40:41]
	s_cbranch_execz .LBB4_4485
; %bb.4476:                             ;   in Loop: Header=BB4_4196 Depth=4
	v_mov_b32_e32 v17, 0
	v_cmp_ne_u32_e32 vcc, 0, v8
	s_and_saveexec_b64 s[48:49], vcc
	s_cbranch_execz .LBB4_4484
; %bb.4477:                             ;   in Loop: Header=BB4_4196 Depth=4
	v_bfe_u32 v17, v8, 23, 8
	v_and_b32_e32 v9, 0x7fffff, v8
	v_cmp_gt_u32_e64 s[40:41], s71, v17
	v_sub_u32_e32 v8, 0x79, v17
	v_cmp_eq_u32_e32 vcc, 0, v17
	v_cndmask_b32_e64 v8, 0, v8, s[40:41]
	v_mov_b32_e32 v23, 0x78
	v_or_b32_e32 v22, 0x800000, v9
	v_cndmask_b32_e32 v28, v8, v23, vcc
	v_cndmask_b32_e32 v8, v22, v9, vcc
	v_add_u32_e32 v22, 20, v28
	v_lshlrev_b64 v[22:23], v22, -1
	v_mov_b32_e32 v9, v3
	v_add_u32_e32 v30, 19, v28
	v_bfi_b32 v22, v22, 0, v8
	v_lshlrev_b64 v[32:33], v30, 1
	v_lshrrev_b64 v[8:9], v28, v[8:9]
	v_bfi_b32 v23, v23, 0, 0
	v_cmp_eq_u64_e64 s[40:41], v[22:23], v[32:33]
	v_mov_b32_e32 v47, v9
	v_mov_b32_e32 v46, v8
	s_and_saveexec_b64 s[50:51], s[40:41]
; %bb.4478:                             ;   in Loop: Header=BB4_4196 Depth=4
	v_bfe_u32 v9, v8, 20, 1
	v_add_co_u32_e64 v9, s[40:41], v8, v9
	v_add_co_u32_e64 v46, s[40:41], -1, v9
; %bb.4479:                             ;   in Loop: Header=BB4_4196 Depth=4
	s_or_b64 exec, exec, s[50:51]
	v_add_u32_e32 v9, 0xffffff81, v17
	v_mov_b32_e32 v17, 0xffffff82
	v_cndmask_b32_e32 v9, v9, v17, vcc
	v_lshrrev_b32_e32 v17, 23, v8
	v_add3_u32 v30, v28, v9, v17
	v_add_u32_e32 v28, 6, v30
	v_and_b32_e32 v9, 0xfffff, v46
	v_add_u32_e32 v8, v9, v8
	v_mov_b32_e32 v9, v3
	v_cmp_ne_u32_e32 vcc, 0, v28
                                        ; implicit-def: $vgpr17
	s_and_saveexec_b64 s[40:41], vcc
	s_xor_b64 s[40:41], exec, s[40:41]
; %bb.4480:                             ;   in Loop: Header=BB4_4196 Depth=4
	v_cmp_lt_u64_e32 vcc, s[74:75], v[8:9]
	v_add_u32_e32 v17, 7, v30
	v_cndmask_b32_e64 v22, 0, 1, vcc
	v_cndmask_b32_e32 v17, v28, v17, vcc
	v_lshrrev_b64 v[8:9], v22, v[8:9]
; %bb.4481:                             ;   in Loop: Header=BB4_4196 Depth=4
	s_andn2_saveexec_b64 s[40:41], s[40:41]
; %bb.4482:                             ;   in Loop: Header=BB4_4196 Depth=4
	v_bfe_u32 v17, v8, 23, 1
; %bb.4483:                             ;   in Loop: Header=BB4_4196 Depth=4
	s_or_b64 exec, exec, s[40:41]
	v_lshrrev_b64 v[8:9], 20, v[8:9]
	v_cmp_gt_i32_e32 vcc, 16, v17
	v_cndmask_b32_e32 v9, 0, v9, vcc
	v_cndmask_b32_e32 v8, 7, v8, vcc
	v_cmp_eq_u64_e64 s[40:41], 0, v[8:9]
	v_min_i32_e32 v9, 15, v17
	v_lshlrev_b32_e32 v9, 3, v9
	v_cmp_eq_u32_e32 vcc, 0, v17
	v_and_b32_e32 v9, 0xf8, v9
	v_and_or_b32 v8, v8, 7, v9
	s_and_b64 s[40:41], vcc, s[40:41]
	v_cndmask_b32_e64 v8, v8, 0, s[40:41]
	v_or_b32_e32 v17, v8, v25
.LBB4_4484:                             ;   in Loop: Header=BB4_4196 Depth=4
	s_or_b64 exec, exec, s[48:49]
                                        ; implicit-def: $vgpr25
.LBB4_4485:                             ;   in Loop: Header=BB4_4196 Depth=4
	s_andn2_saveexec_b64 s[40:41], s[38:39]
; %bb.4486:                             ;   in Loop: Header=BB4_4196 Depth=4
	v_or_b32_e32 v17, 0x7e, v25
; %bb.4487:                             ;   in Loop: Header=BB4_4196 Depth=4
	s_or_b64 exec, exec, s[40:41]
                                        ; implicit-def: $vgpr8
.LBB4_4488:                             ;   in Loop: Header=BB4_4196 Depth=4
	s_andn2_saveexec_b64 s[40:41], s[36:37]
; %bb.4489:                             ;   in Loop: Header=BB4_4196 Depth=4
	v_or_b32_sdwa v17, v8, s68 dst_sel:DWORD dst_unused:UNUSED_PAD src0_sel:BYTE_3 src1_sel:DWORD
; %bb.4490:                             ;   in Loop: Header=BB4_4196 Depth=4
	s_or_b64 exec, exec, s[40:41]
	v_lshrrev_b16_e32 v8, 8, v2
	v_cmp_ne_u16_e32 vcc, 0, v8
	v_mov_b32_e32 v9, 0
	s_and_saveexec_b64 s[40:41], vcc
	s_cbranch_execz .LBB4_4496
; %bb.4491:                             ;   in Loop: Header=BB4_4196 Depth=4
	v_cmp_ne_u16_e32 vcc, s70, v8
	v_bfrev_b32_e32 v9, 1
	s_and_saveexec_b64 s[36:37], vcc
	s_cbranch_execz .LBB4_4495
; %bb.4492:                             ;   in Loop: Header=BB4_4196 Depth=4
	v_and_b32_e32 v25, 0x7f, v8
	v_cmp_ne_u32_e32 vcc, s68, v25
	v_mov_b32_e32 v9, 0x7f800001
	s_and_saveexec_b64 s[38:39], vcc
	s_cbranch_execz .LBB4_4494
; %bb.4493:                             ;   in Loop: Header=BB4_4196 Depth=4
	v_and_b32_e32 v22, 7, v8
	v_ffbh_u32_e32 v9, v22
	v_lshrrev_b32_e32 v23, 3, v25
	v_cmp_gt_u32_e32 vcc, 8, v25
	v_min_u32_e32 v25, 32, v9
	v_subrev_u32_e32 v9, 28, v25
	v_lshlrev_b64 v[8:9], v9, v[8:9]
	v_sub_u32_e32 v9, 29, v25
	v_and_b32_e32 v8, 7, v8
	v_cndmask_b32_e32 v9, v23, v9, vcc
	v_cndmask_b32_e32 v8, v22, v8, vcc
	v_lshlrev_b32_e32 v2, 16, v2
	v_lshlrev_b32_e32 v8, 20, v8
	v_and_b32_e32 v2, 0x80000000, v2
	v_lshl_add_u32 v9, v9, 23, v5
	v_or3_b32 v9, v2, v9, v8
.LBB4_4494:                             ;   in Loop: Header=BB4_4196 Depth=4
	s_or_b64 exec, exec, s[38:39]
.LBB4_4495:                             ;   in Loop: Header=BB4_4196 Depth=4
	s_or_b64 exec, exec, s[36:37]
.LBB4_4496:                             ;   in Loop: Header=BB4_4196 Depth=4
	s_or_b64 exec, exec, s[40:41]
	v_mul_f32_e32 v8, v21, v9
	v_and_b32_e32 v2, 0x7f800000, v8
	v_cmp_ne_u64_e32 vcc, s[62:63], v[2:3]
                                        ; implicit-def: $vgpr25
	s_and_saveexec_b64 s[40:41], vcc
	s_xor_b64 s[36:37], exec, s[40:41]
	s_cbranch_execz .LBB4_4510
; %bb.4497:                             ;   in Loop: Header=BB4_4196 Depth=4
	v_and_b32_e32 v2, 0x7fffffff, v8
	v_cmp_gt_u64_e32 vcc, s[72:73], v[2:3]
	v_and_b32_sdwa v28, v8, s70 dst_sel:DWORD dst_unused:UNUSED_PAD src0_sel:BYTE_3 src1_sel:DWORD
                                        ; implicit-def: $vgpr25
	s_and_saveexec_b64 s[40:41], vcc
	s_xor_b64 s[38:39], exec, s[40:41]
	s_cbranch_execz .LBB4_4507
; %bb.4498:                             ;   in Loop: Header=BB4_4196 Depth=4
	v_mov_b32_e32 v25, 0
	v_cmp_ne_u32_e32 vcc, 0, v8
	s_and_saveexec_b64 s[48:49], vcc
	s_cbranch_execz .LBB4_4506
; %bb.4499:                             ;   in Loop: Header=BB4_4196 Depth=4
	v_bfe_u32 v25, v8, 23, 8
	v_and_b32_e32 v2, 0x7fffff, v8
	v_cmp_gt_u32_e64 s[40:41], s71, v25
	v_sub_u32_e32 v8, 0x79, v25
	v_cmp_eq_u32_e32 vcc, 0, v25
	v_cndmask_b32_e64 v8, 0, v8, s[40:41]
	v_mov_b32_e32 v22, 0x78
	v_cndmask_b32_e32 v30, v8, v22, vcc
	v_or_b32_e32 v9, 0x800000, v2
	v_add_u32_e32 v8, 20, v30
	v_cndmask_b32_e32 v2, v9, v2, vcc
	v_lshlrev_b64 v[8:9], v8, -1
	v_add_u32_e32 v22, 19, v30
	v_lshlrev_b64 v[22:23], v22, 1
	v_bfi_b32 v9, v9, 0, 0
	v_bfi_b32 v8, v8, 0, v2
	v_cmp_eq_u64_e64 s[40:41], v[8:9], v[22:23]
	v_lshrrev_b64 v[8:9], v30, v[2:3]
	v_mov_b32_e32 v47, v9
	v_mov_b32_e32 v46, v8
	s_and_saveexec_b64 s[50:51], s[40:41]
; %bb.4500:                             ;   in Loop: Header=BB4_4196 Depth=4
	v_bfe_u32 v2, v8, 20, 1
	v_add_co_u32_e64 v2, s[40:41], v8, v2
	v_add_co_u32_e64 v46, s[40:41], -1, v2
; %bb.4501:                             ;   in Loop: Header=BB4_4196 Depth=4
	s_or_b64 exec, exec, s[50:51]
	v_add_u32_e32 v2, 0xffffff81, v25
	v_mov_b32_e32 v9, 0xffffff82
	v_cndmask_b32_e32 v2, v2, v9, vcc
	v_lshrrev_b32_e32 v9, 23, v8
	v_add3_u32 v34, v30, v2, v9
	v_add_u32_e32 v30, 6, v34
	v_and_b32_e32 v2, 0xfffff, v46
	v_add_u32_e32 v2, v2, v8
	v_cmp_ne_u32_e32 vcc, 0, v30
                                        ; implicit-def: $vgpr8_vgpr9
                                        ; implicit-def: $vgpr25
	s_and_saveexec_b64 s[40:41], vcc
	s_xor_b64 s[40:41], exec, s[40:41]
; %bb.4502:                             ;   in Loop: Header=BB4_4196 Depth=4
	v_cmp_lt_u64_e32 vcc, s[74:75], v[2:3]
	v_add_u32_e32 v8, 7, v34
	v_cndmask_b32_e32 v25, v30, v8, vcc
	v_cndmask_b32_e64 v8, 0, 1, vcc
	v_lshrrev_b64 v[8:9], v8, v[2:3]
; %bb.4503:                             ;   in Loop: Header=BB4_4196 Depth=4
	s_andn2_saveexec_b64 s[40:41], s[40:41]
; %bb.4504:                             ;   in Loop: Header=BB4_4196 Depth=4
	v_mov_b32_e32 v9, v3
	v_bfe_u32 v25, v2, 23, 1
	v_mov_b32_e32 v8, v2
; %bb.4505:                             ;   in Loop: Header=BB4_4196 Depth=4
	s_or_b64 exec, exec, s[40:41]
	v_lshrrev_b64 v[8:9], 20, v[8:9]
	v_cmp_gt_i32_e32 vcc, 16, v25
	v_cndmask_b32_e32 v9, 0, v9, vcc
	v_cndmask_b32_e32 v8, 7, v8, vcc
	v_min_i32_e32 v2, 15, v25
	v_cmp_eq_u64_e64 s[40:41], 0, v[8:9]
	v_lshlrev_b32_e32 v2, 3, v2
	v_cmp_eq_u32_e32 vcc, 0, v25
	v_and_b32_e32 v2, 0xf8, v2
	v_and_or_b32 v2, v8, 7, v2
	s_and_b64 s[40:41], vcc, s[40:41]
	v_cndmask_b32_e64 v2, v2, 0, s[40:41]
	v_or_b32_e32 v25, v2, v28
.LBB4_4506:                             ;   in Loop: Header=BB4_4196 Depth=4
	s_or_b64 exec, exec, s[48:49]
                                        ; implicit-def: $vgpr28
.LBB4_4507:                             ;   in Loop: Header=BB4_4196 Depth=4
	s_andn2_saveexec_b64 s[40:41], s[38:39]
; %bb.4508:                             ;   in Loop: Header=BB4_4196 Depth=4
	v_or_b32_e32 v25, 0x7e, v28
; %bb.4509:                             ;   in Loop: Header=BB4_4196 Depth=4
	s_or_b64 exec, exec, s[40:41]
                                        ; implicit-def: $vgpr8
.LBB4_4510:                             ;   in Loop: Header=BB4_4196 Depth=4
	s_andn2_saveexec_b64 s[40:41], s[36:37]
; %bb.4511:                             ;   in Loop: Header=BB4_4196 Depth=4
	v_or_b32_sdwa v25, v8, s68 dst_sel:DWORD dst_unused:UNUSED_PAD src0_sel:BYTE_3 src1_sel:DWORD
; %bb.4512:                             ;   in Loop: Header=BB4_4196 Depth=4
	s_or_b64 exec, exec, s[40:41]
	v_lshrrev_b32_e32 v2, 16, v11
	v_cmp_ne_u16_sdwa vcc, v2, v3 src0_sel:BYTE_0 src1_sel:DWORD
	v_mov_b32_e32 v8, 0
	s_and_saveexec_b64 s[40:41], vcc
	s_cbranch_execz .LBB4_4518
; %bb.4513:                             ;   in Loop: Header=BB4_4196 Depth=4
	v_cmp_ne_u16_sdwa vcc, v2, s70 src0_sel:BYTE_0 src1_sel:DWORD
	v_bfrev_b32_e32 v8, 1
	s_and_saveexec_b64 s[36:37], vcc
	s_cbranch_execz .LBB4_4517
; %bb.4514:                             ;   in Loop: Header=BB4_4196 Depth=4
	v_bfe_u32 v9, v11, 16, 7
	v_cmp_ne_u32_e32 vcc, s68, v9
	v_mov_b32_e32 v8, 0x7f800001
	s_and_saveexec_b64 s[38:39], vcc
	s_cbranch_execz .LBB4_4516
; %bb.4515:                             ;   in Loop: Header=BB4_4196 Depth=4
	v_and_b32_e32 v22, 7, v2
	v_ffbh_u32_e32 v8, v22
	v_min_u32_e32 v28, 32, v8
	v_subrev_u32_e32 v8, 28, v28
	v_lshrrev_b32_e32 v23, 3, v9
	v_cmp_gt_u32_e32 vcc, 8, v9
	v_lshlrev_b64 v[8:9], v8, v[2:3]
	v_sub_u32_e32 v9, 29, v28
	v_and_b32_e32 v8, 7, v8
	v_cndmask_b32_e32 v9, v23, v9, vcc
	v_cndmask_b32_e32 v8, v22, v8, vcc
	v_lshlrev_b32_e32 v2, 24, v2
	v_lshlrev_b32_e32 v8, 20, v8
	v_and_b32_e32 v2, 0x80000000, v2
	v_lshl_add_u32 v9, v9, 23, v5
	v_or3_b32 v8, v2, v9, v8
.LBB4_4516:                             ;   in Loop: Header=BB4_4196 Depth=4
	s_or_b64 exec, exec, s[38:39]
.LBB4_4517:                             ;   in Loop: Header=BB4_4196 Depth=4
	s_or_b64 exec, exec, s[36:37]
.LBB4_4518:                             ;   in Loop: Header=BB4_4196 Depth=4
	s_or_b64 exec, exec, s[40:41]
	v_mul_f32_e32 v8, v21, v8
	v_and_b32_e32 v2, 0x7f800000, v8
	v_cmp_ne_u64_e32 vcc, s[62:63], v[2:3]
                                        ; implicit-def: $vgpr28
	s_and_saveexec_b64 s[40:41], vcc
	s_xor_b64 s[36:37], exec, s[40:41]
	s_cbranch_execz .LBB4_4532
; %bb.4519:                             ;   in Loop: Header=BB4_4196 Depth=4
	v_and_b32_e32 v2, 0x7fffffff, v8
	v_cmp_gt_u64_e32 vcc, s[72:73], v[2:3]
	v_and_b32_sdwa v30, v8, s70 dst_sel:DWORD dst_unused:UNUSED_PAD src0_sel:BYTE_3 src1_sel:DWORD
                                        ; implicit-def: $vgpr28
	s_and_saveexec_b64 s[40:41], vcc
	s_xor_b64 s[38:39], exec, s[40:41]
	s_cbranch_execz .LBB4_4529
; %bb.4520:                             ;   in Loop: Header=BB4_4196 Depth=4
	v_mov_b32_e32 v28, 0
	v_cmp_ne_u32_e32 vcc, 0, v8
	s_and_saveexec_b64 s[48:49], vcc
	s_cbranch_execz .LBB4_4528
; %bb.4521:                             ;   in Loop: Header=BB4_4196 Depth=4
	v_bfe_u32 v28, v8, 23, 8
	v_and_b32_e32 v2, 0x7fffff, v8
	v_cmp_gt_u32_e64 s[40:41], s71, v28
	v_sub_u32_e32 v8, 0x79, v28
	v_cmp_eq_u32_e32 vcc, 0, v28
	v_cndmask_b32_e64 v8, 0, v8, s[40:41]
	v_mov_b32_e32 v22, 0x78
	v_cndmask_b32_e32 v34, v8, v22, vcc
	v_or_b32_e32 v9, 0x800000, v2
	v_add_u32_e32 v8, 20, v34
	v_cndmask_b32_e32 v2, v9, v2, vcc
	v_lshlrev_b64 v[8:9], v8, -1
	v_add_u32_e32 v22, 19, v34
	v_lshlrev_b64 v[22:23], v22, 1
	v_bfi_b32 v9, v9, 0, 0
	v_bfi_b32 v8, v8, 0, v2
	v_cmp_eq_u64_e64 s[40:41], v[8:9], v[22:23]
	v_lshrrev_b64 v[8:9], v34, v[2:3]
	v_mov_b32_e32 v47, v9
	v_mov_b32_e32 v46, v8
	s_and_saveexec_b64 s[50:51], s[40:41]
; %bb.4522:                             ;   in Loop: Header=BB4_4196 Depth=4
	v_bfe_u32 v2, v8, 20, 1
	v_add_co_u32_e64 v2, s[40:41], v8, v2
	v_add_co_u32_e64 v46, s[40:41], -1, v2
; %bb.4523:                             ;   in Loop: Header=BB4_4196 Depth=4
	s_or_b64 exec, exec, s[50:51]
	v_add_u32_e32 v2, 0xffffff81, v28
	v_mov_b32_e32 v9, 0xffffff82
	v_cndmask_b32_e32 v2, v2, v9, vcc
	v_lshrrev_b32_e32 v9, 23, v8
	v_add3_u32 v50, v34, v2, v9
	v_add_u32_e32 v34, 6, v50
	v_and_b32_e32 v2, 0xfffff, v46
	v_add_u32_e32 v2, v2, v8
	v_cmp_ne_u32_e32 vcc, 0, v34
                                        ; implicit-def: $vgpr8_vgpr9
                                        ; implicit-def: $vgpr28
	s_and_saveexec_b64 s[40:41], vcc
	s_xor_b64 s[40:41], exec, s[40:41]
; %bb.4524:                             ;   in Loop: Header=BB4_4196 Depth=4
	v_cmp_lt_u64_e32 vcc, s[74:75], v[2:3]
	v_add_u32_e32 v8, 7, v50
	v_cndmask_b32_e32 v28, v34, v8, vcc
	v_cndmask_b32_e64 v8, 0, 1, vcc
	v_lshrrev_b64 v[8:9], v8, v[2:3]
; %bb.4525:                             ;   in Loop: Header=BB4_4196 Depth=4
	s_andn2_saveexec_b64 s[40:41], s[40:41]
; %bb.4526:                             ;   in Loop: Header=BB4_4196 Depth=4
	v_mov_b32_e32 v9, v3
	v_bfe_u32 v28, v2, 23, 1
	v_mov_b32_e32 v8, v2
; %bb.4527:                             ;   in Loop: Header=BB4_4196 Depth=4
	s_or_b64 exec, exec, s[40:41]
	v_lshrrev_b64 v[8:9], 20, v[8:9]
	v_cmp_gt_i32_e32 vcc, 16, v28
	v_cndmask_b32_e32 v9, 0, v9, vcc
	v_cndmask_b32_e32 v8, 7, v8, vcc
	v_min_i32_e32 v2, 15, v28
	v_cmp_eq_u64_e64 s[40:41], 0, v[8:9]
	v_lshlrev_b32_e32 v2, 3, v2
	v_cmp_eq_u32_e32 vcc, 0, v28
	v_and_b32_e32 v2, 0xf8, v2
	v_and_or_b32 v2, v8, 7, v2
	s_and_b64 s[40:41], vcc, s[40:41]
	v_cndmask_b32_e64 v2, v2, 0, s[40:41]
	v_or_b32_e32 v28, v2, v30
.LBB4_4528:                             ;   in Loop: Header=BB4_4196 Depth=4
	s_or_b64 exec, exec, s[48:49]
                                        ; implicit-def: $vgpr30
.LBB4_4529:                             ;   in Loop: Header=BB4_4196 Depth=4
	s_andn2_saveexec_b64 s[40:41], s[38:39]
; %bb.4530:                             ;   in Loop: Header=BB4_4196 Depth=4
	v_or_b32_e32 v28, 0x7e, v30
; %bb.4531:                             ;   in Loop: Header=BB4_4196 Depth=4
	s_or_b64 exec, exec, s[40:41]
                                        ; implicit-def: $vgpr8
.LBB4_4532:                             ;   in Loop: Header=BB4_4196 Depth=4
	s_andn2_saveexec_b64 s[40:41], s[36:37]
; %bb.4533:                             ;   in Loop: Header=BB4_4196 Depth=4
	v_or_b32_sdwa v28, v8, s68 dst_sel:DWORD dst_unused:UNUSED_PAD src0_sel:BYTE_3 src1_sel:DWORD
; %bb.4534:                             ;   in Loop: Header=BB4_4196 Depth=4
	s_or_b64 exec, exec, s[40:41]
	v_cmp_lt_u64_e32 vcc, s[56:57], v[10:11]
	v_mov_b32_e32 v8, 0
	s_and_saveexec_b64 s[40:41], vcc
	s_cbranch_execz .LBB4_4540
; %bb.4535:                             ;   in Loop: Header=BB4_4196 Depth=4
	v_lshrrev_b32_e32 v2, 24, v11
	v_cmp_ne_u32_e32 vcc, s70, v2
	v_bfrev_b32_e32 v8, 1
	s_and_saveexec_b64 s[36:37], vcc
	s_cbranch_execz .LBB4_4539
; %bb.4536:                             ;   in Loop: Header=BB4_4196 Depth=4
	v_bfe_u32 v9, v11, 24, 7
	v_cmp_ne_u32_e32 vcc, s68, v9
	v_mov_b32_e32 v8, 0x7f800001
	s_and_saveexec_b64 s[38:39], vcc
	s_cbranch_execz .LBB4_4538
; %bb.4537:                             ;   in Loop: Header=BB4_4196 Depth=4
	v_and_b32_e32 v10, 7, v2
	v_ffbh_u32_e32 v8, v10
	v_min_u32_e32 v22, 32, v8
	v_subrev_u32_e32 v8, 28, v22
	v_lshrrev_b32_e32 v11, 3, v9
	v_cmp_gt_u32_e32 vcc, 8, v9
	v_lshlrev_b64 v[8:9], v8, v[2:3]
	v_sub_u32_e32 v9, 29, v22
	v_and_b32_e32 v8, 7, v8
	v_cndmask_b32_e32 v9, v11, v9, vcc
	v_cndmask_b32_e32 v8, v10, v8, vcc
	v_lshlrev_b32_e32 v2, 24, v2
	v_lshlrev_b32_e32 v8, 20, v8
	v_and_b32_e32 v2, 0x80000000, v2
	v_lshl_add_u32 v9, v9, 23, v5
	v_or3_b32 v8, v2, v9, v8
.LBB4_4538:                             ;   in Loop: Header=BB4_4196 Depth=4
	s_or_b64 exec, exec, s[38:39]
.LBB4_4539:                             ;   in Loop: Header=BB4_4196 Depth=4
	s_or_b64 exec, exec, s[36:37]
.LBB4_4540:                             ;   in Loop: Header=BB4_4196 Depth=4
	s_or_b64 exec, exec, s[40:41]
	v_mul_f32_e32 v8, v21, v8
	v_and_b32_e32 v2, 0x7f800000, v8
	v_cmp_ne_u64_e32 vcc, s[62:63], v[2:3]
                                        ; implicit-def: $vgpr34
	s_and_saveexec_b64 s[40:41], vcc
	s_xor_b64 s[36:37], exec, s[40:41]
	s_cbranch_execz .LBB4_4554
; %bb.4541:                             ;   in Loop: Header=BB4_4196 Depth=4
	v_and_b32_e32 v2, 0x7fffffff, v8
	v_cmp_gt_u64_e32 vcc, s[72:73], v[2:3]
	v_and_b32_sdwa v11, v8, s70 dst_sel:DWORD dst_unused:UNUSED_PAD src0_sel:BYTE_3 src1_sel:DWORD
                                        ; implicit-def: $vgpr34
	s_and_saveexec_b64 s[40:41], vcc
	s_xor_b64 s[38:39], exec, s[40:41]
	s_cbranch_execz .LBB4_4551
; %bb.4542:                             ;   in Loop: Header=BB4_4196 Depth=4
	v_mov_b32_e32 v34, 0
	v_cmp_ne_u32_e32 vcc, 0, v8
	s_and_saveexec_b64 s[48:49], vcc
	s_cbranch_execz .LBB4_4550
; %bb.4543:                             ;   in Loop: Header=BB4_4196 Depth=4
	v_bfe_u32 v21, v8, 23, 8
	v_and_b32_e32 v2, 0x7fffff, v8
	v_cmp_gt_u32_e64 s[40:41], s71, v21
	v_sub_u32_e32 v8, 0x79, v21
	v_cmp_eq_u32_e32 vcc, 0, v21
	v_cndmask_b32_e64 v8, 0, v8, s[40:41]
	v_mov_b32_e32 v10, 0x78
	v_cndmask_b32_e32 v30, v8, v10, vcc
	v_or_b32_e32 v9, 0x800000, v2
	v_add_u32_e32 v8, 20, v30
	v_cndmask_b32_e32 v2, v9, v2, vcc
	v_lshlrev_b64 v[8:9], v8, -1
	v_add_u32_e32 v10, 19, v30
	v_lshlrev_b64 v[22:23], v10, 1
	v_bfi_b32 v9, v9, 0, 0
	v_bfi_b32 v8, v8, 0, v2
	v_cmp_eq_u64_e64 s[40:41], v[8:9], v[22:23]
	v_lshrrev_b64 v[8:9], v30, v[2:3]
	v_mov_b32_e32 v10, v9
	v_mov_b32_e32 v9, v8
	s_and_saveexec_b64 s[50:51], s[40:41]
; %bb.4544:                             ;   in Loop: Header=BB4_4196 Depth=4
	v_bfe_u32 v2, v8, 20, 1
	v_add_co_u32_e64 v2, s[40:41], v8, v2
	v_add_co_u32_e64 v9, s[40:41], -1, v2
; %bb.4545:                             ;   in Loop: Header=BB4_4196 Depth=4
	s_or_b64 exec, exec, s[50:51]
	v_add_u32_e32 v2, 0xffffff81, v21
	v_mov_b32_e32 v10, 0xffffff82
	v_cndmask_b32_e32 v2, v2, v10, vcc
	v_lshrrev_b32_e32 v10, 23, v8
	v_add3_u32 v30, v30, v2, v10
	v_add_u32_e32 v21, 6, v30
	v_and_b32_e32 v2, 0xfffff, v9
	v_add_u32_e32 v2, v2, v8
	v_cmp_ne_u32_e32 vcc, 0, v21
                                        ; implicit-def: $vgpr8_vgpr9
                                        ; implicit-def: $vgpr10
	s_and_saveexec_b64 s[40:41], vcc
	s_xor_b64 s[40:41], exec, s[40:41]
; %bb.4546:                             ;   in Loop: Header=BB4_4196 Depth=4
	v_cmp_lt_u64_e32 vcc, s[74:75], v[2:3]
	v_add_u32_e32 v8, 7, v30
	v_cndmask_b32_e32 v10, v21, v8, vcc
	v_cndmask_b32_e64 v8, 0, 1, vcc
	v_lshrrev_b64 v[8:9], v8, v[2:3]
; %bb.4547:                             ;   in Loop: Header=BB4_4196 Depth=4
	s_andn2_saveexec_b64 s[40:41], s[40:41]
; %bb.4548:                             ;   in Loop: Header=BB4_4196 Depth=4
	v_mov_b32_e32 v9, v3
	v_bfe_u32 v10, v2, 23, 1
	v_mov_b32_e32 v8, v2
; %bb.4549:                             ;   in Loop: Header=BB4_4196 Depth=4
	s_or_b64 exec, exec, s[40:41]
	v_lshrrev_b64 v[8:9], 20, v[8:9]
	v_cmp_gt_i32_e32 vcc, 16, v10
	v_cndmask_b32_e32 v9, 0, v9, vcc
	v_cndmask_b32_e32 v8, 7, v8, vcc
	v_min_i32_e32 v2, 15, v10
	v_cmp_eq_u64_e64 s[40:41], 0, v[8:9]
	v_lshlrev_b32_e32 v2, 3, v2
	v_cmp_eq_u32_e32 vcc, 0, v10
	v_and_b32_e32 v2, 0xf8, v2
	v_and_or_b32 v2, v8, 7, v2
	s_and_b64 s[40:41], vcc, s[40:41]
	v_cndmask_b32_e64 v2, v2, 0, s[40:41]
	v_or_b32_e32 v34, v2, v11
.LBB4_4550:                             ;   in Loop: Header=BB4_4196 Depth=4
	s_or_b64 exec, exec, s[48:49]
                                        ; implicit-def: $vgpr11
.LBB4_4551:                             ;   in Loop: Header=BB4_4196 Depth=4
	s_andn2_saveexec_b64 s[40:41], s[38:39]
; %bb.4552:                             ;   in Loop: Header=BB4_4196 Depth=4
	v_or_b32_e32 v34, 0x7e, v11
; %bb.4553:                             ;   in Loop: Header=BB4_4196 Depth=4
	s_or_b64 exec, exec, s[40:41]
                                        ; implicit-def: $vgpr8
.LBB4_4554:                             ;   in Loop: Header=BB4_4196 Depth=4
	s_andn2_saveexec_b64 s[40:41], s[36:37]
; %bb.4555:                             ;   in Loop: Header=BB4_4196 Depth=4
	v_or_b32_sdwa v34, v8, s68 dst_sel:DWORD dst_unused:UNUSED_PAD src0_sel:BYTE_3 src1_sel:DWORD
; %bb.4556:                             ;   in Loop: Header=BB4_4196 Depth=4
	s_or_b64 exec, exec, s[40:41]
	v_lshl_or_b32 v21, v27, 8, v4
	v_lshlrev_b32_e32 v2, 16, v35
	v_lshlrev_b32_e32 v8, 24, v49
	v_or3_b32 v2, v2, v8, v21
	global_load_dwordx4 v[8:11], v[14:15], off glc slc
	v_cmp_ne_u32_e32 vcc, 0, v4
	v_mov_b32_e32 v27, 0
	s_and_saveexec_b64 s[40:41], vcc
	s_cbranch_execz .LBB4_4562
; %bb.4557:                             ;   in Loop: Header=BB4_4196 Depth=4
	v_cmp_ne_u32_e32 vcc, s70, v4
	v_bfrev_b32_e32 v27, 1
	s_and_saveexec_b64 s[36:37], vcc
	s_cbranch_execz .LBB4_4561
; %bb.4558:                             ;   in Loop: Header=BB4_4196 Depth=4
	v_and_b32_e32 v30, 0x7f, v4
	v_cmp_ne_u32_e32 vcc, s68, v30
	v_mov_b32_e32 v27, 0x7f800001
	s_and_saveexec_b64 s[38:39], vcc
	s_cbranch_execz .LBB4_4560
; %bb.4559:                             ;   in Loop: Header=BB4_4196 Depth=4
	v_and_b32_e32 v4, 7, v4
	v_ffbh_u32_e32 v4, v4
	v_min_u32_e32 v4, 32, v4
	v_lshrrev_b32_e32 v22, 3, v30
	v_cmp_gt_u32_e32 vcc, 8, v30
	v_subrev_u32_e32 v23, 28, v4
	v_sub_u32_e32 v4, 29, v4
	v_cndmask_b32_e32 v4, v22, v4, vcc
	v_cndmask_b32_e32 v22, 0, v23, vcc
	v_lshlrev_b64 v[22:23], v22, v[2:3]
	v_lshlrev_b32_e32 v23, 24, v2
	v_lshlrev_b32_e32 v22, 20, v22
	v_and_b32_e32 v22, 0x700000, v22
	v_and_b32_e32 v23, 0x80000000, v23
	v_lshl_add_u32 v4, v4, 23, v5
	v_or3_b32 v27, v23, v4, v22
.LBB4_4560:                             ;   in Loop: Header=BB4_4196 Depth=4
	s_or_b64 exec, exec, s[38:39]
.LBB4_4561:                             ;   in Loop: Header=BB4_4196 Depth=4
	s_or_b64 exec, exec, s[36:37]
.LBB4_4562:                             ;   in Loop: Header=BB4_4196 Depth=4
	s_or_b64 exec, exec, s[40:41]
	s_waitcnt vmcnt(0)
	v_cmp_gt_i16_sdwa vcc, v8, s68 src0_sel:BYTE_0 src1_sel:DWORD
	s_mov_b64 s[40:41], 0
	s_and_saveexec_b64 s[36:37], vcc
	s_xor_b64 vcc, exec, s[36:37]
	s_cbranch_execz .LBB4_4984
; %bb.4563:                             ;   in Loop: Header=BB4_4196 Depth=4
	v_cmp_eq_u16_sdwa s[38:39], v8, s70 src0_sel:BYTE_0 src1_sel:DWORD
	s_mov_b64 s[40:41], -1
	s_and_saveexec_b64 s[36:37], s[38:39]
; %bb.4564:                             ;   in Loop: Header=BB4_4196 Depth=4
	s_xor_b64 s[40:41], exec, -1
; %bb.4565:                             ;   in Loop: Header=BB4_4196 Depth=4
	s_or_b64 exec, exec, s[36:37]
	s_and_b64 s[40:41], s[40:41], exec
	s_or_saveexec_b64 vcc, vcc
	v_bfrev_b32_e32 v4, 1
	s_xor_b64 exec, exec, vcc
	s_cbranch_execnz .LBB4_4985
.LBB4_4566:                             ;   in Loop: Header=BB4_4196 Depth=4
	s_or_b64 exec, exec, vcc
	s_and_saveexec_b64 s[36:37], s[40:41]
	s_cbranch_execz .LBB4_4568
.LBB4_4567:                             ;   in Loop: Header=BB4_4196 Depth=4
	v_and_b32_e32 v4, 7, v8
	v_ffbh_u32_e32 v4, v4
	v_and_b32_e32 v30, 0x7f, v8
	v_min_u32_e32 v4, 32, v4
	v_bfe_u32 v22, v8, 3, 4
	v_subrev_u32_e32 v23, 28, v4
	v_sub_u32_e32 v4, 29, v4
	v_cmp_gt_u32_e32 vcc, 8, v30
	v_cndmask_b32_e32 v4, v22, v4, vcc
	v_cndmask_b32_e32 v22, 0, v23, vcc
	v_lshlrev_b64 v[22:23], v22, v[8:9]
	v_lshlrev_b32_e32 v23, 24, v8
	v_lshlrev_b32_e32 v22, 20, v22
	v_and_b32_e32 v22, 0x700000, v22
	v_and_b32_e32 v23, 0x80000000, v23
	v_lshl_add_u32 v4, v4, 23, v5
	v_or3_b32 v4, v23, v4, v22
	v_cmp_ne_u32_e32 vcc, s68, v30
	v_mov_b32_e32 v22, 0x7f800001
	v_cndmask_b32_e32 v4, v22, v4, vcc
.LBB4_4568:                             ;   in Loop: Header=BB4_4196 Depth=4
	s_or_b64 exec, exec, s[36:37]
	v_add_f32_e32 v30, v27, v4
	v_and_b32_e32 v22, 0x7f800000, v30
	v_mov_b32_e32 v23, v3
	v_cmp_ne_u64_e32 vcc, s[62:63], v[22:23]
                                        ; implicit-def: $vgpr4
	s_and_saveexec_b64 s[40:41], vcc
	s_xor_b64 s[36:37], exec, s[40:41]
	s_cbranch_execz .LBB4_4582
; %bb.4569:                             ;   in Loop: Header=BB4_4196 Depth=4
	v_and_b32_e32 v22, 0x7fffffff, v30
	v_mov_b32_e32 v23, v3
	v_cmp_gt_u64_e32 vcc, s[72:73], v[22:23]
	v_and_b32_sdwa v27, v30, s70 dst_sel:DWORD dst_unused:UNUSED_PAD src0_sel:BYTE_3 src1_sel:DWORD
                                        ; implicit-def: $vgpr4
	s_and_saveexec_b64 s[40:41], vcc
	s_xor_b64 s[38:39], exec, s[40:41]
	s_cbranch_execz .LBB4_4579
; %bb.4570:                             ;   in Loop: Header=BB4_4196 Depth=4
	v_mov_b32_e32 v4, 0
	v_cmp_ne_u32_e32 vcc, 0, v30
	s_and_saveexec_b64 s[48:49], vcc
	s_cbranch_execz .LBB4_4578
; %bb.4571:                             ;   in Loop: Header=BB4_4196 Depth=4
	v_bfe_u32 v4, v30, 23, 8
	v_cmp_gt_u32_e64 s[40:41], s71, v4
	v_sub_u32_e32 v23, 0x79, v4
	v_and_b32_e32 v22, 0x7fffff, v30
	v_cmp_eq_u32_e32 vcc, 0, v4
	v_cndmask_b32_e64 v23, 0, v23, s[40:41]
	v_mov_b32_e32 v30, 0x78
	v_or_b32_e32 v32, 0x800000, v22
	v_cndmask_b32_e32 v30, v23, v30, vcc
	v_cndmask_b32_e32 v22, v32, v22, vcc
	v_add_u32_e32 v32, 20, v30
	v_mov_b32_e32 v23, v3
	v_lshlrev_b64 v[32:33], v32, -1
	v_add_u32_e32 v35, 19, v30
	v_lshlrev_b64 v[49:50], v35, 1
	v_lshrrev_b64 v[46:47], v30, v[22:23]
	v_bfi_b32 v33, v33, 0, 0
	v_bfi_b32 v32, v32, 0, v22
	v_cmp_eq_u64_e64 s[40:41], v[32:33], v[49:50]
	v_mov_b32_e32 v57, v47
	v_mov_b32_e32 v56, v46
	s_and_saveexec_b64 s[50:51], s[40:41]
; %bb.4572:                             ;   in Loop: Header=BB4_4196 Depth=4
	v_bfe_u32 v22, v46, 20, 1
	v_add_co_u32_e64 v22, s[40:41], v46, v22
	v_add_co_u32_e64 v56, s[40:41], -1, v22
; %bb.4573:                             ;   in Loop: Header=BB4_4196 Depth=4
	s_or_b64 exec, exec, s[50:51]
	v_add_u32_e32 v4, 0xffffff81, v4
	v_mov_b32_e32 v22, 0xffffff82
	v_cndmask_b32_e32 v4, v4, v22, vcc
	v_lshrrev_b32_e32 v22, 23, v46
	v_add3_u32 v35, v30, v4, v22
	v_add_u32_e32 v30, 6, v35
	v_and_b32_e32 v4, 0xfffff, v56
	v_add_u32_e32 v46, v4, v46
	v_mov_b32_e32 v47, v3
	v_cmp_ne_u32_e32 vcc, 0, v30
                                        ; implicit-def: $vgpr4
	s_and_saveexec_b64 s[40:41], vcc
	s_xor_b64 s[40:41], exec, s[40:41]
; %bb.4574:                             ;   in Loop: Header=BB4_4196 Depth=4
	v_cmp_lt_u64_e32 vcc, s[74:75], v[46:47]
	v_add_u32_e32 v4, 7, v35
	v_cndmask_b32_e64 v22, 0, 1, vcc
	v_cndmask_b32_e32 v4, v30, v4, vcc
	v_lshrrev_b64 v[46:47], v22, v[46:47]
; %bb.4575:                             ;   in Loop: Header=BB4_4196 Depth=4
	s_andn2_saveexec_b64 s[40:41], s[40:41]
; %bb.4576:                             ;   in Loop: Header=BB4_4196 Depth=4
	v_bfe_u32 v4, v46, 23, 1
; %bb.4577:                             ;   in Loop: Header=BB4_4196 Depth=4
	s_or_b64 exec, exec, s[40:41]
	v_lshrrev_b64 v[22:23], 20, v[46:47]
	v_cmp_gt_i32_e32 vcc, 16, v4
	v_cndmask_b32_e32 v23, 0, v23, vcc
	v_cndmask_b32_e32 v22, 7, v22, vcc
	v_cmp_eq_u32_e32 vcc, 0, v4
	v_min_i32_e32 v4, 15, v4
	v_cmp_eq_u64_e64 s[40:41], 0, v[22:23]
	v_lshlrev_b32_e32 v4, 3, v4
	v_and_b32_e32 v4, 0xf8, v4
	v_and_or_b32 v4, v22, 7, v4
	s_and_b64 s[40:41], vcc, s[40:41]
	v_cndmask_b32_e64 v4, v4, 0, s[40:41]
	v_or_b32_e32 v4, v4, v27
.LBB4_4578:                             ;   in Loop: Header=BB4_4196 Depth=4
	s_or_b64 exec, exec, s[48:49]
                                        ; implicit-def: $vgpr27
.LBB4_4579:                             ;   in Loop: Header=BB4_4196 Depth=4
	s_andn2_saveexec_b64 s[40:41], s[38:39]
; %bb.4580:                             ;   in Loop: Header=BB4_4196 Depth=4
	v_or_b32_e32 v4, 0x7e, v27
; %bb.4581:                             ;   in Loop: Header=BB4_4196 Depth=4
	s_or_b64 exec, exec, s[40:41]
                                        ; implicit-def: $vgpr30
.LBB4_4582:                             ;   in Loop: Header=BB4_4196 Depth=4
	s_andn2_saveexec_b64 s[40:41], s[36:37]
; %bb.4583:                             ;   in Loop: Header=BB4_4196 Depth=4
	v_or_b32_sdwa v4, v30, s68 dst_sel:DWORD dst_unused:UNUSED_PAD src0_sel:BYTE_3 src1_sel:DWORD
; %bb.4584:                             ;   in Loop: Header=BB4_4196 Depth=4
	s_or_b64 exec, exec, s[40:41]
	v_lshrrev_b16_e32 v30, 8, v21
	v_cmp_ne_u16_e32 vcc, 0, v30
	v_mov_b32_e32 v27, 0
	s_and_saveexec_b64 s[40:41], vcc
	s_cbranch_execz .LBB4_4590
; %bb.4585:                             ;   in Loop: Header=BB4_4196 Depth=4
	v_cmp_ne_u16_e32 vcc, s70, v30
	v_bfrev_b32_e32 v27, 1
	s_and_saveexec_b64 s[36:37], vcc
	s_cbranch_execz .LBB4_4589
; %bb.4586:                             ;   in Loop: Header=BB4_4196 Depth=4
	v_and_b32_e32 v35, 0x7f, v30
	v_cmp_ne_u32_e32 vcc, s68, v35
	v_mov_b32_e32 v27, 0x7f800001
	s_and_saveexec_b64 s[38:39], vcc
	s_cbranch_execz .LBB4_4588
; %bb.4587:                             ;   in Loop: Header=BB4_4196 Depth=4
	v_and_b32_e32 v27, 7, v30
	v_ffbh_u32_e32 v22, v27
	v_min_u32_e32 v33, 32, v22
	v_subrev_u32_e32 v22, 28, v33
	v_lshlrev_b64 v[22:23], v22, v[30:31]
	v_lshrrev_b32_e32 v32, 3, v35
	v_cmp_gt_u32_e32 vcc, 8, v35
	v_sub_u32_e32 v23, 29, v33
	v_and_b32_e32 v22, 7, v22
	v_cndmask_b32_e32 v23, v32, v23, vcc
	v_cndmask_b32_e32 v22, v27, v22, vcc
	v_lshlrev_b32_e32 v21, 16, v21
	v_lshlrev_b32_e32 v22, 20, v22
	v_and_b32_e32 v21, 0x80000000, v21
	v_lshl_add_u32 v23, v23, 23, v5
	v_or3_b32 v27, v21, v23, v22
.LBB4_4588:                             ;   in Loop: Header=BB4_4196 Depth=4
	s_or_b64 exec, exec, s[38:39]
.LBB4_4589:                             ;   in Loop: Header=BB4_4196 Depth=4
	s_or_b64 exec, exec, s[36:37]
.LBB4_4590:                             ;   in Loop: Header=BB4_4196 Depth=4
	s_or_b64 exec, exec, s[40:41]
	v_lshrrev_b16_e32 v46, 8, v8
	v_cmp_lt_i16_e32 vcc, s68, v46
	s_mov_b64 s[40:41], 0
	s_and_saveexec_b64 s[36:37], vcc
	s_xor_b64 s[36:37], exec, s[36:37]
	s_cbranch_execz .LBB4_4986
; %bb.4591:                             ;   in Loop: Header=BB4_4196 Depth=4
	v_cmp_eq_u16_e32 vcc, s70, v46
	s_mov_b64 s[40:41], -1
	s_and_saveexec_b64 s[38:39], vcc
; %bb.4592:                             ;   in Loop: Header=BB4_4196 Depth=4
	s_xor_b64 s[40:41], exec, -1
; %bb.4593:                             ;   in Loop: Header=BB4_4196 Depth=4
	s_or_b64 exec, exec, s[38:39]
	s_and_b64 s[40:41], s[40:41], exec
	s_or_saveexec_b64 s[36:37], s[36:37]
	v_bfrev_b32_e32 v21, 1
	s_xor_b64 exec, exec, s[36:37]
	s_cbranch_execnz .LBB4_4987
.LBB4_4594:                             ;   in Loop: Header=BB4_4196 Depth=4
	s_or_b64 exec, exec, s[36:37]
	s_and_saveexec_b64 s[36:37], s[40:41]
	s_cbranch_execz .LBB4_4596
.LBB4_4595:                             ;   in Loop: Header=BB4_4196 Depth=4
	v_and_b32_e32 v23, 7, v46
	v_ffbh_u32_e32 v21, v23
	v_min_u32_e32 v33, 32, v21
	v_mov_b32_e32 v47, v3
	v_subrev_u32_e32 v21, 28, v33
	v_lshlrev_b64 v[21:22], v21, v[46:47]
	v_and_b32_e32 v30, 0x7f, v46
	v_bfe_u32 v32, v46, 3, 4
	v_sub_u32_e32 v22, 29, v33
	v_and_b32_e32 v21, 7, v21
	v_cmp_gt_u32_e32 vcc, 8, v30
	v_cndmask_b32_e32 v22, v32, v22, vcc
	v_cndmask_b32_e32 v21, v23, v21, vcc
	v_lshlrev_b32_e32 v23, 24, v46
	v_lshlrev_b32_e32 v21, 20, v21
	v_and_b32_e32 v23, 0x80000000, v23
	v_lshl_add_u32 v22, v22, 23, v5
	v_or3_b32 v21, v23, v22, v21
	v_cmp_ne_u32_e32 vcc, s68, v30
	v_mov_b32_e32 v22, 0x7f800001
	v_cndmask_b32_e32 v21, v22, v21, vcc
.LBB4_4596:                             ;   in Loop: Header=BB4_4196 Depth=4
	s_or_b64 exec, exec, s[36:37]
	v_add_f32_e32 v30, v27, v21
	v_and_b32_e32 v21, 0x7f800000, v30
	v_mov_b32_e32 v22, v3
	v_cmp_ne_u64_e32 vcc, s[62:63], v[21:22]
                                        ; implicit-def: $vgpr21
	s_and_saveexec_b64 s[40:41], vcc
	s_xor_b64 s[36:37], exec, s[40:41]
	s_cbranch_execz .LBB4_4610
; %bb.4597:                             ;   in Loop: Header=BB4_4196 Depth=4
	v_and_b32_e32 v21, 0x7fffffff, v30
	v_mov_b32_e32 v22, v3
	v_cmp_gt_u64_e32 vcc, s[72:73], v[21:22]
	v_and_b32_sdwa v27, v30, s70 dst_sel:DWORD dst_unused:UNUSED_PAD src0_sel:BYTE_3 src1_sel:DWORD
                                        ; implicit-def: $vgpr21
	s_and_saveexec_b64 s[40:41], vcc
	s_xor_b64 s[38:39], exec, s[40:41]
	s_cbranch_execz .LBB4_4607
; %bb.4598:                             ;   in Loop: Header=BB4_4196 Depth=4
	v_mov_b32_e32 v21, 0
	v_cmp_ne_u32_e32 vcc, 0, v30
	s_and_saveexec_b64 s[48:49], vcc
	s_cbranch_execz .LBB4_4606
; %bb.4599:                             ;   in Loop: Header=BB4_4196 Depth=4
	v_bfe_u32 v21, v30, 23, 8
	v_cmp_gt_u32_e64 s[40:41], s71, v21
	v_sub_u32_e32 v23, 0x79, v21
	v_and_b32_e32 v22, 0x7fffff, v30
	v_cmp_eq_u32_e32 vcc, 0, v21
	v_cndmask_b32_e64 v23, 0, v23, s[40:41]
	v_mov_b32_e32 v30, 0x78
	v_or_b32_e32 v32, 0x800000, v22
	v_cndmask_b32_e32 v30, v23, v30, vcc
	v_cndmask_b32_e32 v22, v32, v22, vcc
	v_add_u32_e32 v32, 20, v30
	v_mov_b32_e32 v23, v3
	v_lshlrev_b64 v[32:33], v32, -1
	v_add_u32_e32 v35, 19, v30
	v_lshlrev_b64 v[49:50], v35, 1
	v_lshrrev_b64 v[46:47], v30, v[22:23]
	v_bfi_b32 v33, v33, 0, 0
	v_bfi_b32 v32, v32, 0, v22
	v_cmp_eq_u64_e64 s[40:41], v[32:33], v[49:50]
	v_mov_b32_e32 v57, v47
	v_mov_b32_e32 v56, v46
	s_and_saveexec_b64 s[50:51], s[40:41]
; %bb.4600:                             ;   in Loop: Header=BB4_4196 Depth=4
	v_bfe_u32 v22, v46, 20, 1
	v_add_co_u32_e64 v22, s[40:41], v46, v22
	v_add_co_u32_e64 v56, s[40:41], -1, v22
; %bb.4601:                             ;   in Loop: Header=BB4_4196 Depth=4
	s_or_b64 exec, exec, s[50:51]
	v_add_u32_e32 v21, 0xffffff81, v21
	v_mov_b32_e32 v22, 0xffffff82
	v_cndmask_b32_e32 v21, v21, v22, vcc
	v_lshrrev_b32_e32 v22, 23, v46
	v_add3_u32 v35, v30, v21, v22
	v_add_u32_e32 v30, 6, v35
	v_and_b32_e32 v21, 0xfffff, v56
	v_add_u32_e32 v46, v21, v46
	v_mov_b32_e32 v47, v3
	v_cmp_ne_u32_e32 vcc, 0, v30
                                        ; implicit-def: $vgpr21
	s_and_saveexec_b64 s[40:41], vcc
	s_xor_b64 s[40:41], exec, s[40:41]
; %bb.4602:                             ;   in Loop: Header=BB4_4196 Depth=4
	v_cmp_lt_u64_e32 vcc, s[74:75], v[46:47]
	v_add_u32_e32 v21, 7, v35
	v_cndmask_b32_e64 v22, 0, 1, vcc
	v_cndmask_b32_e32 v21, v30, v21, vcc
	v_lshrrev_b64 v[46:47], v22, v[46:47]
; %bb.4603:                             ;   in Loop: Header=BB4_4196 Depth=4
	s_andn2_saveexec_b64 s[40:41], s[40:41]
; %bb.4604:                             ;   in Loop: Header=BB4_4196 Depth=4
	v_bfe_u32 v21, v46, 23, 1
; %bb.4605:                             ;   in Loop: Header=BB4_4196 Depth=4
	s_or_b64 exec, exec, s[40:41]
	v_lshrrev_b64 v[22:23], 20, v[46:47]
	v_cmp_gt_i32_e32 vcc, 16, v21
	v_cndmask_b32_e32 v23, 0, v23, vcc
	v_cndmask_b32_e32 v22, 7, v22, vcc
	v_cmp_eq_u32_e32 vcc, 0, v21
	v_min_i32_e32 v21, 15, v21
	v_cmp_eq_u64_e64 s[40:41], 0, v[22:23]
	v_lshlrev_b32_e32 v21, 3, v21
	v_and_b32_e32 v21, 0xf8, v21
	v_and_or_b32 v21, v22, 7, v21
	s_and_b64 s[40:41], vcc, s[40:41]
	v_cndmask_b32_e64 v21, v21, 0, s[40:41]
	v_or_b32_e32 v21, v21, v27
.LBB4_4606:                             ;   in Loop: Header=BB4_4196 Depth=4
	s_or_b64 exec, exec, s[48:49]
                                        ; implicit-def: $vgpr27
.LBB4_4607:                             ;   in Loop: Header=BB4_4196 Depth=4
	s_andn2_saveexec_b64 s[40:41], s[38:39]
; %bb.4608:                             ;   in Loop: Header=BB4_4196 Depth=4
	v_or_b32_e32 v21, 0x7e, v27
; %bb.4609:                             ;   in Loop: Header=BB4_4196 Depth=4
	s_or_b64 exec, exec, s[40:41]
                                        ; implicit-def: $vgpr30
.LBB4_4610:                             ;   in Loop: Header=BB4_4196 Depth=4
	s_andn2_saveexec_b64 s[40:41], s[36:37]
; %bb.4611:                             ;   in Loop: Header=BB4_4196 Depth=4
	v_or_b32_sdwa v21, v30, s68 dst_sel:DWORD dst_unused:UNUSED_PAD src0_sel:BYTE_3 src1_sel:DWORD
; %bb.4612:                             ;   in Loop: Header=BB4_4196 Depth=4
	s_or_b64 exec, exec, s[40:41]
	v_and_b32_sdwa v35, v2, s69 dst_sel:DWORD dst_unused:UNUSED_PAD src0_sel:WORD_1 src1_sel:DWORD
	v_lshrrev_b32_e32 v30, 16, v2
	v_cmp_ne_u16_e32 vcc, 0, v35
	v_mov_b32_e32 v27, 0
	s_and_saveexec_b64 s[40:41], vcc
	s_cbranch_execz .LBB4_4618
; %bb.4613:                             ;   in Loop: Header=BB4_4196 Depth=4
	v_cmp_ne_u16_e32 vcc, s70, v35
	v_bfrev_b32_e32 v27, 1
	s_and_saveexec_b64 s[36:37], vcc
	s_cbranch_execz .LBB4_4617
; %bb.4614:                             ;   in Loop: Header=BB4_4196 Depth=4
	v_bfe_u32 v35, v2, 16, 7
	v_cmp_ne_u32_e32 vcc, s68, v35
	v_mov_b32_e32 v27, 0x7f800001
	s_and_saveexec_b64 s[38:39], vcc
	s_cbranch_execz .LBB4_4616
; %bb.4615:                             ;   in Loop: Header=BB4_4196 Depth=4
	v_and_b32_e32 v27, 7, v30
	v_ffbh_u32_e32 v22, v27
	v_min_u32_e32 v33, 32, v22
	v_subrev_u32_e32 v22, 28, v33
	v_lshlrev_b64 v[22:23], v22, v[30:31]
	v_cmp_gt_u32_e32 vcc, 8, v35
	v_and_b32_e32 v22, 7, v22
	v_lshrrev_b32_e32 v32, 3, v35
	v_sub_u32_e32 v23, 29, v33
	v_cndmask_b32_e32 v22, v27, v22, vcc
	v_mov_b32_e32 v27, 24
	v_cndmask_b32_e32 v23, v32, v23, vcc
	v_lshlrev_b32_sdwa v27, v27, v2 dst_sel:DWORD dst_unused:UNUSED_PAD src0_sel:DWORD src1_sel:WORD_1
	v_lshlrev_b32_e32 v22, 20, v22
	v_and_b32_e32 v27, 0x80000000, v27
	v_lshl_add_u32 v23, v23, 23, v5
	v_or3_b32 v27, v27, v23, v22
.LBB4_4616:                             ;   in Loop: Header=BB4_4196 Depth=4
	s_or_b64 exec, exec, s[38:39]
.LBB4_4617:                             ;   in Loop: Header=BB4_4196 Depth=4
	s_or_b64 exec, exec, s[36:37]
.LBB4_4618:                             ;   in Loop: Header=BB4_4196 Depth=4
	s_or_b64 exec, exec, s[40:41]
	v_lshrrev_b32_e32 v30, 16, v8
	v_cmp_gt_i16_sdwa vcc, v30, s68 src0_sel:BYTE_0 src1_sel:DWORD
	s_mov_b64 s[40:41], 0
	s_and_saveexec_b64 s[36:37], vcc
	s_xor_b64 vcc, exec, s[36:37]
	s_cbranch_execz .LBB4_4988
; %bb.4619:                             ;   in Loop: Header=BB4_4196 Depth=4
	v_cmp_eq_u16_sdwa s[38:39], v30, s70 src0_sel:BYTE_0 src1_sel:DWORD
	s_mov_b64 s[40:41], -1
	s_and_saveexec_b64 s[36:37], s[38:39]
; %bb.4620:                             ;   in Loop: Header=BB4_4196 Depth=4
	s_xor_b64 s[40:41], exec, -1
; %bb.4621:                             ;   in Loop: Header=BB4_4196 Depth=4
	s_or_b64 exec, exec, s[36:37]
	s_and_b64 s[40:41], s[40:41], exec
	s_or_saveexec_b64 vcc, vcc
	v_bfrev_b32_e32 v35, 1
	s_xor_b64 exec, exec, vcc
	s_cbranch_execnz .LBB4_4989
.LBB4_4622:                             ;   in Loop: Header=BB4_4196 Depth=4
	s_or_b64 exec, exec, vcc
	s_and_saveexec_b64 s[36:37], s[40:41]
	s_cbranch_execz .LBB4_4624
.LBB4_4623:                             ;   in Loop: Header=BB4_4196 Depth=4
	v_and_b32_e32 v32, 7, v30
	v_ffbh_u32_e32 v22, v32
	v_min_u32_e32 v49, 32, v22
	v_subrev_u32_e32 v22, 28, v49
	v_lshlrev_b64 v[22:23], v22, v[30:31]
	v_and_b32_e32 v33, 0x7f, v30
	v_bfe_u32 v35, v30, 3, 4
	v_sub_u32_e32 v23, 29, v49
	v_and_b32_e32 v22, 7, v22
	v_cmp_gt_u32_e32 vcc, 8, v33
	v_cndmask_b32_e32 v23, v35, v23, vcc
	v_cndmask_b32_e32 v22, v32, v22, vcc
	v_lshlrev_b32_e32 v30, 24, v30
	v_lshlrev_b32_e32 v22, 20, v22
	v_and_b32_e32 v30, 0x80000000, v30
	v_lshl_add_u32 v23, v23, 23, v5
	v_or3_b32 v22, v30, v23, v22
	v_cmp_ne_u32_e32 vcc, s68, v33
	v_mov_b32_e32 v23, 0x7f800001
	v_cndmask_b32_e32 v35, v23, v22, vcc
.LBB4_4624:                             ;   in Loop: Header=BB4_4196 Depth=4
	s_or_b64 exec, exec, s[36:37]
	v_add_f32_e32 v35, v27, v35
	v_and_b32_e32 v22, 0x7f800000, v35
	v_mov_b32_e32 v23, v3
	v_cmp_ne_u64_e32 vcc, s[62:63], v[22:23]
                                        ; implicit-def: $vgpr27
	s_and_saveexec_b64 s[40:41], vcc
	s_xor_b64 s[36:37], exec, s[40:41]
	s_cbranch_execz .LBB4_4638
; %bb.4625:                             ;   in Loop: Header=BB4_4196 Depth=4
	v_and_b32_e32 v22, 0x7fffffff, v35
	v_mov_b32_e32 v23, v3
	v_cmp_gt_u64_e32 vcc, s[72:73], v[22:23]
	v_and_b32_sdwa v30, v35, s70 dst_sel:DWORD dst_unused:UNUSED_PAD src0_sel:BYTE_3 src1_sel:DWORD
                                        ; implicit-def: $vgpr27
	s_and_saveexec_b64 s[40:41], vcc
	s_xor_b64 s[38:39], exec, s[40:41]
	s_cbranch_execz .LBB4_4635
; %bb.4626:                             ;   in Loop: Header=BB4_4196 Depth=4
	v_mov_b32_e32 v27, 0
	v_cmp_ne_u32_e32 vcc, 0, v35
	s_and_saveexec_b64 s[48:49], vcc
	s_cbranch_execz .LBB4_4634
; %bb.4627:                             ;   in Loop: Header=BB4_4196 Depth=4
	v_bfe_u32 v27, v35, 23, 8
	v_cmp_gt_u32_e64 s[40:41], s71, v27
	v_sub_u32_e32 v23, 0x79, v27
	v_and_b32_e32 v22, 0x7fffff, v35
	v_cmp_eq_u32_e32 vcc, 0, v27
	v_cndmask_b32_e64 v23, 0, v23, s[40:41]
	v_mov_b32_e32 v33, 0x78
	v_or_b32_e32 v32, 0x800000, v22
	v_cndmask_b32_e32 v35, v23, v33, vcc
	v_cndmask_b32_e32 v22, v32, v22, vcc
	v_add_u32_e32 v32, 20, v35
	v_mov_b32_e32 v23, v3
	v_lshlrev_b64 v[32:33], v32, -1
	v_add_u32_e32 v49, 19, v35
	v_lshlrev_b64 v[49:50], v49, 1
	v_lshrrev_b64 v[46:47], v35, v[22:23]
	v_bfi_b32 v33, v33, 0, 0
	v_bfi_b32 v32, v32, 0, v22
	v_cmp_eq_u64_e64 s[40:41], v[32:33], v[49:50]
	v_mov_b32_e32 v57, v47
	v_mov_b32_e32 v56, v46
	s_and_saveexec_b64 s[50:51], s[40:41]
; %bb.4628:                             ;   in Loop: Header=BB4_4196 Depth=4
	v_bfe_u32 v22, v46, 20, 1
	v_add_co_u32_e64 v22, s[40:41], v46, v22
	v_add_co_u32_e64 v56, s[40:41], -1, v22
; %bb.4629:                             ;   in Loop: Header=BB4_4196 Depth=4
	s_or_b64 exec, exec, s[50:51]
	v_add_u32_e32 v22, 0xffffff81, v27
	v_mov_b32_e32 v23, 0xffffff82
	v_cndmask_b32_e32 v22, v22, v23, vcc
	v_lshrrev_b32_e32 v23, 23, v46
	v_add3_u32 v49, v35, v22, v23
	v_add_u32_e32 v35, 6, v49
	v_and_b32_e32 v22, 0xfffff, v56
	v_add_u32_e32 v46, v22, v46
	v_mov_b32_e32 v47, v3
	v_cmp_ne_u32_e32 vcc, 0, v35
                                        ; implicit-def: $vgpr27
	s_and_saveexec_b64 s[40:41], vcc
	s_xor_b64 s[40:41], exec, s[40:41]
; %bb.4630:                             ;   in Loop: Header=BB4_4196 Depth=4
	v_cmp_lt_u64_e32 vcc, s[74:75], v[46:47]
	v_add_u32_e32 v22, 7, v49
	v_cndmask_b32_e32 v27, v35, v22, vcc
	v_cndmask_b32_e64 v22, 0, 1, vcc
	v_lshrrev_b64 v[46:47], v22, v[46:47]
; %bb.4631:                             ;   in Loop: Header=BB4_4196 Depth=4
	s_andn2_saveexec_b64 s[40:41], s[40:41]
; %bb.4632:                             ;   in Loop: Header=BB4_4196 Depth=4
	v_bfe_u32 v27, v46, 23, 1
; %bb.4633:                             ;   in Loop: Header=BB4_4196 Depth=4
	s_or_b64 exec, exec, s[40:41]
	v_lshrrev_b64 v[22:23], 20, v[46:47]
	v_cmp_gt_i32_e32 vcc, 16, v27
	v_cndmask_b32_e32 v23, 0, v23, vcc
	v_cndmask_b32_e32 v22, 7, v22, vcc
	v_cmp_eq_u64_e64 s[40:41], 0, v[22:23]
	v_min_i32_e32 v23, 15, v27
	v_lshlrev_b32_e32 v23, 3, v23
	v_cmp_eq_u32_e32 vcc, 0, v27
	v_and_b32_e32 v23, 0xf8, v23
	v_and_or_b32 v22, v22, 7, v23
	s_and_b64 s[40:41], vcc, s[40:41]
	v_cndmask_b32_e64 v22, v22, 0, s[40:41]
	v_or_b32_e32 v27, v22, v30
.LBB4_4634:                             ;   in Loop: Header=BB4_4196 Depth=4
	s_or_b64 exec, exec, s[48:49]
                                        ; implicit-def: $vgpr30
.LBB4_4635:                             ;   in Loop: Header=BB4_4196 Depth=4
	s_andn2_saveexec_b64 s[40:41], s[38:39]
; %bb.4636:                             ;   in Loop: Header=BB4_4196 Depth=4
	v_or_b32_e32 v27, 0x7e, v30
; %bb.4637:                             ;   in Loop: Header=BB4_4196 Depth=4
	s_or_b64 exec, exec, s[40:41]
                                        ; implicit-def: $vgpr35
.LBB4_4638:                             ;   in Loop: Header=BB4_4196 Depth=4
	s_andn2_saveexec_b64 s[40:41], s[36:37]
; %bb.4639:                             ;   in Loop: Header=BB4_4196 Depth=4
	v_or_b32_sdwa v27, v35, s68 dst_sel:DWORD dst_unused:UNUSED_PAD src0_sel:BYTE_3 src1_sel:DWORD
; %bb.4640:                             ;   in Loop: Header=BB4_4196 Depth=4
	s_or_b64 exec, exec, s[40:41]
	v_cmp_lt_u32_e32 vcc, s57, v2
	v_mov_b32_e32 v35, 0
	s_and_saveexec_b64 s[40:41], vcc
	s_cbranch_execz .LBB4_4646
; %bb.4641:                             ;   in Loop: Header=BB4_4196 Depth=4
	v_lshrrev_b32_e32 v30, 24, v2
	v_cmp_ne_u32_e32 vcc, s70, v30
	v_bfrev_b32_e32 v35, 1
	s_and_saveexec_b64 s[36:37], vcc
	s_cbranch_execz .LBB4_4645
; %bb.4642:                             ;   in Loop: Header=BB4_4196 Depth=4
	v_bfe_u32 v2, v2, 24, 7
	v_cmp_ne_u32_e32 vcc, s68, v2
	v_mov_b32_e32 v35, 0x7f800001
	s_and_saveexec_b64 s[38:39], vcc
	s_cbranch_execz .LBB4_4644
; %bb.4643:                             ;   in Loop: Header=BB4_4196 Depth=4
	v_and_b32_e32 v32, 7, v30
	v_lshrrev_b32_e32 v33, 3, v2
	v_cmp_gt_u32_e32 vcc, 8, v2
	v_ffbh_u32_e32 v2, v32
	v_min_u32_e32 v2, 32, v2
	v_subrev_u32_e32 v22, 28, v2
	v_lshlrev_b64 v[22:23], v22, v[30:31]
	v_sub_u32_e32 v2, 29, v2
	v_and_b32_e32 v22, 7, v22
	v_cndmask_b32_e32 v2, v33, v2, vcc
	v_cndmask_b32_e32 v22, v32, v22, vcc
	v_lshlrev_b32_e32 v23, 24, v30
	v_lshlrev_b32_e32 v22, 20, v22
	v_and_b32_e32 v23, 0x80000000, v23
	v_lshl_add_u32 v2, v2, 23, v5
	v_or3_b32 v35, v23, v2, v22
.LBB4_4644:                             ;   in Loop: Header=BB4_4196 Depth=4
	s_or_b64 exec, exec, s[38:39]
.LBB4_4645:                             ;   in Loop: Header=BB4_4196 Depth=4
	s_or_b64 exec, exec, s[36:37]
.LBB4_4646:                             ;   in Loop: Header=BB4_4196 Depth=4
	s_or_b64 exec, exec, s[40:41]
	v_bfe_u32 v30, v8, 24, 3
	v_ffbh_u32_e32 v22, v30
	v_min_u32_e32 v49, 32, v22
	v_lshrrev_b32_e32 v2, 24, v8
	v_subrev_u32_e32 v22, 28, v49
	v_lshlrev_b64 v[22:23], v22, v[2:3]
	v_bfe_u32 v32, v8, 24, 7
	v_bfe_u32 v33, v2, 3, 4
	v_sub_u32_e32 v23, 29, v49
	v_and_b32_e32 v22, 7, v22
	v_cmp_gt_u32_e32 vcc, 8, v32
	v_cndmask_b32_e32 v23, v33, v23, vcc
	v_cndmask_b32_e32 v22, v30, v22, vcc
	v_lshlrev_b32_e32 v22, 20, v22
	v_and_b32_e32 v30, 0x80000000, v8
	v_lshl_add_u32 v23, v23, 23, v5
	v_or3_b32 v22, v30, v23, v22
	v_cmp_ne_u32_e32 vcc, s68, v32
	v_mov_b32_e32 v23, 0x7f800001
	v_cndmask_b32_e32 v22, v23, v22, vcc
	v_cmp_ne_u32_e32 vcc, s70, v2
	v_bfrev_b32_e32 v2, 1
	v_cndmask_b32_e32 v2, v2, v22, vcc
	v_cmp_lt_u32_e32 vcc, s57, v8
	v_cndmask_b32_e32 v2, 0, v2, vcc
	v_add_f32_e32 v49, v2, v35
	v_and_b32_e32 v2, 0x7f800000, v49
	v_cmp_ne_u64_e32 vcc, s[62:63], v[2:3]
                                        ; implicit-def: $vgpr35
	s_and_saveexec_b64 s[40:41], vcc
	s_xor_b64 s[36:37], exec, s[40:41]
	s_cbranch_execz .LBB4_4660
; %bb.4647:                             ;   in Loop: Header=BB4_4196 Depth=4
	v_and_b32_e32 v2, 0x7fffffff, v49
	v_cmp_gt_u64_e32 vcc, s[72:73], v[2:3]
	v_and_b32_sdwa v30, v49, s70 dst_sel:DWORD dst_unused:UNUSED_PAD src0_sel:BYTE_3 src1_sel:DWORD
                                        ; implicit-def: $vgpr35
	s_and_saveexec_b64 s[40:41], vcc
	s_xor_b64 s[38:39], exec, s[40:41]
	s_cbranch_execz .LBB4_4657
; %bb.4648:                             ;   in Loop: Header=BB4_4196 Depth=4
	v_mov_b32_e32 v35, 0
	v_cmp_ne_u32_e32 vcc, 0, v49
	s_and_saveexec_b64 s[48:49], vcc
	s_cbranch_execz .LBB4_4656
; %bb.4649:                             ;   in Loop: Header=BB4_4196 Depth=4
	v_bfe_u32 v35, v49, 23, 8
	v_cmp_gt_u32_e64 s[40:41], s71, v35
	v_sub_u32_e32 v22, 0x79, v35
	v_cmp_eq_u32_e32 vcc, 0, v35
	v_cndmask_b32_e64 v22, 0, v22, s[40:41]
	v_mov_b32_e32 v32, 0x78
	v_and_b32_e32 v2, 0x7fffff, v49
	v_cndmask_b32_e32 v49, v22, v32, vcc
	v_or_b32_e32 v23, 0x800000, v2
	v_add_u32_e32 v22, 20, v49
	v_cndmask_b32_e32 v2, v23, v2, vcc
	v_lshlrev_b64 v[22:23], v22, -1
	v_add_u32_e32 v32, 19, v49
	v_lshlrev_b64 v[32:33], v32, 1
	v_lshrrev_b64 v[46:47], v49, v[2:3]
	v_bfi_b32 v23, v23, 0, 0
	v_bfi_b32 v22, v22, 0, v2
	v_cmp_eq_u64_e64 s[40:41], v[22:23], v[32:33]
	v_mov_b32_e32 v57, v47
	v_mov_b32_e32 v56, v46
	s_and_saveexec_b64 s[50:51], s[40:41]
; %bb.4650:                             ;   in Loop: Header=BB4_4196 Depth=4
	v_bfe_u32 v2, v46, 20, 1
	v_add_co_u32_e64 v2, s[40:41], v46, v2
	v_add_co_u32_e64 v56, s[40:41], -1, v2
; %bb.4651:                             ;   in Loop: Header=BB4_4196 Depth=4
	s_or_b64 exec, exec, s[50:51]
	v_add_u32_e32 v2, 0xffffff81, v35
	v_mov_b32_e32 v22, 0xffffff82
	v_cndmask_b32_e32 v2, v2, v22, vcc
	v_lshrrev_b32_e32 v22, 23, v46
	v_add3_u32 v50, v49, v2, v22
	v_add_u32_e32 v49, 6, v50
	v_and_b32_e32 v2, 0xfffff, v56
	v_add_u32_e32 v2, v2, v46
	v_cmp_ne_u32_e32 vcc, 0, v49
                                        ; implicit-def: $vgpr46_vgpr47
                                        ; implicit-def: $vgpr35
	s_and_saveexec_b64 s[40:41], vcc
	s_xor_b64 s[40:41], exec, s[40:41]
; %bb.4652:                             ;   in Loop: Header=BB4_4196 Depth=4
	v_cmp_lt_u64_e32 vcc, s[74:75], v[2:3]
	v_add_u32_e32 v22, 7, v50
	v_cndmask_b32_e32 v35, v49, v22, vcc
	v_cndmask_b32_e64 v22, 0, 1, vcc
	v_lshrrev_b64 v[46:47], v22, v[2:3]
; %bb.4653:                             ;   in Loop: Header=BB4_4196 Depth=4
	s_andn2_saveexec_b64 s[40:41], s[40:41]
; %bb.4654:                             ;   in Loop: Header=BB4_4196 Depth=4
	v_mov_b32_e32 v47, v3
	v_bfe_u32 v35, v2, 23, 1
	v_mov_b32_e32 v46, v2
; %bb.4655:                             ;   in Loop: Header=BB4_4196 Depth=4
	s_or_b64 exec, exec, s[40:41]
	v_lshrrev_b64 v[22:23], 20, v[46:47]
	v_cmp_gt_i32_e32 vcc, 16, v35
	v_cndmask_b32_e32 v23, 0, v23, vcc
	v_cndmask_b32_e32 v22, 7, v22, vcc
	v_min_i32_e32 v2, 15, v35
	v_cmp_eq_u64_e64 s[40:41], 0, v[22:23]
	v_lshlrev_b32_e32 v2, 3, v2
	v_cmp_eq_u32_e32 vcc, 0, v35
	v_and_b32_e32 v2, 0xf8, v2
	v_and_or_b32 v2, v22, 7, v2
	s_and_b64 s[40:41], vcc, s[40:41]
	v_cndmask_b32_e64 v2, v2, 0, s[40:41]
	v_or_b32_e32 v35, v2, v30
.LBB4_4656:                             ;   in Loop: Header=BB4_4196 Depth=4
	s_or_b64 exec, exec, s[48:49]
                                        ; implicit-def: $vgpr30
.LBB4_4657:                             ;   in Loop: Header=BB4_4196 Depth=4
	s_andn2_saveexec_b64 s[40:41], s[38:39]
; %bb.4658:                             ;   in Loop: Header=BB4_4196 Depth=4
	v_or_b32_e32 v35, 0x7e, v30
; %bb.4659:                             ;   in Loop: Header=BB4_4196 Depth=4
	s_or_b64 exec, exec, s[40:41]
                                        ; implicit-def: $vgpr49
.LBB4_4660:                             ;   in Loop: Header=BB4_4196 Depth=4
	s_andn2_saveexec_b64 s[40:41], s[36:37]
; %bb.4661:                             ;   in Loop: Header=BB4_4196 Depth=4
	v_or_b32_sdwa v35, v49, s68 dst_sel:DWORD dst_unused:UNUSED_PAD src0_sel:BYTE_3 src1_sel:DWORD
; %bb.4662:                             ;   in Loop: Header=BB4_4196 Depth=4
	s_or_b64 exec, exec, s[40:41]
	v_lshl_or_b32 v37, v37, 8, v29
	v_lshlrev_b32_e32 v2, 16, v39
	v_lshlrev_b32_e32 v22, 24, v48
	v_or3_b32 v2, v2, v22, v37
	v_cmp_ne_u32_e32 vcc, 0, v29
	v_mov_b32_e32 v30, 0
	s_and_saveexec_b64 s[40:41], vcc
	s_cbranch_execz .LBB4_4668
; %bb.4663:                             ;   in Loop: Header=BB4_4196 Depth=4
	v_cmp_ne_u32_e32 vcc, s70, v29
	v_bfrev_b32_e32 v30, 1
	s_and_saveexec_b64 s[36:37], vcc
	s_cbranch_execz .LBB4_4667
; %bb.4664:                             ;   in Loop: Header=BB4_4196 Depth=4
	v_and_b32_e32 v39, 0x7f, v29
	v_cmp_ne_u32_e32 vcc, s68, v39
	v_mov_b32_e32 v30, 0x7f800001
	s_and_saveexec_b64 s[38:39], vcc
	s_cbranch_execz .LBB4_4666
; %bb.4665:                             ;   in Loop: Header=BB4_4196 Depth=4
	v_and_b32_e32 v22, 7, v29
	v_ffbh_u32_e32 v22, v22
	v_min_u32_e32 v22, 32, v22
	v_lshrrev_b32_e32 v23, 3, v39
	v_cmp_gt_u32_e32 vcc, 8, v39
	v_subrev_u32_e32 v29, 28, v22
	v_sub_u32_e32 v22, 29, v22
	v_cndmask_b32_e32 v30, v23, v22, vcc
	v_cndmask_b32_e32 v22, 0, v29, vcc
	v_lshlrev_b64 v[22:23], v22, v[2:3]
	v_lshlrev_b32_e32 v23, 24, v2
	v_lshlrev_b32_e32 v22, 20, v22
	v_and_b32_e32 v22, 0x700000, v22
	v_and_b32_e32 v23, 0x80000000, v23
	v_lshl_add_u32 v29, v30, 23, v5
	v_or3_b32 v30, v23, v29, v22
.LBB4_4666:                             ;   in Loop: Header=BB4_4196 Depth=4
	s_or_b64 exec, exec, s[38:39]
.LBB4_4667:                             ;   in Loop: Header=BB4_4196 Depth=4
	s_or_b64 exec, exec, s[36:37]
.LBB4_4668:                             ;   in Loop: Header=BB4_4196 Depth=4
	s_or_b64 exec, exec, s[40:41]
	v_cmp_gt_i16_sdwa vcc, v9, s68 src0_sel:BYTE_0 src1_sel:DWORD
	s_mov_b64 s[40:41], 0
	s_and_saveexec_b64 s[36:37], vcc
	s_xor_b64 vcc, exec, s[36:37]
	s_cbranch_execz .LBB4_4672
; %bb.4669:                             ;   in Loop: Header=BB4_4196 Depth=4
	v_cmp_eq_u16_sdwa s[38:39], v9, s70 src0_sel:BYTE_0 src1_sel:DWORD
	s_mov_b64 s[40:41], -1
	s_and_saveexec_b64 s[36:37], s[38:39]
; %bb.4670:                             ;   in Loop: Header=BB4_4196 Depth=4
	s_xor_b64 s[40:41], exec, -1
; %bb.4671:                             ;   in Loop: Header=BB4_4196 Depth=4
	s_or_b64 exec, exec, s[36:37]
	s_and_b64 s[40:41], s[40:41], exec
.LBB4_4672:                             ;   in Loop: Header=BB4_4196 Depth=4
	s_or_saveexec_b64 vcc, vcc
	v_bfrev_b32_e32 v29, 1
	s_xor_b64 exec, exec, vcc
; %bb.4673:                             ;   in Loop: Header=BB4_4196 Depth=4
	v_cmp_ne_u16_sdwa s[36:37], v9, v3 src0_sel:BYTE_0 src1_sel:DWORD
	s_andn2_b64 s[40:41], s[40:41], exec
	s_and_b64 s[36:37], s[36:37], exec
	v_mov_b32_e32 v29, 0
	s_or_b64 s[40:41], s[40:41], s[36:37]
; %bb.4674:                             ;   in Loop: Header=BB4_4196 Depth=4
	s_or_b64 exec, exec, vcc
	v_mov_b32_e32 v46, v9
	v_mov_b32_e32 v47, v3
	s_and_saveexec_b64 s[36:37], s[40:41]
	s_cbranch_execz .LBB4_4676
; %bb.4675:                             ;   in Loop: Header=BB4_4196 Depth=4
	v_and_b32_e32 v22, 7, v9
	v_ffbh_u32_e32 v22, v22
	v_and_b32_e32 v29, 0x7f, v9
	v_min_u32_e32 v22, 32, v22
	v_bfe_u32 v23, v9, 3, 4
	v_subrev_u32_e32 v32, 28, v22
	v_sub_u32_e32 v22, 29, v22
	v_cmp_gt_u32_e32 vcc, 8, v29
	v_cndmask_b32_e32 v33, v23, v22, vcc
	v_cndmask_b32_e32 v22, 0, v32, vcc
	v_lshlrev_b64 v[22:23], v22, v[46:47]
	v_lshlrev_b32_e32 v23, 24, v46
	v_lshlrev_b32_e32 v22, 20, v22
	v_and_b32_e32 v22, 0x700000, v22
	v_and_b32_e32 v23, 0x80000000, v23
	v_lshl_add_u32 v32, v33, 23, v5
	v_or3_b32 v22, v23, v32, v22
	v_cmp_ne_u32_e32 vcc, s68, v29
	v_mov_b32_e32 v23, 0x7f800001
	v_cndmask_b32_e32 v29, v23, v22, vcc
.LBB4_4676:                             ;   in Loop: Header=BB4_4196 Depth=4
	s_or_b64 exec, exec, s[36:37]
	v_add_f32_e32 v39, v30, v29
	v_and_b32_e32 v22, 0x7f800000, v39
	v_mov_b32_e32 v23, v3
	v_cmp_ne_u64_e32 vcc, s[62:63], v[22:23]
                                        ; implicit-def: $vgpr29
	s_and_saveexec_b64 s[40:41], vcc
	s_xor_b64 s[36:37], exec, s[40:41]
	s_cbranch_execz .LBB4_4690
; %bb.4677:                             ;   in Loop: Header=BB4_4196 Depth=4
	v_and_b32_e32 v22, 0x7fffffff, v39
	v_mov_b32_e32 v23, v3
	v_cmp_gt_u64_e32 vcc, s[72:73], v[22:23]
	v_and_b32_sdwa v30, v39, s70 dst_sel:DWORD dst_unused:UNUSED_PAD src0_sel:BYTE_3 src1_sel:DWORD
                                        ; implicit-def: $vgpr29
	s_and_saveexec_b64 s[40:41], vcc
	s_xor_b64 s[38:39], exec, s[40:41]
	s_cbranch_execz .LBB4_4687
; %bb.4678:                             ;   in Loop: Header=BB4_4196 Depth=4
	v_mov_b32_e32 v29, 0
	v_cmp_ne_u32_e32 vcc, 0, v39
	s_and_saveexec_b64 s[48:49], vcc
	s_cbranch_execz .LBB4_4686
; %bb.4679:                             ;   in Loop: Header=BB4_4196 Depth=4
	v_bfe_u32 v29, v39, 23, 8
	v_cmp_gt_u32_e64 s[40:41], s71, v29
	v_sub_u32_e32 v23, 0x79, v29
	v_and_b32_e32 v22, 0x7fffff, v39
	v_cmp_eq_u32_e32 vcc, 0, v29
	v_cndmask_b32_e64 v23, 0, v23, s[40:41]
	v_mov_b32_e32 v33, 0x78
	v_or_b32_e32 v32, 0x800000, v22
	v_cndmask_b32_e32 v39, v23, v33, vcc
	v_cndmask_b32_e32 v22, v32, v22, vcc
	v_add_u32_e32 v32, 20, v39
	v_mov_b32_e32 v23, v3
	v_lshlrev_b64 v[32:33], v32, -1
	v_add_u32_e32 v48, 19, v39
	v_lshlrev_b64 v[48:49], v48, 1
	v_lshrrev_b64 v[56:57], v39, v[22:23]
	v_bfi_b32 v33, v33, 0, 0
	v_bfi_b32 v32, v32, 0, v22
	v_cmp_eq_u64_e64 s[40:41], v[32:33], v[48:49]
	v_mov_b32_e32 v58, v57
	v_mov_b32_e32 v57, v56
	s_and_saveexec_b64 s[50:51], s[40:41]
; %bb.4680:                             ;   in Loop: Header=BB4_4196 Depth=4
	v_bfe_u32 v22, v56, 20, 1
	v_add_co_u32_e64 v22, s[40:41], v56, v22
	v_add_co_u32_e64 v57, s[40:41], -1, v22
; %bb.4681:                             ;   in Loop: Header=BB4_4196 Depth=4
	s_or_b64 exec, exec, s[50:51]
	v_add_u32_e32 v22, 0xffffff81, v29
	v_mov_b32_e32 v23, 0xffffff82
	v_cndmask_b32_e32 v22, v22, v23, vcc
	v_lshrrev_b32_e32 v23, 23, v56
	v_add3_u32 v48, v39, v22, v23
	v_add_u32_e32 v39, 6, v48
	v_and_b32_e32 v22, 0xfffff, v57
	v_add_u32_e32 v56, v22, v56
	v_mov_b32_e32 v57, v3
	v_cmp_ne_u32_e32 vcc, 0, v39
                                        ; implicit-def: $vgpr29
	s_and_saveexec_b64 s[40:41], vcc
	s_xor_b64 s[40:41], exec, s[40:41]
; %bb.4682:                             ;   in Loop: Header=BB4_4196 Depth=4
	v_cmp_lt_u64_e32 vcc, s[74:75], v[56:57]
	v_add_u32_e32 v22, 7, v48
	v_cndmask_b32_e32 v29, v39, v22, vcc
	v_cndmask_b32_e64 v22, 0, 1, vcc
	v_lshrrev_b64 v[56:57], v22, v[56:57]
; %bb.4683:                             ;   in Loop: Header=BB4_4196 Depth=4
	s_andn2_saveexec_b64 s[40:41], s[40:41]
; %bb.4684:                             ;   in Loop: Header=BB4_4196 Depth=4
	v_bfe_u32 v29, v56, 23, 1
; %bb.4685:                             ;   in Loop: Header=BB4_4196 Depth=4
	s_or_b64 exec, exec, s[40:41]
	v_lshrrev_b64 v[22:23], 20, v[56:57]
	v_cmp_gt_i32_e32 vcc, 16, v29
	v_cndmask_b32_e32 v23, 0, v23, vcc
	v_cndmask_b32_e32 v22, 7, v22, vcc
	v_cmp_eq_u64_e64 s[40:41], 0, v[22:23]
	v_min_i32_e32 v23, 15, v29
	v_lshlrev_b32_e32 v23, 3, v23
	v_cmp_eq_u32_e32 vcc, 0, v29
	v_and_b32_e32 v23, 0xf8, v23
	v_and_or_b32 v22, v22, 7, v23
	s_and_b64 s[40:41], vcc, s[40:41]
	v_cndmask_b32_e64 v22, v22, 0, s[40:41]
	v_or_b32_e32 v29, v22, v30
.LBB4_4686:                             ;   in Loop: Header=BB4_4196 Depth=4
	s_or_b64 exec, exec, s[48:49]
                                        ; implicit-def: $vgpr30
.LBB4_4687:                             ;   in Loop: Header=BB4_4196 Depth=4
	s_andn2_saveexec_b64 s[40:41], s[38:39]
; %bb.4688:                             ;   in Loop: Header=BB4_4196 Depth=4
	v_or_b32_e32 v29, 0x7e, v30
; %bb.4689:                             ;   in Loop: Header=BB4_4196 Depth=4
	s_or_b64 exec, exec, s[40:41]
                                        ; implicit-def: $vgpr39
.LBB4_4690:                             ;   in Loop: Header=BB4_4196 Depth=4
	s_andn2_saveexec_b64 s[40:41], s[36:37]
; %bb.4691:                             ;   in Loop: Header=BB4_4196 Depth=4
	v_or_b32_sdwa v29, v39, s68 dst_sel:DWORD dst_unused:UNUSED_PAD src0_sel:BYTE_3 src1_sel:DWORD
; %bb.4692:                             ;   in Loop: Header=BB4_4196 Depth=4
	s_or_b64 exec, exec, s[40:41]
	v_lshrrev_b16_e32 v30, 8, v37
	v_cmp_ne_u16_e32 vcc, 0, v30
	v_mov_b32_e32 v39, 0
	s_and_saveexec_b64 s[40:41], vcc
	s_cbranch_execz .LBB4_4698
; %bb.4693:                             ;   in Loop: Header=BB4_4196 Depth=4
	v_cmp_ne_u16_e32 vcc, s70, v30
	v_bfrev_b32_e32 v39, 1
	s_and_saveexec_b64 s[36:37], vcc
	s_cbranch_execz .LBB4_4697
; %bb.4694:                             ;   in Loop: Header=BB4_4196 Depth=4
	v_and_b32_e32 v48, 0x7f, v30
	v_cmp_ne_u32_e32 vcc, s68, v48
	v_mov_b32_e32 v39, 0x7f800001
	s_and_saveexec_b64 s[38:39], vcc
	s_cbranch_execz .LBB4_4696
; %bb.4695:                             ;   in Loop: Header=BB4_4196 Depth=4
	v_and_b32_e32 v32, 7, v30
	v_ffbh_u32_e32 v22, v32
	v_min_u32_e32 v39, 32, v22
	v_subrev_u32_e32 v22, 28, v39
	v_lshlrev_b64 v[22:23], v22, v[30:31]
	v_lshrrev_b32_e32 v33, 3, v48
	v_cmp_gt_u32_e32 vcc, 8, v48
	v_sub_u32_e32 v23, 29, v39
	v_and_b32_e32 v22, 7, v22
	v_cndmask_b32_e32 v23, v33, v23, vcc
	v_cndmask_b32_e32 v22, v32, v22, vcc
	v_lshlrev_b32_e32 v30, 16, v37
	v_lshlrev_b32_e32 v22, 20, v22
	v_and_b32_e32 v30, 0x80000000, v30
	v_lshl_add_u32 v23, v23, 23, v5
	v_or3_b32 v39, v30, v23, v22
.LBB4_4696:                             ;   in Loop: Header=BB4_4196 Depth=4
	s_or_b64 exec, exec, s[38:39]
.LBB4_4697:                             ;   in Loop: Header=BB4_4196 Depth=4
	s_or_b64 exec, exec, s[36:37]
.LBB4_4698:                             ;   in Loop: Header=BB4_4196 Depth=4
	s_or_b64 exec, exec, s[40:41]
	v_lshrrev_b16_e32 v46, 8, v46
	v_cmp_lt_i16_e32 vcc, s68, v46
	s_mov_b64 s[40:41], 0
	s_and_saveexec_b64 s[36:37], vcc
	s_xor_b64 s[36:37], exec, s[36:37]
	s_cbranch_execz .LBB4_4990
; %bb.4699:                             ;   in Loop: Header=BB4_4196 Depth=4
	v_cmp_eq_u16_e32 vcc, s70, v46
	s_mov_b64 s[40:41], -1
	s_and_saveexec_b64 s[38:39], vcc
; %bb.4700:                             ;   in Loop: Header=BB4_4196 Depth=4
	s_xor_b64 s[40:41], exec, -1
; %bb.4701:                             ;   in Loop: Header=BB4_4196 Depth=4
	s_or_b64 exec, exec, s[38:39]
	s_and_b64 s[40:41], s[40:41], exec
	s_or_saveexec_b64 s[36:37], s[36:37]
	v_bfrev_b32_e32 v30, 1
	s_xor_b64 exec, exec, s[36:37]
	s_cbranch_execnz .LBB4_4991
.LBB4_4702:                             ;   in Loop: Header=BB4_4196 Depth=4
	s_or_b64 exec, exec, s[36:37]
	s_and_saveexec_b64 s[36:37], s[40:41]
	s_cbranch_execz .LBB4_4704
.LBB4_4703:                             ;   in Loop: Header=BB4_4196 Depth=4
	v_and_b32_e32 v30, 7, v46
	v_ffbh_u32_e32 v22, v30
	v_min_u32_e32 v37, 32, v22
	v_mov_b32_e32 v47, v3
	v_subrev_u32_e32 v22, 28, v37
	v_lshlrev_b64 v[22:23], v22, v[46:47]
	v_and_b32_e32 v32, 0x7f, v46
	v_bfe_u32 v33, v46, 3, 4
	v_sub_u32_e32 v23, 29, v37
	v_and_b32_e32 v22, 7, v22
	v_cmp_gt_u32_e32 vcc, 8, v32
	v_cndmask_b32_e32 v23, v33, v23, vcc
	v_cndmask_b32_e32 v22, v30, v22, vcc
	v_lshlrev_b32_e32 v30, 24, v46
	v_lshlrev_b32_e32 v22, 20, v22
	v_and_b32_e32 v30, 0x80000000, v30
	v_lshl_add_u32 v23, v23, 23, v5
	v_or3_b32 v22, v30, v23, v22
	v_cmp_ne_u32_e32 vcc, s68, v32
	v_mov_b32_e32 v23, 0x7f800001
	v_cndmask_b32_e32 v30, v23, v22, vcc
.LBB4_4704:                             ;   in Loop: Header=BB4_4196 Depth=4
	s_or_b64 exec, exec, s[36:37]
	v_add_f32_e32 v39, v39, v30
	v_and_b32_e32 v22, 0x7f800000, v39
	v_mov_b32_e32 v23, v3
	v_cmp_ne_u64_e32 vcc, s[62:63], v[22:23]
                                        ; implicit-def: $vgpr37
	s_and_saveexec_b64 s[40:41], vcc
	s_xor_b64 s[36:37], exec, s[40:41]
	s_cbranch_execz .LBB4_4718
; %bb.4705:                             ;   in Loop: Header=BB4_4196 Depth=4
	v_and_b32_e32 v22, 0x7fffffff, v39
	v_mov_b32_e32 v23, v3
	v_cmp_gt_u64_e32 vcc, s[72:73], v[22:23]
	v_and_b32_sdwa v30, v39, s70 dst_sel:DWORD dst_unused:UNUSED_PAD src0_sel:BYTE_3 src1_sel:DWORD
                                        ; implicit-def: $vgpr37
	s_and_saveexec_b64 s[40:41], vcc
	s_xor_b64 s[38:39], exec, s[40:41]
	s_cbranch_execz .LBB4_4715
; %bb.4706:                             ;   in Loop: Header=BB4_4196 Depth=4
	v_mov_b32_e32 v37, 0
	v_cmp_ne_u32_e32 vcc, 0, v39
	s_and_saveexec_b64 s[48:49], vcc
	s_cbranch_execz .LBB4_4714
; %bb.4707:                             ;   in Loop: Header=BB4_4196 Depth=4
	v_bfe_u32 v37, v39, 23, 8
	v_cmp_gt_u32_e64 s[40:41], s71, v37
	v_sub_u32_e32 v23, 0x79, v37
	v_and_b32_e32 v22, 0x7fffff, v39
	v_cmp_eq_u32_e32 vcc, 0, v37
	v_cndmask_b32_e64 v23, 0, v23, s[40:41]
	v_mov_b32_e32 v33, 0x78
	v_or_b32_e32 v32, 0x800000, v22
	v_cndmask_b32_e32 v39, v23, v33, vcc
	v_cndmask_b32_e32 v22, v32, v22, vcc
	v_add_u32_e32 v32, 20, v39
	v_mov_b32_e32 v23, v3
	v_lshlrev_b64 v[32:33], v32, -1
	v_add_u32_e32 v48, 19, v39
	v_lshlrev_b64 v[48:49], v48, 1
	v_lshrrev_b64 v[46:47], v39, v[22:23]
	v_bfi_b32 v33, v33, 0, 0
	v_bfi_b32 v32, v32, 0, v22
	v_cmp_eq_u64_e64 s[40:41], v[32:33], v[48:49]
	v_mov_b32_e32 v57, v47
	v_mov_b32_e32 v56, v46
	s_and_saveexec_b64 s[50:51], s[40:41]
; %bb.4708:                             ;   in Loop: Header=BB4_4196 Depth=4
	v_bfe_u32 v22, v46, 20, 1
	v_add_co_u32_e64 v22, s[40:41], v46, v22
	v_add_co_u32_e64 v56, s[40:41], -1, v22
; %bb.4709:                             ;   in Loop: Header=BB4_4196 Depth=4
	s_or_b64 exec, exec, s[50:51]
	v_add_u32_e32 v22, 0xffffff81, v37
	v_mov_b32_e32 v23, 0xffffff82
	v_cndmask_b32_e32 v22, v22, v23, vcc
	v_lshrrev_b32_e32 v23, 23, v46
	v_add3_u32 v48, v39, v22, v23
	v_add_u32_e32 v39, 6, v48
	v_and_b32_e32 v22, 0xfffff, v56
	v_add_u32_e32 v46, v22, v46
	v_mov_b32_e32 v47, v3
	v_cmp_ne_u32_e32 vcc, 0, v39
                                        ; implicit-def: $vgpr37
	s_and_saveexec_b64 s[40:41], vcc
	s_xor_b64 s[40:41], exec, s[40:41]
; %bb.4710:                             ;   in Loop: Header=BB4_4196 Depth=4
	v_cmp_lt_u64_e32 vcc, s[74:75], v[46:47]
	v_add_u32_e32 v22, 7, v48
	v_cndmask_b32_e32 v37, v39, v22, vcc
	v_cndmask_b32_e64 v22, 0, 1, vcc
	v_lshrrev_b64 v[46:47], v22, v[46:47]
; %bb.4711:                             ;   in Loop: Header=BB4_4196 Depth=4
	s_andn2_saveexec_b64 s[40:41], s[40:41]
; %bb.4712:                             ;   in Loop: Header=BB4_4196 Depth=4
	v_bfe_u32 v37, v46, 23, 1
; %bb.4713:                             ;   in Loop: Header=BB4_4196 Depth=4
	s_or_b64 exec, exec, s[40:41]
	v_lshrrev_b64 v[22:23], 20, v[46:47]
	v_cmp_gt_i32_e32 vcc, 16, v37
	v_cndmask_b32_e32 v23, 0, v23, vcc
	v_cndmask_b32_e32 v22, 7, v22, vcc
	v_cmp_eq_u64_e64 s[40:41], 0, v[22:23]
	v_min_i32_e32 v23, 15, v37
	v_lshlrev_b32_e32 v23, 3, v23
	v_cmp_eq_u32_e32 vcc, 0, v37
	v_and_b32_e32 v23, 0xf8, v23
	v_and_or_b32 v22, v22, 7, v23
	s_and_b64 s[40:41], vcc, s[40:41]
	v_cndmask_b32_e64 v22, v22, 0, s[40:41]
	v_or_b32_e32 v37, v22, v30
.LBB4_4714:                             ;   in Loop: Header=BB4_4196 Depth=4
	s_or_b64 exec, exec, s[48:49]
                                        ; implicit-def: $vgpr30
.LBB4_4715:                             ;   in Loop: Header=BB4_4196 Depth=4
	s_andn2_saveexec_b64 s[40:41], s[38:39]
; %bb.4716:                             ;   in Loop: Header=BB4_4196 Depth=4
	v_or_b32_e32 v37, 0x7e, v30
; %bb.4717:                             ;   in Loop: Header=BB4_4196 Depth=4
	s_or_b64 exec, exec, s[40:41]
                                        ; implicit-def: $vgpr39
.LBB4_4718:                             ;   in Loop: Header=BB4_4196 Depth=4
	s_andn2_saveexec_b64 s[40:41], s[36:37]
; %bb.4719:                             ;   in Loop: Header=BB4_4196 Depth=4
	v_or_b32_sdwa v37, v39, s68 dst_sel:DWORD dst_unused:UNUSED_PAD src0_sel:BYTE_3 src1_sel:DWORD
; %bb.4720:                             ;   in Loop: Header=BB4_4196 Depth=4
	s_or_b64 exec, exec, s[40:41]
	v_lshrrev_b32_e32 v30, 16, v2
	v_cmp_ne_u16_sdwa vcc, v30, v3 src0_sel:BYTE_0 src1_sel:DWORD
	v_mov_b32_e32 v39, 0
	s_and_saveexec_b64 s[40:41], vcc
	s_cbranch_execz .LBB4_4726
; %bb.4721:                             ;   in Loop: Header=BB4_4196 Depth=4
	v_cmp_ne_u16_sdwa vcc, v30, s70 src0_sel:BYTE_0 src1_sel:DWORD
	v_bfrev_b32_e32 v39, 1
	s_and_saveexec_b64 s[36:37], vcc
	s_cbranch_execz .LBB4_4725
; %bb.4722:                             ;   in Loop: Header=BB4_4196 Depth=4
	v_bfe_u32 v48, v2, 16, 7
	v_cmp_ne_u32_e32 vcc, s68, v48
	v_mov_b32_e32 v39, 0x7f800001
	s_and_saveexec_b64 s[38:39], vcc
	s_cbranch_execz .LBB4_4724
; %bb.4723:                             ;   in Loop: Header=BB4_4196 Depth=4
	v_and_b32_e32 v32, 7, v30
	v_ffbh_u32_e32 v22, v32
	v_min_u32_e32 v39, 32, v22
	v_subrev_u32_e32 v22, 28, v39
	v_lshlrev_b64 v[22:23], v22, v[30:31]
	v_lshrrev_b32_e32 v33, 3, v48
	v_cmp_gt_u32_e32 vcc, 8, v48
	v_sub_u32_e32 v23, 29, v39
	v_and_b32_e32 v22, 7, v22
	v_cndmask_b32_e32 v23, v33, v23, vcc
	v_cndmask_b32_e32 v22, v32, v22, vcc
	v_lshlrev_b32_e32 v30, 24, v30
	v_lshlrev_b32_e32 v22, 20, v22
	v_and_b32_e32 v30, 0x80000000, v30
	v_lshl_add_u32 v23, v23, 23, v5
	v_or3_b32 v39, v30, v23, v22
.LBB4_4724:                             ;   in Loop: Header=BB4_4196 Depth=4
	s_or_b64 exec, exec, s[38:39]
.LBB4_4725:                             ;   in Loop: Header=BB4_4196 Depth=4
	s_or_b64 exec, exec, s[36:37]
.LBB4_4726:                             ;   in Loop: Header=BB4_4196 Depth=4
	s_or_b64 exec, exec, s[40:41]
	v_lshrrev_b32_e32 v30, 16, v9
	v_cmp_gt_i16_sdwa vcc, v30, s68 src0_sel:BYTE_0 src1_sel:DWORD
	s_mov_b64 s[40:41], 0
	s_and_saveexec_b64 s[36:37], vcc
	s_xor_b64 vcc, exec, s[36:37]
	s_cbranch_execz .LBB4_4992
; %bb.4727:                             ;   in Loop: Header=BB4_4196 Depth=4
	v_cmp_eq_u16_sdwa s[38:39], v30, s70 src0_sel:BYTE_0 src1_sel:DWORD
	s_mov_b64 s[40:41], -1
	s_and_saveexec_b64 s[36:37], s[38:39]
; %bb.4728:                             ;   in Loop: Header=BB4_4196 Depth=4
	s_xor_b64 s[40:41], exec, -1
; %bb.4729:                             ;   in Loop: Header=BB4_4196 Depth=4
	s_or_b64 exec, exec, s[36:37]
	s_and_b64 s[40:41], s[40:41], exec
	s_or_saveexec_b64 vcc, vcc
	v_bfrev_b32_e32 v48, 1
	s_xor_b64 exec, exec, vcc
	s_cbranch_execnz .LBB4_4993
.LBB4_4730:                             ;   in Loop: Header=BB4_4196 Depth=4
	s_or_b64 exec, exec, vcc
	s_and_saveexec_b64 s[36:37], s[40:41]
	s_cbranch_execz .LBB4_4732
.LBB4_4731:                             ;   in Loop: Header=BB4_4196 Depth=4
	v_and_b32_e32 v32, 7, v30
	v_ffbh_u32_e32 v22, v32
	v_min_u32_e32 v49, 32, v22
	v_subrev_u32_e32 v22, 28, v49
	v_lshlrev_b64 v[22:23], v22, v[30:31]
	v_and_b32_e32 v33, 0x7f, v30
	v_bfe_u32 v48, v30, 3, 4
	v_sub_u32_e32 v23, 29, v49
	v_and_b32_e32 v22, 7, v22
	v_cmp_gt_u32_e32 vcc, 8, v33
	v_cndmask_b32_e32 v23, v48, v23, vcc
	v_cndmask_b32_e32 v22, v32, v22, vcc
	v_lshlrev_b32_e32 v30, 24, v30
	v_lshlrev_b32_e32 v22, 20, v22
	v_and_b32_e32 v30, 0x80000000, v30
	v_lshl_add_u32 v23, v23, 23, v5
	v_or3_b32 v22, v30, v23, v22
	v_cmp_ne_u32_e32 vcc, s68, v33
	v_mov_b32_e32 v23, 0x7f800001
	v_cndmask_b32_e32 v48, v23, v22, vcc
.LBB4_4732:                             ;   in Loop: Header=BB4_4196 Depth=4
	s_or_b64 exec, exec, s[36:37]
	v_add_f32_e32 v48, v39, v48
	v_and_b32_e32 v22, 0x7f800000, v48
	v_mov_b32_e32 v23, v3
	v_cmp_ne_u64_e32 vcc, s[62:63], v[22:23]
                                        ; implicit-def: $vgpr39
	s_and_saveexec_b64 s[40:41], vcc
	s_xor_b64 s[36:37], exec, s[40:41]
	s_cbranch_execz .LBB4_4746
; %bb.4733:                             ;   in Loop: Header=BB4_4196 Depth=4
	v_and_b32_e32 v22, 0x7fffffff, v48
	v_mov_b32_e32 v23, v3
	v_cmp_gt_u64_e32 vcc, s[72:73], v[22:23]
	v_and_b32_sdwa v30, v48, s70 dst_sel:DWORD dst_unused:UNUSED_PAD src0_sel:BYTE_3 src1_sel:DWORD
                                        ; implicit-def: $vgpr39
	s_and_saveexec_b64 s[40:41], vcc
	s_xor_b64 s[38:39], exec, s[40:41]
	s_cbranch_execz .LBB4_4743
; %bb.4734:                             ;   in Loop: Header=BB4_4196 Depth=4
	v_mov_b32_e32 v39, 0
	v_cmp_ne_u32_e32 vcc, 0, v48
	s_and_saveexec_b64 s[48:49], vcc
	s_cbranch_execz .LBB4_4742
; %bb.4735:                             ;   in Loop: Header=BB4_4196 Depth=4
	v_bfe_u32 v39, v48, 23, 8
	v_cmp_gt_u32_e64 s[40:41], s71, v39
	v_sub_u32_e32 v23, 0x79, v39
	v_and_b32_e32 v22, 0x7fffff, v48
	v_cmp_eq_u32_e32 vcc, 0, v39
	v_cndmask_b32_e64 v23, 0, v23, s[40:41]
	v_mov_b32_e32 v33, 0x78
	v_or_b32_e32 v32, 0x800000, v22
	v_cndmask_b32_e32 v48, v23, v33, vcc
	v_cndmask_b32_e32 v22, v32, v22, vcc
	v_add_u32_e32 v32, 20, v48
	v_mov_b32_e32 v23, v3
	v_lshlrev_b64 v[32:33], v32, -1
	v_add_u32_e32 v49, 19, v48
	v_lshlrev_b64 v[49:50], v49, 1
	v_lshrrev_b64 v[46:47], v48, v[22:23]
	v_bfi_b32 v33, v33, 0, 0
	v_bfi_b32 v32, v32, 0, v22
	v_cmp_eq_u64_e64 s[40:41], v[32:33], v[49:50]
	v_mov_b32_e32 v57, v47
	v_mov_b32_e32 v56, v46
	s_and_saveexec_b64 s[50:51], s[40:41]
; %bb.4736:                             ;   in Loop: Header=BB4_4196 Depth=4
	v_bfe_u32 v22, v46, 20, 1
	v_add_co_u32_e64 v22, s[40:41], v46, v22
	v_add_co_u32_e64 v56, s[40:41], -1, v22
; %bb.4737:                             ;   in Loop: Header=BB4_4196 Depth=4
	s_or_b64 exec, exec, s[50:51]
	v_add_u32_e32 v22, 0xffffff81, v39
	v_mov_b32_e32 v23, 0xffffff82
	v_cndmask_b32_e32 v22, v22, v23, vcc
	v_lshrrev_b32_e32 v23, 23, v46
	v_add3_u32 v49, v48, v22, v23
	v_add_u32_e32 v48, 6, v49
	v_and_b32_e32 v22, 0xfffff, v56
	v_add_u32_e32 v46, v22, v46
	v_mov_b32_e32 v47, v3
	v_cmp_ne_u32_e32 vcc, 0, v48
                                        ; implicit-def: $vgpr39
	s_and_saveexec_b64 s[40:41], vcc
	s_xor_b64 s[40:41], exec, s[40:41]
; %bb.4738:                             ;   in Loop: Header=BB4_4196 Depth=4
	v_cmp_lt_u64_e32 vcc, s[74:75], v[46:47]
	v_add_u32_e32 v22, 7, v49
	v_cndmask_b32_e32 v39, v48, v22, vcc
	v_cndmask_b32_e64 v22, 0, 1, vcc
	v_lshrrev_b64 v[46:47], v22, v[46:47]
; %bb.4739:                             ;   in Loop: Header=BB4_4196 Depth=4
	s_andn2_saveexec_b64 s[40:41], s[40:41]
; %bb.4740:                             ;   in Loop: Header=BB4_4196 Depth=4
	v_bfe_u32 v39, v46, 23, 1
; %bb.4741:                             ;   in Loop: Header=BB4_4196 Depth=4
	s_or_b64 exec, exec, s[40:41]
	v_lshrrev_b64 v[22:23], 20, v[46:47]
	v_cmp_gt_i32_e32 vcc, 16, v39
	v_cndmask_b32_e32 v23, 0, v23, vcc
	v_cndmask_b32_e32 v22, 7, v22, vcc
	v_cmp_eq_u64_e64 s[40:41], 0, v[22:23]
	v_min_i32_e32 v23, 15, v39
	v_lshlrev_b32_e32 v23, 3, v23
	v_cmp_eq_u32_e32 vcc, 0, v39
	v_and_b32_e32 v23, 0xf8, v23
	v_and_or_b32 v22, v22, 7, v23
	s_and_b64 s[40:41], vcc, s[40:41]
	v_cndmask_b32_e64 v22, v22, 0, s[40:41]
	v_or_b32_e32 v39, v22, v30
.LBB4_4742:                             ;   in Loop: Header=BB4_4196 Depth=4
	s_or_b64 exec, exec, s[48:49]
                                        ; implicit-def: $vgpr30
.LBB4_4743:                             ;   in Loop: Header=BB4_4196 Depth=4
	s_andn2_saveexec_b64 s[40:41], s[38:39]
; %bb.4744:                             ;   in Loop: Header=BB4_4196 Depth=4
	v_or_b32_e32 v39, 0x7e, v30
; %bb.4745:                             ;   in Loop: Header=BB4_4196 Depth=4
	s_or_b64 exec, exec, s[40:41]
                                        ; implicit-def: $vgpr48
.LBB4_4746:                             ;   in Loop: Header=BB4_4196 Depth=4
	s_andn2_saveexec_b64 s[40:41], s[36:37]
; %bb.4747:                             ;   in Loop: Header=BB4_4196 Depth=4
	v_or_b32_sdwa v39, v48, s68 dst_sel:DWORD dst_unused:UNUSED_PAD src0_sel:BYTE_3 src1_sel:DWORD
; %bb.4748:                             ;   in Loop: Header=BB4_4196 Depth=4
	s_or_b64 exec, exec, s[40:41]
	v_cmp_lt_u32_e32 vcc, s57, v2
	v_mov_b32_e32 v48, 0
	s_and_saveexec_b64 s[40:41], vcc
	s_cbranch_execz .LBB4_4754
; %bb.4749:                             ;   in Loop: Header=BB4_4196 Depth=4
	v_lshrrev_b32_e32 v30, 24, v2
	v_cmp_ne_u32_sdwa vcc, v2, s70 src0_sel:BYTE_3 src1_sel:DWORD
	v_bfrev_b32_e32 v48, 1
	s_and_saveexec_b64 s[36:37], vcc
	s_cbranch_execz .LBB4_4753
; %bb.4750:                             ;   in Loop: Header=BB4_4196 Depth=4
	v_bfe_u32 v49, v2, 24, 7
	v_cmp_ne_u32_e32 vcc, s68, v49
	v_mov_b32_e32 v48, 0x7f800001
	s_and_saveexec_b64 s[38:39], vcc
	s_cbranch_execz .LBB4_4752
; %bb.4751:                             ;   in Loop: Header=BB4_4196 Depth=4
	v_and_b32_e32 v32, 7, v30
	v_ffbh_u32_e32 v22, v32
	v_min_u32_e32 v48, 32, v22
	v_subrev_u32_e32 v22, 28, v48
	v_lshlrev_b64 v[22:23], v22, v[30:31]
	v_lshrrev_b32_e32 v33, 3, v49
	v_cmp_gt_u32_e32 vcc, 8, v49
	v_sub_u32_e32 v23, 29, v48
	v_and_b32_e32 v22, 7, v22
	v_mov_b32_e32 v30, 24
	v_cndmask_b32_e32 v23, v33, v23, vcc
	v_cndmask_b32_e32 v22, v32, v22, vcc
	v_lshlrev_b32_sdwa v2, v30, v2 dst_sel:DWORD dst_unused:UNUSED_PAD src0_sel:DWORD src1_sel:BYTE_3
	v_lshlrev_b32_e32 v22, 20, v22
	v_and_b32_e32 v2, 0x80000000, v2
	v_lshl_add_u32 v23, v23, 23, v5
	v_or3_b32 v48, v2, v23, v22
.LBB4_4752:                             ;   in Loop: Header=BB4_4196 Depth=4
	s_or_b64 exec, exec, s[38:39]
.LBB4_4753:                             ;   in Loop: Header=BB4_4196 Depth=4
	s_or_b64 exec, exec, s[36:37]
.LBB4_4754:                             ;   in Loop: Header=BB4_4196 Depth=4
	s_or_b64 exec, exec, s[40:41]
	v_bfe_u32 v30, v9, 24, 3
	v_ffbh_u32_e32 v22, v30
	v_min_u32_e32 v49, 32, v22
	v_lshrrev_b32_e32 v2, 24, v9
	v_subrev_u32_e32 v22, 28, v49
	v_lshlrev_b64 v[22:23], v22, v[2:3]
	v_bfe_u32 v32, v9, 24, 7
	v_bfe_u32 v33, v2, 3, 4
	v_sub_u32_e32 v23, 29, v49
	v_and_b32_e32 v22, 7, v22
	v_cmp_gt_u32_e32 vcc, 8, v32
	v_cndmask_b32_e32 v23, v33, v23, vcc
	v_cndmask_b32_e32 v22, v30, v22, vcc
	v_lshlrev_b32_e32 v22, 20, v22
	v_and_b32_e32 v30, 0x80000000, v9
	v_lshl_add_u32 v23, v23, 23, v5
	v_or3_b32 v22, v30, v23, v22
	v_cmp_ne_u32_e32 vcc, s68, v32
	v_mov_b32_e32 v23, 0x7f800001
	v_cndmask_b32_e32 v22, v23, v22, vcc
	v_cmp_ne_u32_e32 vcc, s70, v2
	v_bfrev_b32_e32 v2, 1
	v_cndmask_b32_e32 v2, v2, v22, vcc
	v_cmp_lt_u64_e32 vcc, s[56:57], v[8:9]
                                        ; implicit-def: $vgpr30
	v_cndmask_b32_e32 v2, 0, v2, vcc
	v_add_f32_e32 v8, v2, v48
	v_and_b32_e32 v2, 0x7f800000, v8
	v_cmp_ne_u64_e32 vcc, s[62:63], v[2:3]
	s_and_saveexec_b64 s[40:41], vcc
	s_xor_b64 s[36:37], exec, s[40:41]
	s_cbranch_execz .LBB4_4768
; %bb.4755:                             ;   in Loop: Header=BB4_4196 Depth=4
	v_and_b32_e32 v2, 0x7fffffff, v8
	v_cmp_gt_u64_e32 vcc, s[72:73], v[2:3]
	v_and_b32_sdwa v48, v8, s70 dst_sel:DWORD dst_unused:UNUSED_PAD src0_sel:BYTE_3 src1_sel:DWORD
                                        ; implicit-def: $vgpr30
	s_and_saveexec_b64 s[40:41], vcc
	s_xor_b64 s[38:39], exec, s[40:41]
	s_cbranch_execz .LBB4_4765
; %bb.4756:                             ;   in Loop: Header=BB4_4196 Depth=4
	v_mov_b32_e32 v30, 0
	v_cmp_ne_u32_e32 vcc, 0, v8
	s_and_saveexec_b64 s[48:49], vcc
	s_cbranch_execz .LBB4_4764
; %bb.4757:                             ;   in Loop: Header=BB4_4196 Depth=4
	v_bfe_u32 v30, v8, 23, 8
	v_and_b32_e32 v2, 0x7fffff, v8
	v_cmp_gt_u32_e64 s[40:41], s71, v30
	v_sub_u32_e32 v8, 0x79, v30
	v_cmp_eq_u32_e32 vcc, 0, v30
	v_cndmask_b32_e64 v8, 0, v8, s[40:41]
	v_mov_b32_e32 v22, 0x78
	v_cndmask_b32_e32 v49, v8, v22, vcc
	v_or_b32_e32 v9, 0x800000, v2
	v_add_u32_e32 v8, 20, v49
	v_cndmask_b32_e32 v2, v9, v2, vcc
	v_lshlrev_b64 v[8:9], v8, -1
	v_add_u32_e32 v22, 19, v49
	v_lshlrev_b64 v[22:23], v22, 1
	v_bfi_b32 v9, v9, 0, 0
	v_bfi_b32 v8, v8, 0, v2
	v_cmp_eq_u64_e64 s[40:41], v[8:9], v[22:23]
	v_lshrrev_b64 v[8:9], v49, v[2:3]
	v_mov_b32_e32 v47, v9
	v_mov_b32_e32 v46, v8
	s_and_saveexec_b64 s[50:51], s[40:41]
; %bb.4758:                             ;   in Loop: Header=BB4_4196 Depth=4
	v_bfe_u32 v2, v8, 20, 1
	v_add_co_u32_e64 v2, s[40:41], v8, v2
	v_add_co_u32_e64 v46, s[40:41], -1, v2
; %bb.4759:                             ;   in Loop: Header=BB4_4196 Depth=4
	s_or_b64 exec, exec, s[50:51]
	v_add_u32_e32 v2, 0xffffff81, v30
	v_mov_b32_e32 v9, 0xffffff82
	v_cndmask_b32_e32 v2, v2, v9, vcc
	v_lshrrev_b32_e32 v9, 23, v8
	v_add3_u32 v50, v49, v2, v9
	v_add_u32_e32 v49, 6, v50
	v_and_b32_e32 v2, 0xfffff, v46
	v_add_u32_e32 v2, v2, v8
	v_cmp_ne_u32_e32 vcc, 0, v49
                                        ; implicit-def: $vgpr8_vgpr9
                                        ; implicit-def: $vgpr30
	s_and_saveexec_b64 s[40:41], vcc
	s_xor_b64 s[40:41], exec, s[40:41]
; %bb.4760:                             ;   in Loop: Header=BB4_4196 Depth=4
	v_cmp_lt_u64_e32 vcc, s[74:75], v[2:3]
	v_add_u32_e32 v8, 7, v50
	v_cndmask_b32_e32 v30, v49, v8, vcc
	v_cndmask_b32_e64 v8, 0, 1, vcc
	v_lshrrev_b64 v[8:9], v8, v[2:3]
; %bb.4761:                             ;   in Loop: Header=BB4_4196 Depth=4
	s_andn2_saveexec_b64 s[40:41], s[40:41]
; %bb.4762:                             ;   in Loop: Header=BB4_4196 Depth=4
	v_mov_b32_e32 v9, v3
	v_bfe_u32 v30, v2, 23, 1
	v_mov_b32_e32 v8, v2
; %bb.4763:                             ;   in Loop: Header=BB4_4196 Depth=4
	s_or_b64 exec, exec, s[40:41]
	v_lshrrev_b64 v[8:9], 20, v[8:9]
	v_cmp_gt_i32_e32 vcc, 16, v30
	v_cndmask_b32_e32 v9, 0, v9, vcc
	v_cndmask_b32_e32 v8, 7, v8, vcc
	v_min_i32_e32 v2, 15, v30
	v_cmp_eq_u64_e64 s[40:41], 0, v[8:9]
	v_lshlrev_b32_e32 v2, 3, v2
	v_cmp_eq_u32_e32 vcc, 0, v30
	v_and_b32_e32 v2, 0xf8, v2
	v_and_or_b32 v2, v8, 7, v2
	s_and_b64 s[40:41], vcc, s[40:41]
	v_cndmask_b32_e64 v2, v2, 0, s[40:41]
	v_or_b32_e32 v30, v2, v48
.LBB4_4764:                             ;   in Loop: Header=BB4_4196 Depth=4
	s_or_b64 exec, exec, s[48:49]
                                        ; implicit-def: $vgpr48
.LBB4_4765:                             ;   in Loop: Header=BB4_4196 Depth=4
	s_andn2_saveexec_b64 s[40:41], s[38:39]
; %bb.4766:                             ;   in Loop: Header=BB4_4196 Depth=4
	v_or_b32_e32 v30, 0x7e, v48
; %bb.4767:                             ;   in Loop: Header=BB4_4196 Depth=4
	s_or_b64 exec, exec, s[40:41]
                                        ; implicit-def: $vgpr8
.LBB4_4768:                             ;   in Loop: Header=BB4_4196 Depth=4
	s_andn2_saveexec_b64 s[40:41], s[36:37]
; %bb.4769:                             ;   in Loop: Header=BB4_4196 Depth=4
	v_or_b32_sdwa v30, v8, s68 dst_sel:DWORD dst_unused:UNUSED_PAD src0_sel:BYTE_3 src1_sel:DWORD
; %bb.4770:                             ;   in Loop: Header=BB4_4196 Depth=4
	s_or_b64 exec, exec, s[40:41]
	v_lshl_or_b32 v31, v31, 8, v24
	v_lshlrev_b32_e32 v2, 16, v36
	v_lshlrev_b32_e32 v8, 24, v38
	v_or3_b32 v2, v2, v8, v31
	v_cmp_ne_u32_e32 vcc, 0, v24
	v_mov_b32_e32 v8, 0
	s_and_saveexec_b64 s[40:41], vcc
	s_cbranch_execz .LBB4_4776
; %bb.4771:                             ;   in Loop: Header=BB4_4196 Depth=4
	v_cmp_ne_u32_e32 vcc, s70, v24
	v_bfrev_b32_e32 v8, 1
	s_and_saveexec_b64 s[36:37], vcc
	s_cbranch_execz .LBB4_4775
; %bb.4772:                             ;   in Loop: Header=BB4_4196 Depth=4
	v_and_b32_e32 v9, 0x7f, v24
	v_cmp_ne_u32_e32 vcc, s68, v9
	v_mov_b32_e32 v8, 0x7f800001
	s_and_saveexec_b64 s[38:39], vcc
	s_cbranch_execz .LBB4_4774
; %bb.4773:                             ;   in Loop: Header=BB4_4196 Depth=4
	v_and_b32_e32 v8, 7, v24
	v_ffbh_u32_e32 v8, v8
	v_min_u32_e32 v8, 32, v8
	v_lshrrev_b32_e32 v22, 3, v9
	v_cmp_gt_u32_e32 vcc, 8, v9
	v_subrev_u32_e32 v9, 28, v8
	v_sub_u32_e32 v8, 29, v8
	v_cndmask_b32_e32 v22, v22, v8, vcc
	v_cndmask_b32_e32 v8, 0, v9, vcc
	v_lshlrev_b64 v[8:9], v8, v[2:3]
	v_lshlrev_b32_e32 v9, 24, v2
	v_lshlrev_b32_e32 v8, 20, v8
	v_and_b32_e32 v8, 0x700000, v8
	v_and_b32_e32 v9, 0x80000000, v9
	v_lshl_add_u32 v22, v22, 23, v5
	v_or3_b32 v8, v9, v22, v8
.LBB4_4774:                             ;   in Loop: Header=BB4_4196 Depth=4
	s_or_b64 exec, exec, s[38:39]
.LBB4_4775:                             ;   in Loop: Header=BB4_4196 Depth=4
	s_or_b64 exec, exec, s[36:37]
.LBB4_4776:                             ;   in Loop: Header=BB4_4196 Depth=4
	s_or_b64 exec, exec, s[40:41]
	v_cmp_gt_i16_sdwa vcc, v10, s68 src0_sel:BYTE_0 src1_sel:DWORD
	s_mov_b64 s[40:41], 0
	s_and_saveexec_b64 s[36:37], vcc
	s_xor_b64 vcc, exec, s[36:37]
	s_cbranch_execz .LBB4_4994
; %bb.4777:                             ;   in Loop: Header=BB4_4196 Depth=4
	v_cmp_eq_u16_sdwa s[38:39], v10, s70 src0_sel:BYTE_0 src1_sel:DWORD
	s_mov_b64 s[40:41], -1
	s_and_saveexec_b64 s[36:37], s[38:39]
; %bb.4778:                             ;   in Loop: Header=BB4_4196 Depth=4
	s_xor_b64 s[40:41], exec, -1
; %bb.4779:                             ;   in Loop: Header=BB4_4196 Depth=4
	s_or_b64 exec, exec, s[36:37]
	s_and_b64 s[40:41], s[40:41], exec
	s_or_saveexec_b64 vcc, vcc
	v_bfrev_b32_e32 v9, 1
	s_xor_b64 exec, exec, vcc
	s_cbranch_execnz .LBB4_4995
.LBB4_4780:                             ;   in Loop: Header=BB4_4196 Depth=4
	s_or_b64 exec, exec, vcc
	s_and_saveexec_b64 s[36:37], s[40:41]
	s_cbranch_execz .LBB4_4782
.LBB4_4781:                             ;   in Loop: Header=BB4_4196 Depth=4
	v_and_b32_e32 v9, 7, v10
	v_ffbh_u32_e32 v9, v9
	v_and_b32_e32 v24, 0x7f, v10
	v_min_u32_e32 v9, 32, v9
	v_bfe_u32 v22, v10, 3, 4
	v_subrev_u32_e32 v23, 28, v9
	v_sub_u32_e32 v9, 29, v9
	v_cmp_gt_u32_e32 vcc, 8, v24
	v_cndmask_b32_e32 v9, v22, v9, vcc
	v_cndmask_b32_e32 v22, 0, v23, vcc
	v_lshlrev_b64 v[22:23], v22, v[10:11]
	v_lshlrev_b32_e32 v23, 24, v10
	v_lshlrev_b32_e32 v22, 20, v22
	v_and_b32_e32 v22, 0x700000, v22
	v_and_b32_e32 v23, 0x80000000, v23
	v_lshl_add_u32 v9, v9, 23, v5
	v_or3_b32 v9, v23, v9, v22
	v_cmp_ne_u32_e32 vcc, s68, v24
	v_mov_b32_e32 v22, 0x7f800001
	v_cndmask_b32_e32 v9, v22, v9, vcc
.LBB4_4782:                             ;   in Loop: Header=BB4_4196 Depth=4
	s_or_b64 exec, exec, s[36:37]
	v_add_f32_e32 v8, v8, v9
	v_and_b32_e32 v22, 0x7f800000, v8
	v_mov_b32_e32 v23, v3
	v_cmp_ne_u64_e32 vcc, s[62:63], v[22:23]
                                        ; implicit-def: $vgpr24
	s_and_saveexec_b64 s[40:41], vcc
	s_xor_b64 s[36:37], exec, s[40:41]
	s_cbranch_execz .LBB4_4796
; %bb.4783:                             ;   in Loop: Header=BB4_4196 Depth=4
	v_and_b32_e32 v22, 0x7fffffff, v8
	v_mov_b32_e32 v23, v3
	v_cmp_gt_u64_e32 vcc, s[72:73], v[22:23]
	v_and_b32_sdwa v36, v8, s70 dst_sel:DWORD dst_unused:UNUSED_PAD src0_sel:BYTE_3 src1_sel:DWORD
                                        ; implicit-def: $vgpr24
	s_and_saveexec_b64 s[40:41], vcc
	s_xor_b64 s[38:39], exec, s[40:41]
	s_cbranch_execz .LBB4_4793
; %bb.4784:                             ;   in Loop: Header=BB4_4196 Depth=4
	v_mov_b32_e32 v24, 0
	v_cmp_ne_u32_e32 vcc, 0, v8
	s_and_saveexec_b64 s[48:49], vcc
	s_cbranch_execz .LBB4_4792
; %bb.4785:                             ;   in Loop: Header=BB4_4196 Depth=4
	v_bfe_u32 v24, v8, 23, 8
	v_and_b32_e32 v9, 0x7fffff, v8
	v_cmp_gt_u32_e64 s[40:41], s71, v24
	v_sub_u32_e32 v8, 0x79, v24
	v_cmp_eq_u32_e32 vcc, 0, v24
	v_cndmask_b32_e64 v8, 0, v8, s[40:41]
	v_mov_b32_e32 v23, 0x78
	v_or_b32_e32 v22, 0x800000, v9
	v_cndmask_b32_e32 v38, v8, v23, vcc
	v_cndmask_b32_e32 v8, v22, v9, vcc
	v_add_u32_e32 v22, 20, v38
	v_lshlrev_b64 v[22:23], v22, -1
	v_mov_b32_e32 v9, v3
	v_add_u32_e32 v32, 19, v38
	v_bfi_b32 v22, v22, 0, v8
	v_lshlrev_b64 v[32:33], v32, 1
	v_lshrrev_b64 v[8:9], v38, v[8:9]
	v_bfi_b32 v23, v23, 0, 0
	v_cmp_eq_u64_e64 s[40:41], v[22:23], v[32:33]
	v_mov_b32_e32 v47, v9
	v_mov_b32_e32 v46, v8
	s_and_saveexec_b64 s[50:51], s[40:41]
; %bb.4786:                             ;   in Loop: Header=BB4_4196 Depth=4
	v_bfe_u32 v9, v8, 20, 1
	v_add_co_u32_e64 v9, s[40:41], v8, v9
	v_add_co_u32_e64 v46, s[40:41], -1, v9
; %bb.4787:                             ;   in Loop: Header=BB4_4196 Depth=4
	s_or_b64 exec, exec, s[50:51]
	v_add_u32_e32 v9, 0xffffff81, v24
	v_mov_b32_e32 v22, 0xffffff82
	v_cndmask_b32_e32 v9, v9, v22, vcc
	v_lshrrev_b32_e32 v22, 23, v8
	v_add3_u32 v48, v38, v9, v22
	v_add_u32_e32 v38, 6, v48
	v_and_b32_e32 v9, 0xfffff, v46
	v_add_u32_e32 v8, v9, v8
	v_mov_b32_e32 v9, v3
	v_cmp_ne_u32_e32 vcc, 0, v38
                                        ; implicit-def: $vgpr24
	s_and_saveexec_b64 s[40:41], vcc
	s_xor_b64 s[40:41], exec, s[40:41]
; %bb.4788:                             ;   in Loop: Header=BB4_4196 Depth=4
	v_cmp_lt_u64_e32 vcc, s[74:75], v[8:9]
	v_add_u32_e32 v22, 7, v48
	v_cndmask_b32_e32 v24, v38, v22, vcc
	v_cndmask_b32_e64 v22, 0, 1, vcc
	v_lshrrev_b64 v[8:9], v22, v[8:9]
; %bb.4789:                             ;   in Loop: Header=BB4_4196 Depth=4
	s_andn2_saveexec_b64 s[40:41], s[40:41]
; %bb.4790:                             ;   in Loop: Header=BB4_4196 Depth=4
	v_bfe_u32 v24, v8, 23, 1
; %bb.4791:                             ;   in Loop: Header=BB4_4196 Depth=4
	s_or_b64 exec, exec, s[40:41]
	v_lshrrev_b64 v[8:9], 20, v[8:9]
	v_cmp_gt_i32_e32 vcc, 16, v24
	v_cndmask_b32_e32 v9, 0, v9, vcc
	v_cndmask_b32_e32 v8, 7, v8, vcc
	v_cmp_eq_u64_e64 s[40:41], 0, v[8:9]
	v_min_i32_e32 v9, 15, v24
	v_lshlrev_b32_e32 v9, 3, v9
	v_cmp_eq_u32_e32 vcc, 0, v24
	v_and_b32_e32 v9, 0xf8, v9
	v_and_or_b32 v8, v8, 7, v9
	s_and_b64 s[40:41], vcc, s[40:41]
	v_cndmask_b32_e64 v8, v8, 0, s[40:41]
	v_or_b32_e32 v24, v8, v36
.LBB4_4792:                             ;   in Loop: Header=BB4_4196 Depth=4
	s_or_b64 exec, exec, s[48:49]
                                        ; implicit-def: $vgpr36
.LBB4_4793:                             ;   in Loop: Header=BB4_4196 Depth=4
	s_andn2_saveexec_b64 s[40:41], s[38:39]
; %bb.4794:                             ;   in Loop: Header=BB4_4196 Depth=4
	v_or_b32_e32 v24, 0x7e, v36
; %bb.4795:                             ;   in Loop: Header=BB4_4196 Depth=4
	s_or_b64 exec, exec, s[40:41]
                                        ; implicit-def: $vgpr8
.LBB4_4796:                             ;   in Loop: Header=BB4_4196 Depth=4
	s_andn2_saveexec_b64 s[40:41], s[36:37]
; %bb.4797:                             ;   in Loop: Header=BB4_4196 Depth=4
	v_or_b32_sdwa v24, v8, s68 dst_sel:DWORD dst_unused:UNUSED_PAD src0_sel:BYTE_3 src1_sel:DWORD
; %bb.4798:                             ;   in Loop: Header=BB4_4196 Depth=4
	s_or_b64 exec, exec, s[40:41]
	v_lshrrev_b16_e32 v8, 8, v31
	v_cmp_ne_u16_e32 vcc, 0, v8
	v_mov_b32_e32 v36, 0
	s_and_saveexec_b64 s[40:41], vcc
	s_cbranch_execz .LBB4_4804
; %bb.4799:                             ;   in Loop: Header=BB4_4196 Depth=4
	v_cmp_ne_u16_e32 vcc, s70, v8
	v_bfrev_b32_e32 v36, 1
	s_and_saveexec_b64 s[36:37], vcc
	s_cbranch_execz .LBB4_4803
; %bb.4800:                             ;   in Loop: Header=BB4_4196 Depth=4
	v_and_b32_e32 v9, 0x7f, v8
	v_cmp_ne_u32_e32 vcc, s68, v9
	v_mov_b32_e32 v36, 0x7f800001
	s_and_saveexec_b64 s[38:39], vcc
	s_cbranch_execz .LBB4_4802
; %bb.4801:                             ;   in Loop: Header=BB4_4196 Depth=4
	v_and_b32_e32 v22, 7, v8
	v_lshrrev_b32_e32 v23, 3, v9
	v_cmp_gt_u32_e32 vcc, 8, v9
	v_ffbh_u32_e32 v9, v22
	v_min_u32_e32 v32, 32, v9
	v_subrev_u32_e32 v9, 28, v32
	v_lshlrev_b64 v[8:9], v9, v[8:9]
	v_sub_u32_e32 v9, 29, v32
	v_and_b32_e32 v8, 7, v8
	v_cndmask_b32_e32 v9, v23, v9, vcc
	v_cndmask_b32_e32 v8, v22, v8, vcc
	v_lshlrev_b32_e32 v22, 16, v31
	v_lshlrev_b32_e32 v8, 20, v8
	v_and_b32_e32 v22, 0x80000000, v22
	v_lshl_add_u32 v9, v9, 23, v5
	v_or3_b32 v36, v22, v9, v8
.LBB4_4802:                             ;   in Loop: Header=BB4_4196 Depth=4
	s_or_b64 exec, exec, s[38:39]
.LBB4_4803:                             ;   in Loop: Header=BB4_4196 Depth=4
	s_or_b64 exec, exec, s[36:37]
.LBB4_4804:                             ;   in Loop: Header=BB4_4196 Depth=4
	s_or_b64 exec, exec, s[40:41]
	v_lshrrev_b16_e32 v8, 8, v10
	v_cmp_lt_i16_e32 vcc, s68, v8
	s_mov_b64 s[40:41], 0
	s_and_saveexec_b64 s[36:37], vcc
	s_xor_b64 s[36:37], exec, s[36:37]
	s_cbranch_execz .LBB4_4996
; %bb.4805:                             ;   in Loop: Header=BB4_4196 Depth=4
	v_cmp_eq_u16_e32 vcc, s70, v8
	s_mov_b64 s[40:41], -1
	s_and_saveexec_b64 s[38:39], vcc
; %bb.4806:                             ;   in Loop: Header=BB4_4196 Depth=4
	s_xor_b64 s[40:41], exec, -1
; %bb.4807:                             ;   in Loop: Header=BB4_4196 Depth=4
	s_or_b64 exec, exec, s[38:39]
	s_and_b64 s[40:41], s[40:41], exec
	s_or_saveexec_b64 s[36:37], s[36:37]
	v_bfrev_b32_e32 v9, 1
	s_xor_b64 exec, exec, s[36:37]
	s_cbranch_execnz .LBB4_4997
.LBB4_4808:                             ;   in Loop: Header=BB4_4196 Depth=4
	s_or_b64 exec, exec, s[36:37]
	s_and_saveexec_b64 s[36:37], s[40:41]
	s_cbranch_execz .LBB4_4810
.LBB4_4809:                             ;   in Loop: Header=BB4_4196 Depth=4
	v_and_b32_e32 v31, 7, v8
	v_ffbh_u32_e32 v22, v31
	v_min_u32_e32 v38, 32, v22
	v_mov_b32_e32 v9, v3
	v_subrev_u32_e32 v22, 28, v38
	v_lshlrev_b64 v[22:23], v22, v[8:9]
	v_and_b32_e32 v32, 0x7f, v8
	v_bfe_u32 v33, v8, 3, 4
	v_sub_u32_e32 v9, 29, v38
	v_and_b32_e32 v22, 7, v22
	v_cmp_gt_u32_e32 vcc, 8, v32
	v_cndmask_b32_e32 v9, v33, v9, vcc
	v_cndmask_b32_e32 v22, v31, v22, vcc
	v_lshlrev_b32_e32 v8, 24, v8
	v_lshlrev_b32_e32 v22, 20, v22
	v_and_b32_e32 v8, 0x80000000, v8
	v_lshl_add_u32 v9, v9, 23, v5
	v_or3_b32 v8, v8, v9, v22
	v_cmp_ne_u32_e32 vcc, s68, v32
	v_mov_b32_e32 v9, 0x7f800001
	v_cndmask_b32_e32 v9, v9, v8, vcc
.LBB4_4810:                             ;   in Loop: Header=BB4_4196 Depth=4
	s_or_b64 exec, exec, s[36:37]
	v_add_f32_e32 v8, v36, v9
	v_and_b32_e32 v22, 0x7f800000, v8
	v_mov_b32_e32 v23, v3
	v_cmp_ne_u64_e32 vcc, s[62:63], v[22:23]
                                        ; implicit-def: $vgpr31
	s_and_saveexec_b64 s[40:41], vcc
	s_xor_b64 s[36:37], exec, s[40:41]
	s_cbranch_execz .LBB4_4824
; %bb.4811:                             ;   in Loop: Header=BB4_4196 Depth=4
	v_and_b32_e32 v22, 0x7fffffff, v8
	v_mov_b32_e32 v23, v3
	v_cmp_gt_u64_e32 vcc, s[72:73], v[22:23]
	v_and_b32_sdwa v36, v8, s70 dst_sel:DWORD dst_unused:UNUSED_PAD src0_sel:BYTE_3 src1_sel:DWORD
                                        ; implicit-def: $vgpr31
	s_and_saveexec_b64 s[40:41], vcc
	s_xor_b64 s[38:39], exec, s[40:41]
	s_cbranch_execz .LBB4_4821
; %bb.4812:                             ;   in Loop: Header=BB4_4196 Depth=4
	v_mov_b32_e32 v31, 0
	v_cmp_ne_u32_e32 vcc, 0, v8
	s_and_saveexec_b64 s[48:49], vcc
	s_cbranch_execz .LBB4_4820
; %bb.4813:                             ;   in Loop: Header=BB4_4196 Depth=4
	v_bfe_u32 v31, v8, 23, 8
	v_and_b32_e32 v9, 0x7fffff, v8
	v_cmp_gt_u32_e64 s[40:41], s71, v31
	v_sub_u32_e32 v8, 0x79, v31
	v_cmp_eq_u32_e32 vcc, 0, v31
	v_cndmask_b32_e64 v8, 0, v8, s[40:41]
	v_mov_b32_e32 v23, 0x78
	v_or_b32_e32 v22, 0x800000, v9
	v_cndmask_b32_e32 v38, v8, v23, vcc
	v_cndmask_b32_e32 v8, v22, v9, vcc
	v_add_u32_e32 v22, 20, v38
	v_lshlrev_b64 v[22:23], v22, -1
	v_mov_b32_e32 v9, v3
	v_add_u32_e32 v32, 19, v38
	v_bfi_b32 v22, v22, 0, v8
	v_lshlrev_b64 v[32:33], v32, 1
	v_lshrrev_b64 v[8:9], v38, v[8:9]
	v_bfi_b32 v23, v23, 0, 0
	v_cmp_eq_u64_e64 s[40:41], v[22:23], v[32:33]
	v_mov_b32_e32 v47, v9
	v_mov_b32_e32 v46, v8
	s_and_saveexec_b64 s[50:51], s[40:41]
; %bb.4814:                             ;   in Loop: Header=BB4_4196 Depth=4
	v_bfe_u32 v9, v8, 20, 1
	v_add_co_u32_e64 v9, s[40:41], v8, v9
	v_add_co_u32_e64 v46, s[40:41], -1, v9
; %bb.4815:                             ;   in Loop: Header=BB4_4196 Depth=4
	s_or_b64 exec, exec, s[50:51]
	v_add_u32_e32 v9, 0xffffff81, v31
	v_mov_b32_e32 v22, 0xffffff82
	v_cndmask_b32_e32 v9, v9, v22, vcc
	v_lshrrev_b32_e32 v22, 23, v8
	v_add3_u32 v48, v38, v9, v22
	v_add_u32_e32 v38, 6, v48
	v_and_b32_e32 v9, 0xfffff, v46
	v_add_u32_e32 v8, v9, v8
	v_mov_b32_e32 v9, v3
	v_cmp_ne_u32_e32 vcc, 0, v38
                                        ; implicit-def: $vgpr31
	s_and_saveexec_b64 s[40:41], vcc
	s_xor_b64 s[40:41], exec, s[40:41]
; %bb.4816:                             ;   in Loop: Header=BB4_4196 Depth=4
	v_cmp_lt_u64_e32 vcc, s[74:75], v[8:9]
	v_add_u32_e32 v22, 7, v48
	v_cndmask_b32_e32 v31, v38, v22, vcc
	v_cndmask_b32_e64 v22, 0, 1, vcc
	v_lshrrev_b64 v[8:9], v22, v[8:9]
; %bb.4817:                             ;   in Loop: Header=BB4_4196 Depth=4
	s_andn2_saveexec_b64 s[40:41], s[40:41]
; %bb.4818:                             ;   in Loop: Header=BB4_4196 Depth=4
	v_bfe_u32 v31, v8, 23, 1
; %bb.4819:                             ;   in Loop: Header=BB4_4196 Depth=4
	s_or_b64 exec, exec, s[40:41]
	v_lshrrev_b64 v[8:9], 20, v[8:9]
	v_cmp_gt_i32_e32 vcc, 16, v31
	v_cndmask_b32_e32 v9, 0, v9, vcc
	v_cndmask_b32_e32 v8, 7, v8, vcc
	v_cmp_eq_u64_e64 s[40:41], 0, v[8:9]
	v_min_i32_e32 v9, 15, v31
	v_lshlrev_b32_e32 v9, 3, v9
	v_cmp_eq_u32_e32 vcc, 0, v31
	v_and_b32_e32 v9, 0xf8, v9
	v_and_or_b32 v8, v8, 7, v9
	s_and_b64 s[40:41], vcc, s[40:41]
	v_cndmask_b32_e64 v8, v8, 0, s[40:41]
	v_or_b32_e32 v31, v8, v36
.LBB4_4820:                             ;   in Loop: Header=BB4_4196 Depth=4
	s_or_b64 exec, exec, s[48:49]
                                        ; implicit-def: $vgpr36
.LBB4_4821:                             ;   in Loop: Header=BB4_4196 Depth=4
	s_andn2_saveexec_b64 s[40:41], s[38:39]
; %bb.4822:                             ;   in Loop: Header=BB4_4196 Depth=4
	v_or_b32_e32 v31, 0x7e, v36
; %bb.4823:                             ;   in Loop: Header=BB4_4196 Depth=4
	s_or_b64 exec, exec, s[40:41]
                                        ; implicit-def: $vgpr8
.LBB4_4824:                             ;   in Loop: Header=BB4_4196 Depth=4
	s_andn2_saveexec_b64 s[40:41], s[36:37]
; %bb.4825:                             ;   in Loop: Header=BB4_4196 Depth=4
	v_or_b32_sdwa v31, v8, s68 dst_sel:DWORD dst_unused:UNUSED_PAD src0_sel:BYTE_3 src1_sel:DWORD
; %bb.4826:                             ;   in Loop: Header=BB4_4196 Depth=4
	s_or_b64 exec, exec, s[40:41]
	v_lshrrev_b32_e32 v8, 16, v2
	v_cmp_ne_u16_sdwa vcc, v8, v3 src0_sel:BYTE_0 src1_sel:DWORD
	v_mov_b32_e32 v9, 0
	s_and_saveexec_b64 s[40:41], vcc
	s_cbranch_execz .LBB4_4832
; %bb.4827:                             ;   in Loop: Header=BB4_4196 Depth=4
	v_cmp_ne_u16_sdwa vcc, v8, s70 src0_sel:BYTE_0 src1_sel:DWORD
	v_bfrev_b32_e32 v9, 1
	s_and_saveexec_b64 s[36:37], vcc
	s_cbranch_execz .LBB4_4831
; %bb.4828:                             ;   in Loop: Header=BB4_4196 Depth=4
	v_bfe_u32 v36, v2, 16, 7
	v_cmp_ne_u32_e32 vcc, s68, v36
	v_mov_b32_e32 v9, 0x7f800001
	s_and_saveexec_b64 s[38:39], vcc
	s_cbranch_execz .LBB4_4830
; %bb.4829:                             ;   in Loop: Header=BB4_4196 Depth=4
	v_and_b32_e32 v9, 7, v8
	v_ffbh_u32_e32 v22, v9
	v_min_u32_e32 v33, 32, v22
	v_subrev_u32_e32 v22, 28, v33
	v_lshlrev_b64 v[22:23], v22, v[8:9]
	v_lshrrev_b32_e32 v32, 3, v36
	v_cmp_gt_u32_e32 vcc, 8, v36
	v_sub_u32_e32 v23, 29, v33
	v_and_b32_e32 v22, 7, v22
	v_cndmask_b32_e32 v23, v32, v23, vcc
	v_cndmask_b32_e32 v9, v9, v22, vcc
	v_lshlrev_b32_e32 v8, 24, v8
	v_lshlrev_b32_e32 v9, 20, v9
	v_and_b32_e32 v8, 0x80000000, v8
	v_lshl_add_u32 v22, v23, 23, v5
	v_or3_b32 v9, v8, v22, v9
.LBB4_4830:                             ;   in Loop: Header=BB4_4196 Depth=4
	s_or_b64 exec, exec, s[38:39]
.LBB4_4831:                             ;   in Loop: Header=BB4_4196 Depth=4
	s_or_b64 exec, exec, s[36:37]
.LBB4_4832:                             ;   in Loop: Header=BB4_4196 Depth=4
	s_or_b64 exec, exec, s[40:41]
	v_lshrrev_b32_e32 v8, 16, v10
	v_cmp_gt_i16_sdwa vcc, v8, s68 src0_sel:BYTE_0 src1_sel:DWORD
	s_mov_b64 s[40:41], 0
	s_and_saveexec_b64 s[36:37], vcc
	s_xor_b64 vcc, exec, s[36:37]
	s_cbranch_execz .LBB4_4998
; %bb.4833:                             ;   in Loop: Header=BB4_4196 Depth=4
	v_cmp_eq_u16_sdwa s[38:39], v8, s70 src0_sel:BYTE_0 src1_sel:DWORD
	s_mov_b64 s[40:41], -1
	s_and_saveexec_b64 s[36:37], s[38:39]
; %bb.4834:                             ;   in Loop: Header=BB4_4196 Depth=4
	s_xor_b64 s[40:41], exec, -1
; %bb.4835:                             ;   in Loop: Header=BB4_4196 Depth=4
	s_or_b64 exec, exec, s[36:37]
	s_and_b64 s[40:41], s[40:41], exec
	s_or_saveexec_b64 vcc, vcc
	v_bfrev_b32_e32 v36, 1
	s_xor_b64 exec, exec, vcc
	s_cbranch_execnz .LBB4_4999
.LBB4_4836:                             ;   in Loop: Header=BB4_4196 Depth=4
	s_or_b64 exec, exec, vcc
	s_and_saveexec_b64 s[36:37], s[40:41]
	s_cbranch_execz .LBB4_4838
.LBB4_4837:                             ;   in Loop: Header=BB4_4196 Depth=4
	v_and_b32_e32 v32, 7, v8
	v_ffbh_u32_e32 v22, v32
	v_min_u32_e32 v38, 32, v22
	v_subrev_u32_e32 v22, 28, v38
	v_lshlrev_b64 v[22:23], v22, v[8:9]
	v_and_b32_e32 v33, 0x7f, v8
	v_bfe_u32 v36, v8, 3, 4
	v_sub_u32_e32 v23, 29, v38
	v_and_b32_e32 v22, 7, v22
	v_cmp_gt_u32_e32 vcc, 8, v33
	v_cndmask_b32_e32 v23, v36, v23, vcc
	v_cndmask_b32_e32 v22, v32, v22, vcc
	v_lshlrev_b32_e32 v8, 24, v8
	v_lshlrev_b32_e32 v22, 20, v22
	v_and_b32_e32 v8, 0x80000000, v8
	v_lshl_add_u32 v23, v23, 23, v5
	v_or3_b32 v8, v8, v23, v22
	v_cmp_ne_u32_e32 vcc, s68, v33
	v_mov_b32_e32 v22, 0x7f800001
	v_cndmask_b32_e32 v36, v22, v8, vcc
.LBB4_4838:                             ;   in Loop: Header=BB4_4196 Depth=4
	s_or_b64 exec, exec, s[36:37]
	v_add_f32_e32 v8, v9, v36
	v_and_b32_e32 v22, 0x7f800000, v8
	v_mov_b32_e32 v23, v3
	v_cmp_ne_u64_e32 vcc, s[62:63], v[22:23]
                                        ; implicit-def: $vgpr36
	s_and_saveexec_b64 s[40:41], vcc
	s_xor_b64 s[36:37], exec, s[40:41]
	s_cbranch_execz .LBB4_4852
; %bb.4839:                             ;   in Loop: Header=BB4_4196 Depth=4
	v_and_b32_e32 v22, 0x7fffffff, v8
	v_mov_b32_e32 v23, v3
	v_cmp_gt_u64_e32 vcc, s[72:73], v[22:23]
	v_and_b32_sdwa v38, v8, s70 dst_sel:DWORD dst_unused:UNUSED_PAD src0_sel:BYTE_3 src1_sel:DWORD
                                        ; implicit-def: $vgpr36
	s_and_saveexec_b64 s[40:41], vcc
	s_xor_b64 s[38:39], exec, s[40:41]
	s_cbranch_execz .LBB4_4849
; %bb.4840:                             ;   in Loop: Header=BB4_4196 Depth=4
	v_mov_b32_e32 v36, 0
	v_cmp_ne_u32_e32 vcc, 0, v8
	s_and_saveexec_b64 s[48:49], vcc
	s_cbranch_execz .LBB4_4848
; %bb.4841:                             ;   in Loop: Header=BB4_4196 Depth=4
	v_bfe_u32 v36, v8, 23, 8
	v_and_b32_e32 v9, 0x7fffff, v8
	v_cmp_gt_u32_e64 s[40:41], s71, v36
	v_sub_u32_e32 v8, 0x79, v36
	v_cmp_eq_u32_e32 vcc, 0, v36
	v_cndmask_b32_e64 v8, 0, v8, s[40:41]
	v_mov_b32_e32 v23, 0x78
	v_or_b32_e32 v22, 0x800000, v9
	v_cndmask_b32_e32 v48, v8, v23, vcc
	v_cndmask_b32_e32 v8, v22, v9, vcc
	v_add_u32_e32 v22, 20, v48
	v_lshlrev_b64 v[22:23], v22, -1
	v_mov_b32_e32 v9, v3
	v_add_u32_e32 v32, 19, v48
	v_bfi_b32 v22, v22, 0, v8
	v_lshlrev_b64 v[32:33], v32, 1
	v_lshrrev_b64 v[8:9], v48, v[8:9]
	v_bfi_b32 v23, v23, 0, 0
	v_cmp_eq_u64_e64 s[40:41], v[22:23], v[32:33]
	v_mov_b32_e32 v47, v9
	v_mov_b32_e32 v46, v8
	s_and_saveexec_b64 s[50:51], s[40:41]
; %bb.4842:                             ;   in Loop: Header=BB4_4196 Depth=4
	v_bfe_u32 v9, v8, 20, 1
	v_add_co_u32_e64 v9, s[40:41], v8, v9
	v_add_co_u32_e64 v46, s[40:41], -1, v9
; %bb.4843:                             ;   in Loop: Header=BB4_4196 Depth=4
	s_or_b64 exec, exec, s[50:51]
	v_add_u32_e32 v9, 0xffffff81, v36
	v_mov_b32_e32 v22, 0xffffff82
	v_cndmask_b32_e32 v9, v9, v22, vcc
	v_lshrrev_b32_e32 v22, 23, v8
	v_add3_u32 v49, v48, v9, v22
	v_add_u32_e32 v48, 6, v49
	v_and_b32_e32 v9, 0xfffff, v46
	v_add_u32_e32 v8, v9, v8
	v_mov_b32_e32 v9, v3
	v_cmp_ne_u32_e32 vcc, 0, v48
                                        ; implicit-def: $vgpr36
	s_and_saveexec_b64 s[40:41], vcc
	s_xor_b64 s[40:41], exec, s[40:41]
; %bb.4844:                             ;   in Loop: Header=BB4_4196 Depth=4
	v_cmp_lt_u64_e32 vcc, s[74:75], v[8:9]
	v_add_u32_e32 v22, 7, v49
	v_cndmask_b32_e32 v36, v48, v22, vcc
	v_cndmask_b32_e64 v22, 0, 1, vcc
	v_lshrrev_b64 v[8:9], v22, v[8:9]
; %bb.4845:                             ;   in Loop: Header=BB4_4196 Depth=4
	s_andn2_saveexec_b64 s[40:41], s[40:41]
; %bb.4846:                             ;   in Loop: Header=BB4_4196 Depth=4
	v_bfe_u32 v36, v8, 23, 1
; %bb.4847:                             ;   in Loop: Header=BB4_4196 Depth=4
	s_or_b64 exec, exec, s[40:41]
	v_lshrrev_b64 v[8:9], 20, v[8:9]
	v_cmp_gt_i32_e32 vcc, 16, v36
	v_cndmask_b32_e32 v9, 0, v9, vcc
	v_cndmask_b32_e32 v8, 7, v8, vcc
	v_cmp_eq_u64_e64 s[40:41], 0, v[8:9]
	v_min_i32_e32 v9, 15, v36
	v_lshlrev_b32_e32 v9, 3, v9
	v_cmp_eq_u32_e32 vcc, 0, v36
	v_and_b32_e32 v9, 0xf8, v9
	v_and_or_b32 v8, v8, 7, v9
	s_and_b64 s[40:41], vcc, s[40:41]
	v_cndmask_b32_e64 v8, v8, 0, s[40:41]
	v_or_b32_e32 v36, v8, v38
.LBB4_4848:                             ;   in Loop: Header=BB4_4196 Depth=4
	s_or_b64 exec, exec, s[48:49]
                                        ; implicit-def: $vgpr38
.LBB4_4849:                             ;   in Loop: Header=BB4_4196 Depth=4
	s_andn2_saveexec_b64 s[40:41], s[38:39]
; %bb.4850:                             ;   in Loop: Header=BB4_4196 Depth=4
	v_or_b32_e32 v36, 0x7e, v38
; %bb.4851:                             ;   in Loop: Header=BB4_4196 Depth=4
	s_or_b64 exec, exec, s[40:41]
                                        ; implicit-def: $vgpr8
.LBB4_4852:                             ;   in Loop: Header=BB4_4196 Depth=4
	s_andn2_saveexec_b64 s[40:41], s[36:37]
; %bb.4853:                             ;   in Loop: Header=BB4_4196 Depth=4
	v_or_b32_sdwa v36, v8, s68 dst_sel:DWORD dst_unused:UNUSED_PAD src0_sel:BYTE_3 src1_sel:DWORD
; %bb.4854:                             ;   in Loop: Header=BB4_4196 Depth=4
	s_or_b64 exec, exec, s[40:41]
	v_cmp_lt_u32_e32 vcc, s57, v2
	v_mov_b32_e32 v9, 0
	s_and_saveexec_b64 s[40:41], vcc
	s_cbranch_execz .LBB4_4860
; %bb.4855:                             ;   in Loop: Header=BB4_4196 Depth=4
	v_lshrrev_b32_e32 v8, 24, v2
	v_cmp_ne_u32_sdwa vcc, v2, s70 src0_sel:BYTE_3 src1_sel:DWORD
	v_bfrev_b32_e32 v9, 1
	s_and_saveexec_b64 s[36:37], vcc
	s_cbranch_execz .LBB4_4859
; %bb.4856:                             ;   in Loop: Header=BB4_4196 Depth=4
	v_bfe_u32 v38, v2, 24, 7
	v_cmp_ne_u32_e32 vcc, s68, v38
	v_mov_b32_e32 v9, 0x7f800001
	s_and_saveexec_b64 s[38:39], vcc
	s_cbranch_execz .LBB4_4858
; %bb.4857:                             ;   in Loop: Header=BB4_4196 Depth=4
	v_and_b32_e32 v22, 7, v8
	v_ffbh_u32_e32 v9, v22
	v_min_u32_e32 v32, 32, v9
	v_subrev_u32_e32 v9, 28, v32
	v_lshlrev_b64 v[8:9], v9, v[8:9]
	v_cmp_gt_u32_e32 vcc, 8, v38
	v_and_b32_e32 v8, 7, v8
	v_lshrrev_b32_e32 v23, 3, v38
	v_sub_u32_e32 v9, 29, v32
	v_cndmask_b32_e32 v8, v22, v8, vcc
	v_mov_b32_e32 v22, 24
	v_cndmask_b32_e32 v9, v23, v9, vcc
	v_lshlrev_b32_sdwa v2, v22, v2 dst_sel:DWORD dst_unused:UNUSED_PAD src0_sel:DWORD src1_sel:BYTE_3
	v_lshlrev_b32_e32 v8, 20, v8
	v_and_b32_e32 v2, 0x80000000, v2
	v_lshl_add_u32 v9, v9, 23, v5
	v_or3_b32 v9, v2, v9, v8
.LBB4_4858:                             ;   in Loop: Header=BB4_4196 Depth=4
	s_or_b64 exec, exec, s[38:39]
.LBB4_4859:                             ;   in Loop: Header=BB4_4196 Depth=4
	s_or_b64 exec, exec, s[36:37]
.LBB4_4860:                             ;   in Loop: Header=BB4_4196 Depth=4
	s_or_b64 exec, exec, s[40:41]
	v_bfe_u32 v8, v10, 24, 3
	v_ffbh_u32_e32 v22, v8
	v_min_u32_e32 v38, 32, v22
	v_lshrrev_b32_e32 v2, 24, v10
	v_subrev_u32_e32 v22, 28, v38
	v_lshlrev_b64 v[22:23], v22, v[2:3]
	v_bfe_u32 v32, v10, 24, 7
	v_bfe_u32 v33, v2, 3, 4
	v_sub_u32_e32 v23, 29, v38
	v_and_b32_e32 v22, 7, v22
	v_cmp_gt_u32_e32 vcc, 8, v32
	v_cndmask_b32_e32 v23, v33, v23, vcc
	v_cndmask_b32_e32 v8, v8, v22, vcc
	v_lshlrev_b32_e32 v8, 20, v8
	v_and_b32_e32 v22, 0x80000000, v10
	v_lshl_add_u32 v23, v23, 23, v5
	v_or3_b32 v8, v22, v23, v8
	v_cmp_ne_u32_e32 vcc, s68, v32
	v_mov_b32_e32 v22, 0x7f800001
	v_cndmask_b32_e32 v8, v22, v8, vcc
	v_cmp_ne_u32_e32 vcc, s70, v2
	v_bfrev_b32_e32 v2, 1
	v_cndmask_b32_e32 v2, v2, v8, vcc
	v_cmp_lt_u32_e32 vcc, s57, v10
	v_cndmask_b32_e32 v2, 0, v2, vcc
	v_add_f32_e32 v8, v2, v9
	v_and_b32_e32 v2, 0x7f800000, v8
	v_cmp_ne_u64_e32 vcc, s[62:63], v[2:3]
                                        ; implicit-def: $vgpr38
	s_and_saveexec_b64 s[40:41], vcc
	s_xor_b64 s[36:37], exec, s[40:41]
	s_cbranch_execz .LBB4_4874
; %bb.4861:                             ;   in Loop: Header=BB4_4196 Depth=4
	v_and_b32_e32 v2, 0x7fffffff, v8
	v_cmp_gt_u64_e32 vcc, s[72:73], v[2:3]
	v_and_b32_sdwa v48, v8, s70 dst_sel:DWORD dst_unused:UNUSED_PAD src0_sel:BYTE_3 src1_sel:DWORD
                                        ; implicit-def: $vgpr38
	s_and_saveexec_b64 s[40:41], vcc
	s_xor_b64 s[38:39], exec, s[40:41]
	s_cbranch_execz .LBB4_4871
; %bb.4862:                             ;   in Loop: Header=BB4_4196 Depth=4
	v_mov_b32_e32 v38, 0
	v_cmp_ne_u32_e32 vcc, 0, v8
	s_and_saveexec_b64 s[48:49], vcc
	s_cbranch_execz .LBB4_4870
; %bb.4863:                             ;   in Loop: Header=BB4_4196 Depth=4
	v_bfe_u32 v38, v8, 23, 8
	v_and_b32_e32 v2, 0x7fffff, v8
	v_cmp_gt_u32_e64 s[40:41], s71, v38
	v_sub_u32_e32 v8, 0x79, v38
	v_cmp_eq_u32_e32 vcc, 0, v38
	v_cndmask_b32_e64 v8, 0, v8, s[40:41]
	v_mov_b32_e32 v22, 0x78
	v_cndmask_b32_e32 v49, v8, v22, vcc
	v_or_b32_e32 v9, 0x800000, v2
	v_add_u32_e32 v8, 20, v49
	v_cndmask_b32_e32 v2, v9, v2, vcc
	v_lshlrev_b64 v[8:9], v8, -1
	v_add_u32_e32 v22, 19, v49
	v_lshlrev_b64 v[22:23], v22, 1
	v_bfi_b32 v9, v9, 0, 0
	v_bfi_b32 v8, v8, 0, v2
	v_cmp_eq_u64_e64 s[40:41], v[8:9], v[22:23]
	v_lshrrev_b64 v[8:9], v49, v[2:3]
	v_mov_b32_e32 v47, v9
	v_mov_b32_e32 v46, v8
	s_and_saveexec_b64 s[50:51], s[40:41]
; %bb.4864:                             ;   in Loop: Header=BB4_4196 Depth=4
	v_bfe_u32 v2, v8, 20, 1
	v_add_co_u32_e64 v2, s[40:41], v8, v2
	v_add_co_u32_e64 v46, s[40:41], -1, v2
; %bb.4865:                             ;   in Loop: Header=BB4_4196 Depth=4
	s_or_b64 exec, exec, s[50:51]
	v_add_u32_e32 v2, 0xffffff81, v38
	v_mov_b32_e32 v9, 0xffffff82
	v_cndmask_b32_e32 v2, v2, v9, vcc
	v_lshrrev_b32_e32 v9, 23, v8
	v_add3_u32 v50, v49, v2, v9
	v_add_u32_e32 v49, 6, v50
	v_and_b32_e32 v2, 0xfffff, v46
	v_add_u32_e32 v2, v2, v8
	v_cmp_ne_u32_e32 vcc, 0, v49
                                        ; implicit-def: $vgpr8_vgpr9
                                        ; implicit-def: $vgpr38
	s_and_saveexec_b64 s[40:41], vcc
	s_xor_b64 s[40:41], exec, s[40:41]
; %bb.4866:                             ;   in Loop: Header=BB4_4196 Depth=4
	v_cmp_lt_u64_e32 vcc, s[74:75], v[2:3]
	v_add_u32_e32 v8, 7, v50
	v_cndmask_b32_e32 v38, v49, v8, vcc
	v_cndmask_b32_e64 v8, 0, 1, vcc
	v_lshrrev_b64 v[8:9], v8, v[2:3]
; %bb.4867:                             ;   in Loop: Header=BB4_4196 Depth=4
	s_andn2_saveexec_b64 s[40:41], s[40:41]
; %bb.4868:                             ;   in Loop: Header=BB4_4196 Depth=4
	v_mov_b32_e32 v9, v3
	v_bfe_u32 v38, v2, 23, 1
	v_mov_b32_e32 v8, v2
; %bb.4869:                             ;   in Loop: Header=BB4_4196 Depth=4
	s_or_b64 exec, exec, s[40:41]
	v_lshrrev_b64 v[8:9], 20, v[8:9]
	v_cmp_gt_i32_e32 vcc, 16, v38
	v_cndmask_b32_e32 v9, 0, v9, vcc
	v_cndmask_b32_e32 v8, 7, v8, vcc
	v_min_i32_e32 v2, 15, v38
	v_cmp_eq_u64_e64 s[40:41], 0, v[8:9]
	v_lshlrev_b32_e32 v2, 3, v2
	v_cmp_eq_u32_e32 vcc, 0, v38
	v_and_b32_e32 v2, 0xf8, v2
	v_and_or_b32 v2, v8, 7, v2
	s_and_b64 s[40:41], vcc, s[40:41]
	v_cndmask_b32_e64 v2, v2, 0, s[40:41]
	v_or_b32_e32 v38, v2, v48
.LBB4_4870:                             ;   in Loop: Header=BB4_4196 Depth=4
	s_or_b64 exec, exec, s[48:49]
                                        ; implicit-def: $vgpr48
.LBB4_4871:                             ;   in Loop: Header=BB4_4196 Depth=4
	s_andn2_saveexec_b64 s[40:41], s[38:39]
; %bb.4872:                             ;   in Loop: Header=BB4_4196 Depth=4
	v_or_b32_e32 v38, 0x7e, v48
; %bb.4873:                             ;   in Loop: Header=BB4_4196 Depth=4
	s_or_b64 exec, exec, s[40:41]
                                        ; implicit-def: $vgpr8
.LBB4_4874:                             ;   in Loop: Header=BB4_4196 Depth=4
	s_andn2_saveexec_b64 s[40:41], s[36:37]
; %bb.4875:                             ;   in Loop: Header=BB4_4196 Depth=4
	v_or_b32_sdwa v38, v8, s68 dst_sel:DWORD dst_unused:UNUSED_PAD src0_sel:BYTE_3 src1_sel:DWORD
; %bb.4876:                             ;   in Loop: Header=BB4_4196 Depth=4
	s_or_b64 exec, exec, s[40:41]
	v_lshlrev_b32_e32 v2, 24, v34
	v_lshlrev_b32_e32 v8, 16, v28
	v_lshl_or_b32 v25, v25, 8, v17
	v_or3_b32 v2, v8, v2, v25
	v_cmp_ne_u32_e32 vcc, 0, v17
	v_mov_b32_e32 v28, 0
	s_and_saveexec_b64 s[40:41], vcc
	s_cbranch_execz .LBB4_4882
; %bb.4877:                             ;   in Loop: Header=BB4_4196 Depth=4
	v_cmp_ne_u32_e32 vcc, s70, v17
	v_bfrev_b32_e32 v28, 1
	s_and_saveexec_b64 s[36:37], vcc
	s_cbranch_execz .LBB4_4881
; %bb.4878:                             ;   in Loop: Header=BB4_4196 Depth=4
	v_and_b32_e32 v8, 0x7f, v17
	v_cmp_ne_u32_e32 vcc, s68, v8
	v_mov_b32_e32 v28, 0x7f800001
	s_and_saveexec_b64 s[38:39], vcc
	s_cbranch_execz .LBB4_4880
; %bb.4879:                             ;   in Loop: Header=BB4_4196 Depth=4
	v_and_b32_e32 v9, 7, v17
	v_lshrrev_b32_e32 v17, 3, v8
	v_cmp_gt_u32_e32 vcc, 8, v8
	v_ffbh_u32_e32 v8, v9
	v_min_u32_e32 v8, 32, v8
	v_subrev_u32_e32 v9, 28, v8
	v_sub_u32_e32 v8, 29, v8
	v_cndmask_b32_e32 v17, v17, v8, vcc
	v_cndmask_b32_e32 v8, 0, v9, vcc
	v_lshlrev_b64 v[8:9], v8, v[2:3]
	v_lshlrev_b32_e32 v9, 24, v2
	v_lshlrev_b32_e32 v8, 20, v8
	v_and_b32_e32 v8, 0x700000, v8
	v_and_b32_e32 v9, 0x80000000, v9
	v_lshl_add_u32 v17, v17, 23, v5
	v_or3_b32 v28, v9, v17, v8
.LBB4_4880:                             ;   in Loop: Header=BB4_4196 Depth=4
	s_or_b64 exec, exec, s[38:39]
.LBB4_4881:                             ;   in Loop: Header=BB4_4196 Depth=4
	s_or_b64 exec, exec, s[36:37]
.LBB4_4882:                             ;   in Loop: Header=BB4_4196 Depth=4
	s_or_b64 exec, exec, s[40:41]
	v_cmp_gt_i16_sdwa vcc, v11, s68 src0_sel:BYTE_0 src1_sel:DWORD
	s_mov_b64 s[40:41], 0
	s_and_saveexec_b64 s[36:37], vcc
	s_xor_b64 vcc, exec, s[36:37]
	s_cbranch_execz .LBB4_4886
; %bb.4883:                             ;   in Loop: Header=BB4_4196 Depth=4
	v_cmp_eq_u16_sdwa s[38:39], v11, s70 src0_sel:BYTE_0 src1_sel:DWORD
	s_mov_b64 s[40:41], -1
	s_and_saveexec_b64 s[36:37], s[38:39]
; %bb.4884:                             ;   in Loop: Header=BB4_4196 Depth=4
	s_xor_b64 s[40:41], exec, -1
; %bb.4885:                             ;   in Loop: Header=BB4_4196 Depth=4
	s_or_b64 exec, exec, s[36:37]
	s_and_b64 s[40:41], s[40:41], exec
.LBB4_4886:                             ;   in Loop: Header=BB4_4196 Depth=4
	s_or_saveexec_b64 vcc, vcc
	v_bfrev_b32_e32 v17, 1
	s_xor_b64 exec, exec, vcc
; %bb.4887:                             ;   in Loop: Header=BB4_4196 Depth=4
	v_cmp_ne_u16_sdwa s[36:37], v11, v3 src0_sel:BYTE_0 src1_sel:DWORD
	s_andn2_b64 s[40:41], s[40:41], exec
	s_and_b64 s[36:37], s[36:37], exec
	v_mov_b32_e32 v17, 0
	s_or_b64 s[40:41], s[40:41], s[36:37]
; %bb.4888:                             ;   in Loop: Header=BB4_4196 Depth=4
	s_or_b64 exec, exec, vcc
	v_mov_b32_e32 v8, v11
	v_mov_b32_e32 v9, v3
	s_and_saveexec_b64 s[36:37], s[40:41]
	s_cbranch_execz .LBB4_4890
; %bb.4889:                             ;   in Loop: Header=BB4_4196 Depth=4
	v_and_b32_e32 v17, 7, v11
	v_ffbh_u32_e32 v17, v17
	v_and_b32_e32 v32, 0x7f, v11
	v_min_u32_e32 v17, 32, v17
	v_bfe_u32 v22, v11, 3, 4
	v_subrev_u32_e32 v23, 28, v17
	v_sub_u32_e32 v17, 29, v17
	v_cmp_gt_u32_e32 vcc, 8, v32
	v_cndmask_b32_e32 v17, v22, v17, vcc
	v_cndmask_b32_e32 v22, 0, v23, vcc
	v_lshlrev_b64 v[22:23], v22, v[8:9]
	v_lshl_add_u32 v17, v17, 23, v5
	v_lshlrev_b32_e32 v9, 20, v22
	v_lshlrev_b32_e32 v22, 24, v8
	v_and_b32_e32 v9, 0x700000, v9
	v_and_b32_e32 v22, 0x80000000, v22
	v_or3_b32 v9, v22, v17, v9
	v_cmp_ne_u32_e32 vcc, s68, v32
	v_mov_b32_e32 v17, 0x7f800001
	v_cndmask_b32_e32 v17, v17, v9, vcc
.LBB4_4890:                             ;   in Loop: Header=BB4_4196 Depth=4
	s_or_b64 exec, exec, s[36:37]
	v_add_f32_e32 v28, v28, v17
	v_and_b32_e32 v22, 0x7f800000, v28
	v_mov_b32_e32 v23, v3
	v_cmp_ne_u64_e32 vcc, s[62:63], v[22:23]
                                        ; implicit-def: $vgpr17
	s_and_saveexec_b64 s[40:41], vcc
	s_xor_b64 s[36:37], exec, s[40:41]
	s_cbranch_execz .LBB4_4904
; %bb.4891:                             ;   in Loop: Header=BB4_4196 Depth=4
	v_and_b32_e32 v22, 0x7fffffff, v28
	v_mov_b32_e32 v23, v3
	v_cmp_gt_u64_e32 vcc, s[72:73], v[22:23]
	v_and_b32_sdwa v9, v28, s70 dst_sel:DWORD dst_unused:UNUSED_PAD src0_sel:BYTE_3 src1_sel:DWORD
                                        ; implicit-def: $vgpr17
	s_and_saveexec_b64 s[40:41], vcc
	s_xor_b64 s[38:39], exec, s[40:41]
	s_cbranch_execz .LBB4_4901
; %bb.4892:                             ;   in Loop: Header=BB4_4196 Depth=4
	v_mov_b32_e32 v17, 0
	v_cmp_ne_u32_e32 vcc, 0, v28
	s_and_saveexec_b64 s[48:49], vcc
	s_cbranch_execz .LBB4_4900
; %bb.4893:                             ;   in Loop: Header=BB4_4196 Depth=4
	v_bfe_u32 v17, v28, 23, 8
	v_cmp_gt_u32_e64 s[40:41], s71, v17
	v_sub_u32_e32 v23, 0x79, v17
	v_and_b32_e32 v22, 0x7fffff, v28
	v_cmp_eq_u32_e32 vcc, 0, v17
	v_cndmask_b32_e64 v23, 0, v23, s[40:41]
	v_mov_b32_e32 v28, 0x78
	v_or_b32_e32 v32, 0x800000, v22
	v_cndmask_b32_e32 v28, v23, v28, vcc
	v_cndmask_b32_e32 v22, v32, v22, vcc
	v_add_u32_e32 v32, 20, v28
	v_mov_b32_e32 v23, v3
	v_lshlrev_b64 v[32:33], v32, -1
	v_add_u32_e32 v34, 19, v28
	v_lshlrev_b64 v[48:49], v34, 1
	v_lshrrev_b64 v[46:47], v28, v[22:23]
	v_bfi_b32 v33, v33, 0, 0
	v_bfi_b32 v32, v32, 0, v22
	v_cmp_eq_u64_e64 s[40:41], v[32:33], v[48:49]
	v_mov_b32_e32 v57, v47
	v_mov_b32_e32 v56, v46
	s_and_saveexec_b64 s[50:51], s[40:41]
; %bb.4894:                             ;   in Loop: Header=BB4_4196 Depth=4
	v_bfe_u32 v22, v46, 20, 1
	v_add_co_u32_e64 v22, s[40:41], v46, v22
	v_add_co_u32_e64 v56, s[40:41], -1, v22
; %bb.4895:                             ;   in Loop: Header=BB4_4196 Depth=4
	s_or_b64 exec, exec, s[50:51]
	v_add_u32_e32 v17, 0xffffff81, v17
	v_mov_b32_e32 v22, 0xffffff82
	v_cndmask_b32_e32 v17, v17, v22, vcc
	v_lshrrev_b32_e32 v22, 23, v46
	v_add3_u32 v34, v28, v17, v22
	v_add_u32_e32 v28, 6, v34
	v_and_b32_e32 v17, 0xfffff, v56
	v_add_u32_e32 v46, v17, v46
	v_mov_b32_e32 v47, v3
	v_cmp_ne_u32_e32 vcc, 0, v28
                                        ; implicit-def: $vgpr17
	s_and_saveexec_b64 s[40:41], vcc
	s_xor_b64 s[40:41], exec, s[40:41]
; %bb.4896:                             ;   in Loop: Header=BB4_4196 Depth=4
	v_cmp_lt_u64_e32 vcc, s[74:75], v[46:47]
	v_add_u32_e32 v17, 7, v34
	v_cndmask_b32_e64 v22, 0, 1, vcc
	v_cndmask_b32_e32 v17, v28, v17, vcc
	v_lshrrev_b64 v[46:47], v22, v[46:47]
; %bb.4897:                             ;   in Loop: Header=BB4_4196 Depth=4
	s_andn2_saveexec_b64 s[40:41], s[40:41]
; %bb.4898:                             ;   in Loop: Header=BB4_4196 Depth=4
	v_bfe_u32 v17, v46, 23, 1
; %bb.4899:                             ;   in Loop: Header=BB4_4196 Depth=4
	s_or_b64 exec, exec, s[40:41]
	v_lshrrev_b64 v[22:23], 20, v[46:47]
	v_cmp_gt_i32_e32 vcc, 16, v17
	v_cndmask_b32_e32 v23, 0, v23, vcc
	v_cndmask_b32_e32 v22, 7, v22, vcc
	v_cmp_eq_u32_e32 vcc, 0, v17
	v_min_i32_e32 v17, 15, v17
	v_cmp_eq_u64_e64 s[40:41], 0, v[22:23]
	v_lshlrev_b32_e32 v17, 3, v17
	v_and_b32_e32 v17, 0xf8, v17
	v_and_or_b32 v17, v22, 7, v17
	s_and_b64 s[40:41], vcc, s[40:41]
	v_cndmask_b32_e64 v17, v17, 0, s[40:41]
	v_or_b32_e32 v17, v17, v9
.LBB4_4900:                             ;   in Loop: Header=BB4_4196 Depth=4
	s_or_b64 exec, exec, s[48:49]
                                        ; implicit-def: $vgpr9
.LBB4_4901:                             ;   in Loop: Header=BB4_4196 Depth=4
	s_andn2_saveexec_b64 s[40:41], s[38:39]
; %bb.4902:                             ;   in Loop: Header=BB4_4196 Depth=4
	v_or_b32_e32 v17, 0x7e, v9
; %bb.4903:                             ;   in Loop: Header=BB4_4196 Depth=4
	s_or_b64 exec, exec, s[40:41]
                                        ; implicit-def: $vgpr28
.LBB4_4904:                             ;   in Loop: Header=BB4_4196 Depth=4
	s_andn2_saveexec_b64 s[40:41], s[36:37]
; %bb.4905:                             ;   in Loop: Header=BB4_4196 Depth=4
	v_or_b32_sdwa v17, v28, s68 dst_sel:DWORD dst_unused:UNUSED_PAD src0_sel:BYTE_3 src1_sel:DWORD
; %bb.4906:                             ;   in Loop: Header=BB4_4196 Depth=4
	s_or_b64 exec, exec, s[40:41]
	v_lshrrev_b16_e32 v9, 8, v25
	v_cmp_ne_u16_e32 vcc, 0, v9
	v_mov_b32_e32 v28, 0
	s_and_saveexec_b64 s[40:41], vcc
	s_cbranch_execz .LBB4_4912
; %bb.4907:                             ;   in Loop: Header=BB4_4196 Depth=4
	v_cmp_ne_u16_e32 vcc, s70, v9
	v_bfrev_b32_e32 v28, 1
	s_and_saveexec_b64 s[36:37], vcc
	s_cbranch_execz .LBB4_4911
; %bb.4908:                             ;   in Loop: Header=BB4_4196 Depth=4
	v_and_b32_e32 v34, 0x7f, v9
	v_cmp_ne_u32_e32 vcc, s68, v34
	v_mov_b32_e32 v28, 0x7f800001
	s_and_saveexec_b64 s[38:39], vcc
	s_cbranch_execz .LBB4_4910
; %bb.4909:                             ;   in Loop: Header=BB4_4196 Depth=4
	v_and_b32_e32 v28, 7, v9
	v_ffbh_u32_e32 v22, v28
	v_min_u32_e32 v33, 32, v22
	v_subrev_u32_e32 v22, 28, v33
	v_lshlrev_b64 v[22:23], v22, v[9:10]
	v_lshrrev_b32_e32 v32, 3, v34
	v_cmp_gt_u32_e32 vcc, 8, v34
	v_sub_u32_e32 v9, 29, v33
	v_and_b32_e32 v22, 7, v22
	v_cndmask_b32_e32 v9, v32, v9, vcc
	v_cndmask_b32_e32 v22, v28, v22, vcc
	v_lshlrev_b32_e32 v23, 16, v25
	v_lshlrev_b32_e32 v22, 20, v22
	v_and_b32_e32 v23, 0x80000000, v23
	v_lshl_add_u32 v9, v9, 23, v5
	v_or3_b32 v28, v23, v9, v22
.LBB4_4910:                             ;   in Loop: Header=BB4_4196 Depth=4
	s_or_b64 exec, exec, s[38:39]
.LBB4_4911:                             ;   in Loop: Header=BB4_4196 Depth=4
	s_or_b64 exec, exec, s[36:37]
.LBB4_4912:                             ;   in Loop: Header=BB4_4196 Depth=4
	s_or_b64 exec, exec, s[40:41]
	v_lshrrev_b16_e32 v8, 8, v8
	v_cmp_lt_i16_e32 vcc, s68, v8
	s_mov_b64 s[40:41], 0
	s_and_saveexec_b64 s[36:37], vcc
	s_xor_b64 s[36:37], exec, s[36:37]
	s_cbranch_execz .LBB4_5000
; %bb.4913:                             ;   in Loop: Header=BB4_4196 Depth=4
	v_cmp_eq_u16_e32 vcc, s70, v8
	s_mov_b64 s[40:41], -1
	s_and_saveexec_b64 s[38:39], vcc
; %bb.4914:                             ;   in Loop: Header=BB4_4196 Depth=4
	s_xor_b64 s[40:41], exec, -1
; %bb.4915:                             ;   in Loop: Header=BB4_4196 Depth=4
	s_or_b64 exec, exec, s[38:39]
	s_and_b64 s[40:41], s[40:41], exec
	s_or_saveexec_b64 s[36:37], s[36:37]
	v_bfrev_b32_e32 v9, 1
	s_xor_b64 exec, exec, s[36:37]
	s_cbranch_execnz .LBB4_5001
.LBB4_4916:                             ;   in Loop: Header=BB4_4196 Depth=4
	s_or_b64 exec, exec, s[36:37]
	s_and_saveexec_b64 s[36:37], s[40:41]
	s_cbranch_execz .LBB4_4918
.LBB4_4917:                             ;   in Loop: Header=BB4_4196 Depth=4
	v_and_b32_e32 v25, 7, v8
	v_ffbh_u32_e32 v22, v25
	v_min_u32_e32 v34, 32, v22
	v_mov_b32_e32 v9, v3
	v_subrev_u32_e32 v22, 28, v34
	v_lshlrev_b64 v[22:23], v22, v[8:9]
	v_and_b32_e32 v32, 0x7f, v8
	v_bfe_u32 v33, v8, 3, 4
	v_sub_u32_e32 v9, 29, v34
	v_and_b32_e32 v22, 7, v22
	v_cmp_gt_u32_e32 vcc, 8, v32
	v_cndmask_b32_e32 v9, v33, v9, vcc
	v_cndmask_b32_e32 v22, v25, v22, vcc
	v_lshlrev_b32_e32 v8, 24, v8
	v_lshlrev_b32_e32 v22, 20, v22
	v_and_b32_e32 v8, 0x80000000, v8
	v_lshl_add_u32 v9, v9, 23, v5
	v_or3_b32 v8, v8, v9, v22
	v_cmp_ne_u32_e32 vcc, s68, v32
	v_mov_b32_e32 v9, 0x7f800001
	v_cndmask_b32_e32 v9, v9, v8, vcc
.LBB4_4918:                             ;   in Loop: Header=BB4_4196 Depth=4
	s_or_b64 exec, exec, s[36:37]
	v_add_f32_e32 v8, v28, v9
	v_and_b32_e32 v22, 0x7f800000, v8
	v_mov_b32_e32 v23, v3
	v_cmp_ne_u64_e32 vcc, s[62:63], v[22:23]
                                        ; implicit-def: $vgpr25
	s_and_saveexec_b64 s[40:41], vcc
	s_xor_b64 s[36:37], exec, s[40:41]
	s_cbranch_execz .LBB4_4932
; %bb.4919:                             ;   in Loop: Header=BB4_4196 Depth=4
	v_and_b32_e32 v22, 0x7fffffff, v8
	v_mov_b32_e32 v23, v3
	v_cmp_gt_u64_e32 vcc, s[72:73], v[22:23]
	v_and_b32_sdwa v28, v8, s70 dst_sel:DWORD dst_unused:UNUSED_PAD src0_sel:BYTE_3 src1_sel:DWORD
                                        ; implicit-def: $vgpr25
	s_and_saveexec_b64 s[40:41], vcc
	s_xor_b64 s[38:39], exec, s[40:41]
	s_cbranch_execz .LBB4_4929
; %bb.4920:                             ;   in Loop: Header=BB4_4196 Depth=4
	v_mov_b32_e32 v25, 0
	v_cmp_ne_u32_e32 vcc, 0, v8
	s_and_saveexec_b64 s[48:49], vcc
	s_cbranch_execz .LBB4_4928
; %bb.4921:                             ;   in Loop: Header=BB4_4196 Depth=4
	v_bfe_u32 v25, v8, 23, 8
	v_and_b32_e32 v9, 0x7fffff, v8
	v_cmp_gt_u32_e64 s[40:41], s71, v25
	v_sub_u32_e32 v8, 0x79, v25
	v_cmp_eq_u32_e32 vcc, 0, v25
	v_cndmask_b32_e64 v8, 0, v8, s[40:41]
	v_mov_b32_e32 v23, 0x78
	v_or_b32_e32 v22, 0x800000, v9
	v_cndmask_b32_e32 v34, v8, v23, vcc
	v_cndmask_b32_e32 v8, v22, v9, vcc
	v_add_u32_e32 v22, 20, v34
	v_lshlrev_b64 v[22:23], v22, -1
	v_mov_b32_e32 v9, v3
	v_add_u32_e32 v32, 19, v34
	v_bfi_b32 v22, v22, 0, v8
	v_lshlrev_b64 v[32:33], v32, 1
	v_lshrrev_b64 v[8:9], v34, v[8:9]
	v_bfi_b32 v23, v23, 0, 0
	v_cmp_eq_u64_e64 s[40:41], v[22:23], v[32:33]
	v_mov_b32_e32 v47, v9
	v_mov_b32_e32 v46, v8
	s_and_saveexec_b64 s[50:51], s[40:41]
; %bb.4922:                             ;   in Loop: Header=BB4_4196 Depth=4
	v_bfe_u32 v9, v8, 20, 1
	v_add_co_u32_e64 v9, s[40:41], v8, v9
	v_add_co_u32_e64 v46, s[40:41], -1, v9
; %bb.4923:                             ;   in Loop: Header=BB4_4196 Depth=4
	s_or_b64 exec, exec, s[50:51]
	v_add_u32_e32 v9, 0xffffff81, v25
	v_mov_b32_e32 v22, 0xffffff82
	v_cndmask_b32_e32 v9, v9, v22, vcc
	v_lshrrev_b32_e32 v22, 23, v8
	v_add3_u32 v48, v34, v9, v22
	v_add_u32_e32 v34, 6, v48
	v_and_b32_e32 v9, 0xfffff, v46
	v_add_u32_e32 v8, v9, v8
	v_mov_b32_e32 v9, v3
	v_cmp_ne_u32_e32 vcc, 0, v34
                                        ; implicit-def: $vgpr25
	s_and_saveexec_b64 s[40:41], vcc
	s_xor_b64 s[40:41], exec, s[40:41]
; %bb.4924:                             ;   in Loop: Header=BB4_4196 Depth=4
	v_cmp_lt_u64_e32 vcc, s[74:75], v[8:9]
	v_add_u32_e32 v22, 7, v48
	v_cndmask_b32_e32 v25, v34, v22, vcc
	v_cndmask_b32_e64 v22, 0, 1, vcc
	v_lshrrev_b64 v[8:9], v22, v[8:9]
; %bb.4925:                             ;   in Loop: Header=BB4_4196 Depth=4
	s_andn2_saveexec_b64 s[40:41], s[40:41]
; %bb.4926:                             ;   in Loop: Header=BB4_4196 Depth=4
	v_bfe_u32 v25, v8, 23, 1
; %bb.4927:                             ;   in Loop: Header=BB4_4196 Depth=4
	s_or_b64 exec, exec, s[40:41]
	v_lshrrev_b64 v[8:9], 20, v[8:9]
	v_cmp_gt_i32_e32 vcc, 16, v25
	v_cndmask_b32_e32 v9, 0, v9, vcc
	v_cndmask_b32_e32 v8, 7, v8, vcc
	v_cmp_eq_u64_e64 s[40:41], 0, v[8:9]
	v_min_i32_e32 v9, 15, v25
	v_lshlrev_b32_e32 v9, 3, v9
	v_cmp_eq_u32_e32 vcc, 0, v25
	v_and_b32_e32 v9, 0xf8, v9
	v_and_or_b32 v8, v8, 7, v9
	s_and_b64 s[40:41], vcc, s[40:41]
	v_cndmask_b32_e64 v8, v8, 0, s[40:41]
	v_or_b32_e32 v25, v8, v28
.LBB4_4928:                             ;   in Loop: Header=BB4_4196 Depth=4
	s_or_b64 exec, exec, s[48:49]
                                        ; implicit-def: $vgpr28
.LBB4_4929:                             ;   in Loop: Header=BB4_4196 Depth=4
	s_andn2_saveexec_b64 s[40:41], s[38:39]
; %bb.4930:                             ;   in Loop: Header=BB4_4196 Depth=4
	v_or_b32_e32 v25, 0x7e, v28
; %bb.4931:                             ;   in Loop: Header=BB4_4196 Depth=4
	s_or_b64 exec, exec, s[40:41]
                                        ; implicit-def: $vgpr8
.LBB4_4932:                             ;   in Loop: Header=BB4_4196 Depth=4
	s_andn2_saveexec_b64 s[40:41], s[36:37]
; %bb.4933:                             ;   in Loop: Header=BB4_4196 Depth=4
	v_or_b32_sdwa v25, v8, s68 dst_sel:DWORD dst_unused:UNUSED_PAD src0_sel:BYTE_3 src1_sel:DWORD
; %bb.4934:                             ;   in Loop: Header=BB4_4196 Depth=4
	s_or_b64 exec, exec, s[40:41]
	v_lshrrev_b32_e32 v8, 16, v2
	v_cmp_ne_u16_sdwa vcc, v8, v3 src0_sel:BYTE_0 src1_sel:DWORD
	v_mov_b32_e32 v9, 0
	s_and_saveexec_b64 s[40:41], vcc
	s_cbranch_execz .LBB4_4940
; %bb.4935:                             ;   in Loop: Header=BB4_4196 Depth=4
	v_cmp_ne_u16_sdwa vcc, v8, s70 src0_sel:BYTE_0 src1_sel:DWORD
	v_bfrev_b32_e32 v9, 1
	s_and_saveexec_b64 s[36:37], vcc
	s_cbranch_execz .LBB4_4939
; %bb.4936:                             ;   in Loop: Header=BB4_4196 Depth=4
	v_bfe_u32 v28, v2, 16, 7
	v_cmp_ne_u32_e32 vcc, s68, v28
	v_mov_b32_e32 v9, 0x7f800001
	s_and_saveexec_b64 s[38:39], vcc
	s_cbranch_execz .LBB4_4938
; %bb.4937:                             ;   in Loop: Header=BB4_4196 Depth=4
	v_and_b32_e32 v9, 7, v8
	v_ffbh_u32_e32 v22, v9
	v_lshrrev_b32_e32 v32, 3, v28
	v_cmp_gt_u32_e32 vcc, 8, v28
	v_min_u32_e32 v28, 32, v22
	v_subrev_u32_e32 v22, 28, v28
	v_lshlrev_b64 v[22:23], v22, v[8:9]
	v_sub_u32_e32 v23, 29, v28
	v_and_b32_e32 v22, 7, v22
	v_cndmask_b32_e32 v23, v32, v23, vcc
	v_cndmask_b32_e32 v9, v9, v22, vcc
	v_lshlrev_b32_e32 v8, 24, v8
	v_lshlrev_b32_e32 v9, 20, v9
	v_and_b32_e32 v8, 0x80000000, v8
	v_lshl_add_u32 v22, v23, 23, v5
	v_or3_b32 v9, v8, v22, v9
.LBB4_4938:                             ;   in Loop: Header=BB4_4196 Depth=4
	s_or_b64 exec, exec, s[38:39]
.LBB4_4939:                             ;   in Loop: Header=BB4_4196 Depth=4
	s_or_b64 exec, exec, s[36:37]
.LBB4_4940:                             ;   in Loop: Header=BB4_4196 Depth=4
	s_or_b64 exec, exec, s[40:41]
	v_lshrrev_b32_e32 v8, 16, v11
	v_cmp_gt_i16_sdwa vcc, v8, s68 src0_sel:BYTE_0 src1_sel:DWORD
	s_mov_b64 s[40:41], 0
	s_and_saveexec_b64 s[36:37], vcc
	s_xor_b64 vcc, exec, s[36:37]
	s_cbranch_execz .LBB4_5002
; %bb.4941:                             ;   in Loop: Header=BB4_4196 Depth=4
	v_cmp_eq_u16_sdwa s[38:39], v8, s70 src0_sel:BYTE_0 src1_sel:DWORD
	s_mov_b64 s[40:41], -1
	s_and_saveexec_b64 s[36:37], s[38:39]
; %bb.4942:                             ;   in Loop: Header=BB4_4196 Depth=4
	s_xor_b64 s[40:41], exec, -1
; %bb.4943:                             ;   in Loop: Header=BB4_4196 Depth=4
	s_or_b64 exec, exec, s[36:37]
	s_and_b64 s[40:41], s[40:41], exec
	s_or_saveexec_b64 vcc, vcc
	v_bfrev_b32_e32 v28, 1
	s_xor_b64 exec, exec, vcc
	s_cbranch_execnz .LBB4_5003
.LBB4_4944:                             ;   in Loop: Header=BB4_4196 Depth=4
	s_or_b64 exec, exec, vcc
	s_and_saveexec_b64 s[36:37], s[40:41]
	s_cbranch_execz .LBB4_4946
.LBB4_4945:                             ;   in Loop: Header=BB4_4196 Depth=4
	v_and_b32_e32 v28, 7, v8
	v_ffbh_u32_e32 v22, v28
	v_min_u32_e32 v34, 32, v22
	v_subrev_u32_e32 v22, 28, v34
	v_lshlrev_b64 v[22:23], v22, v[8:9]
	v_and_b32_e32 v32, 0x7f, v8
	v_bfe_u32 v33, v8, 3, 4
	v_sub_u32_e32 v23, 29, v34
	v_and_b32_e32 v22, 7, v22
	v_cmp_gt_u32_e32 vcc, 8, v32
	v_cndmask_b32_e32 v23, v33, v23, vcc
	v_cndmask_b32_e32 v22, v28, v22, vcc
	v_lshlrev_b32_e32 v8, 24, v8
	v_lshlrev_b32_e32 v22, 20, v22
	v_and_b32_e32 v8, 0x80000000, v8
	v_lshl_add_u32 v23, v23, 23, v5
	v_or3_b32 v8, v8, v23, v22
	v_cmp_ne_u32_e32 vcc, s68, v32
	v_mov_b32_e32 v22, 0x7f800001
	v_cndmask_b32_e32 v28, v22, v8, vcc
.LBB4_4946:                             ;   in Loop: Header=BB4_4196 Depth=4
	s_or_b64 exec, exec, s[36:37]
	v_add_f32_e32 v8, v9, v28
	v_and_b32_e32 v22, 0x7f800000, v8
	v_mov_b32_e32 v23, v3
	v_cmp_ne_u64_e32 vcc, s[62:63], v[22:23]
                                        ; implicit-def: $vgpr28
	s_and_saveexec_b64 s[40:41], vcc
	s_xor_b64 s[36:37], exec, s[40:41]
	s_cbranch_execz .LBB4_4960
; %bb.4947:                             ;   in Loop: Header=BB4_4196 Depth=4
	v_and_b32_e32 v22, 0x7fffffff, v8
	v_mov_b32_e32 v23, v3
	v_cmp_gt_u64_e32 vcc, s[72:73], v[22:23]
	v_and_b32_sdwa v34, v8, s70 dst_sel:DWORD dst_unused:UNUSED_PAD src0_sel:BYTE_3 src1_sel:DWORD
                                        ; implicit-def: $vgpr28
	s_and_saveexec_b64 s[40:41], vcc
	s_xor_b64 s[38:39], exec, s[40:41]
	s_cbranch_execz .LBB4_4957
; %bb.4948:                             ;   in Loop: Header=BB4_4196 Depth=4
	v_mov_b32_e32 v28, 0
	v_cmp_ne_u32_e32 vcc, 0, v8
	s_and_saveexec_b64 s[48:49], vcc
	s_cbranch_execz .LBB4_4956
; %bb.4949:                             ;   in Loop: Header=BB4_4196 Depth=4
	v_bfe_u32 v28, v8, 23, 8
	v_and_b32_e32 v9, 0x7fffff, v8
	v_cmp_gt_u32_e64 s[40:41], s71, v28
	v_sub_u32_e32 v8, 0x79, v28
	v_cmp_eq_u32_e32 vcc, 0, v28
	v_cndmask_b32_e64 v8, 0, v8, s[40:41]
	v_mov_b32_e32 v23, 0x78
	v_or_b32_e32 v22, 0x800000, v9
	v_cndmask_b32_e32 v48, v8, v23, vcc
	v_cndmask_b32_e32 v8, v22, v9, vcc
	v_add_u32_e32 v22, 20, v48
	v_lshlrev_b64 v[22:23], v22, -1
	v_mov_b32_e32 v9, v3
	v_add_u32_e32 v32, 19, v48
	v_bfi_b32 v22, v22, 0, v8
	v_lshlrev_b64 v[32:33], v32, 1
	v_lshrrev_b64 v[8:9], v48, v[8:9]
	v_bfi_b32 v23, v23, 0, 0
	v_cmp_eq_u64_e64 s[40:41], v[22:23], v[32:33]
	v_mov_b32_e32 v47, v9
	v_mov_b32_e32 v46, v8
	s_and_saveexec_b64 s[50:51], s[40:41]
; %bb.4950:                             ;   in Loop: Header=BB4_4196 Depth=4
	v_bfe_u32 v9, v8, 20, 1
	v_add_co_u32_e64 v9, s[40:41], v8, v9
	v_add_co_u32_e64 v46, s[40:41], -1, v9
; %bb.4951:                             ;   in Loop: Header=BB4_4196 Depth=4
	s_or_b64 exec, exec, s[50:51]
	v_add_u32_e32 v9, 0xffffff81, v28
	v_mov_b32_e32 v22, 0xffffff82
	v_cndmask_b32_e32 v9, v9, v22, vcc
	v_lshrrev_b32_e32 v22, 23, v8
	v_add3_u32 v49, v48, v9, v22
	v_add_u32_e32 v48, 6, v49
	v_and_b32_e32 v9, 0xfffff, v46
	v_add_u32_e32 v8, v9, v8
	v_mov_b32_e32 v9, v3
	v_cmp_ne_u32_e32 vcc, 0, v48
                                        ; implicit-def: $vgpr28
	s_and_saveexec_b64 s[40:41], vcc
	s_xor_b64 s[40:41], exec, s[40:41]
; %bb.4952:                             ;   in Loop: Header=BB4_4196 Depth=4
	v_cmp_lt_u64_e32 vcc, s[74:75], v[8:9]
	v_add_u32_e32 v22, 7, v49
	v_cndmask_b32_e32 v28, v48, v22, vcc
	v_cndmask_b32_e64 v22, 0, 1, vcc
	v_lshrrev_b64 v[8:9], v22, v[8:9]
; %bb.4953:                             ;   in Loop: Header=BB4_4196 Depth=4
	s_andn2_saveexec_b64 s[40:41], s[40:41]
; %bb.4954:                             ;   in Loop: Header=BB4_4196 Depth=4
	v_bfe_u32 v28, v8, 23, 1
; %bb.4955:                             ;   in Loop: Header=BB4_4196 Depth=4
	s_or_b64 exec, exec, s[40:41]
	v_lshrrev_b64 v[8:9], 20, v[8:9]
	v_cmp_gt_i32_e32 vcc, 16, v28
	v_cndmask_b32_e32 v9, 0, v9, vcc
	v_cndmask_b32_e32 v8, 7, v8, vcc
	v_cmp_eq_u64_e64 s[40:41], 0, v[8:9]
	v_min_i32_e32 v9, 15, v28
	v_lshlrev_b32_e32 v9, 3, v9
	v_cmp_eq_u32_e32 vcc, 0, v28
	v_and_b32_e32 v9, 0xf8, v9
	v_and_or_b32 v8, v8, 7, v9
	s_and_b64 s[40:41], vcc, s[40:41]
	v_cndmask_b32_e64 v8, v8, 0, s[40:41]
	v_or_b32_e32 v28, v8, v34
.LBB4_4956:                             ;   in Loop: Header=BB4_4196 Depth=4
	s_or_b64 exec, exec, s[48:49]
                                        ; implicit-def: $vgpr34
.LBB4_4957:                             ;   in Loop: Header=BB4_4196 Depth=4
	s_andn2_saveexec_b64 s[40:41], s[38:39]
; %bb.4958:                             ;   in Loop: Header=BB4_4196 Depth=4
	v_or_b32_e32 v28, 0x7e, v34
; %bb.4959:                             ;   in Loop: Header=BB4_4196 Depth=4
	s_or_b64 exec, exec, s[40:41]
                                        ; implicit-def: $vgpr8
.LBB4_4960:                             ;   in Loop: Header=BB4_4196 Depth=4
	s_andn2_saveexec_b64 s[40:41], s[36:37]
; %bb.4961:                             ;   in Loop: Header=BB4_4196 Depth=4
	v_or_b32_sdwa v28, v8, s68 dst_sel:DWORD dst_unused:UNUSED_PAD src0_sel:BYTE_3 src1_sel:DWORD
; %bb.4962:                             ;   in Loop: Header=BB4_4196 Depth=4
	s_or_b64 exec, exec, s[40:41]
	v_cmp_lt_u32_e32 vcc, s57, v2
	v_mov_b32_e32 v9, 0
	s_and_saveexec_b64 s[40:41], vcc
	s_cbranch_execz .LBB4_4968
; %bb.4963:                             ;   in Loop: Header=BB4_4196 Depth=4
	v_lshrrev_b32_e32 v8, 24, v2
	v_cmp_ne_u32_sdwa vcc, v2, s70 src0_sel:BYTE_3 src1_sel:DWORD
	v_bfrev_b32_e32 v9, 1
	s_and_saveexec_b64 s[36:37], vcc
	s_cbranch_execz .LBB4_4967
; %bb.4964:                             ;   in Loop: Header=BB4_4196 Depth=4
	v_bfe_u32 v34, v2, 24, 7
	v_cmp_ne_u32_e32 vcc, s68, v34
	v_mov_b32_e32 v9, 0x7f800001
	s_and_saveexec_b64 s[38:39], vcc
	s_cbranch_execz .LBB4_4966
; %bb.4965:                             ;   in Loop: Header=BB4_4196 Depth=4
	v_and_b32_e32 v22, 7, v8
	v_ffbh_u32_e32 v9, v22
	v_min_u32_e32 v32, 32, v9
	v_subrev_u32_e32 v9, 28, v32
	v_lshlrev_b64 v[8:9], v9, v[8:9]
	v_cmp_gt_u32_e32 vcc, 8, v34
	v_and_b32_e32 v8, 7, v8
	v_lshrrev_b32_e32 v23, 3, v34
	v_sub_u32_e32 v9, 29, v32
	v_cndmask_b32_e32 v8, v22, v8, vcc
	v_mov_b32_e32 v22, 24
	v_cndmask_b32_e32 v9, v23, v9, vcc
	v_lshlrev_b32_sdwa v2, v22, v2 dst_sel:DWORD dst_unused:UNUSED_PAD src0_sel:DWORD src1_sel:BYTE_3
	v_lshlrev_b32_e32 v8, 20, v8
	v_and_b32_e32 v2, 0x80000000, v2
	v_lshl_add_u32 v9, v9, 23, v5
	v_or3_b32 v9, v2, v9, v8
.LBB4_4966:                             ;   in Loop: Header=BB4_4196 Depth=4
	s_or_b64 exec, exec, s[38:39]
.LBB4_4967:                             ;   in Loop: Header=BB4_4196 Depth=4
	s_or_b64 exec, exec, s[36:37]
.LBB4_4968:                             ;   in Loop: Header=BB4_4196 Depth=4
	s_or_b64 exec, exec, s[40:41]
	v_bfe_u32 v8, v11, 24, 3
	v_ffbh_u32_e32 v22, v8
	v_min_u32_e32 v34, 32, v22
	v_lshrrev_b32_e32 v2, 24, v11
	v_subrev_u32_e32 v22, 28, v34
	v_lshlrev_b64 v[22:23], v22, v[2:3]
	v_bfe_u32 v32, v11, 24, 7
	v_bfe_u32 v33, v2, 3, 4
	v_sub_u32_e32 v23, 29, v34
	v_and_b32_e32 v22, 7, v22
	v_cmp_gt_u32_e32 vcc, 8, v32
	v_cndmask_b32_e32 v23, v33, v23, vcc
	v_cndmask_b32_e32 v8, v8, v22, vcc
	v_lshlrev_b32_e32 v8, 20, v8
	v_and_b32_e32 v22, 0x80000000, v11
	v_lshl_add_u32 v23, v23, 23, v5
	v_or3_b32 v8, v22, v23, v8
	v_cmp_ne_u32_e32 vcc, s68, v32
	v_mov_b32_e32 v22, 0x7f800001
	v_cndmask_b32_e32 v8, v22, v8, vcc
	v_cmp_ne_u32_e32 vcc, s70, v2
	v_bfrev_b32_e32 v2, 1
	v_cndmask_b32_e32 v2, v2, v8, vcc
	v_cmp_lt_u64_e32 vcc, s[56:57], v[10:11]
	v_cndmask_b32_e32 v2, 0, v2, vcc
	v_add_f32_e32 v8, v2, v9
	v_and_b32_e32 v2, 0x7f800000, v8
	v_cmp_ne_u64_e32 vcc, s[62:63], v[2:3]
                                        ; implicit-def: $vgpr2
	s_and_saveexec_b64 s[40:41], vcc
	s_xor_b64 s[36:37], exec, s[40:41]
	s_cbranch_execz .LBB4_4982
; %bb.4969:                             ;   in Loop: Header=BB4_4196 Depth=4
	v_and_b32_e32 v2, 0x7fffffff, v8
	v_cmp_gt_u64_e32 vcc, s[72:73], v[2:3]
	v_and_b32_sdwa v11, v8, s70 dst_sel:DWORD dst_unused:UNUSED_PAD src0_sel:BYTE_3 src1_sel:DWORD
                                        ; implicit-def: $vgpr2
	s_and_saveexec_b64 s[40:41], vcc
	s_xor_b64 s[38:39], exec, s[40:41]
	s_cbranch_execz .LBB4_4979
; %bb.4970:                             ;   in Loop: Header=BB4_4196 Depth=4
	v_mov_b32_e32 v2, 0
	v_cmp_ne_u32_e32 vcc, 0, v8
	s_and_saveexec_b64 s[48:49], vcc
	s_cbranch_execz .LBB4_4978
; %bb.4971:                             ;   in Loop: Header=BB4_4196 Depth=4
	v_bfe_u32 v34, v8, 23, 8
	v_and_b32_e32 v2, 0x7fffff, v8
	v_cmp_gt_u32_e64 s[40:41], s71, v34
	v_sub_u32_e32 v8, 0x79, v34
	v_cmp_eq_u32_e32 vcc, 0, v34
	v_cndmask_b32_e64 v8, 0, v8, s[40:41]
	v_mov_b32_e32 v10, 0x78
	v_cndmask_b32_e32 v48, v8, v10, vcc
	v_or_b32_e32 v9, 0x800000, v2
	v_add_u32_e32 v8, 20, v48
	v_cndmask_b32_e32 v2, v9, v2, vcc
	v_lshlrev_b64 v[8:9], v8, -1
	v_add_u32_e32 v10, 19, v48
	v_lshlrev_b64 v[22:23], v10, 1
	v_bfi_b32 v9, v9, 0, 0
	v_bfi_b32 v8, v8, 0, v2
	v_cmp_eq_u64_e64 s[40:41], v[8:9], v[22:23]
	v_lshrrev_b64 v[8:9], v48, v[2:3]
	v_mov_b32_e32 v10, v9
	v_mov_b32_e32 v9, v8
	s_and_saveexec_b64 s[50:51], s[40:41]
; %bb.4972:                             ;   in Loop: Header=BB4_4196 Depth=4
	v_bfe_u32 v2, v8, 20, 1
	v_add_co_u32_e64 v2, s[40:41], v8, v2
	v_add_co_u32_e64 v9, s[40:41], -1, v2
; %bb.4973:                             ;   in Loop: Header=BB4_4196 Depth=4
	s_or_b64 exec, exec, s[50:51]
	v_add_u32_e32 v2, 0xffffff81, v34
	v_mov_b32_e32 v10, 0xffffff82
	v_cndmask_b32_e32 v2, v2, v10, vcc
	v_lshrrev_b32_e32 v10, 23, v8
	v_add3_u32 v48, v48, v2, v10
	v_add_u32_e32 v34, 6, v48
	v_and_b32_e32 v2, 0xfffff, v9
	v_add_u32_e32 v2, v2, v8
	v_cmp_ne_u32_e32 vcc, 0, v34
                                        ; implicit-def: $vgpr8_vgpr9
                                        ; implicit-def: $vgpr10
	s_and_saveexec_b64 s[40:41], vcc
	s_xor_b64 s[40:41], exec, s[40:41]
; %bb.4974:                             ;   in Loop: Header=BB4_4196 Depth=4
	v_cmp_lt_u64_e32 vcc, s[74:75], v[2:3]
	v_add_u32_e32 v8, 7, v48
	v_cndmask_b32_e32 v10, v34, v8, vcc
	v_cndmask_b32_e64 v8, 0, 1, vcc
	v_lshrrev_b64 v[8:9], v8, v[2:3]
; %bb.4975:                             ;   in Loop: Header=BB4_4196 Depth=4
	s_andn2_saveexec_b64 s[40:41], s[40:41]
; %bb.4976:                             ;   in Loop: Header=BB4_4196 Depth=4
	v_mov_b32_e32 v9, v3
	v_bfe_u32 v10, v2, 23, 1
	v_mov_b32_e32 v8, v2
; %bb.4977:                             ;   in Loop: Header=BB4_4196 Depth=4
	s_or_b64 exec, exec, s[40:41]
	v_lshrrev_b64 v[8:9], 20, v[8:9]
	v_cmp_gt_i32_e32 vcc, 16, v10
	v_cndmask_b32_e32 v9, 0, v9, vcc
	v_cndmask_b32_e32 v8, 7, v8, vcc
	v_min_i32_e32 v2, 15, v10
	v_cmp_eq_u64_e64 s[40:41], 0, v[8:9]
	v_lshlrev_b32_e32 v2, 3, v2
	v_cmp_eq_u32_e32 vcc, 0, v10
	v_and_b32_e32 v2, 0xf8, v2
	v_and_or_b32 v2, v8, 7, v2
	s_and_b64 s[40:41], vcc, s[40:41]
	v_cndmask_b32_e64 v2, v2, 0, s[40:41]
	v_or_b32_e32 v2, v2, v11
.LBB4_4978:                             ;   in Loop: Header=BB4_4196 Depth=4
	s_or_b64 exec, exec, s[48:49]
                                        ; implicit-def: $vgpr11
.LBB4_4979:                             ;   in Loop: Header=BB4_4196 Depth=4
	s_andn2_saveexec_b64 s[40:41], s[38:39]
; %bb.4980:                             ;   in Loop: Header=BB4_4196 Depth=4
	v_or_b32_e32 v2, 0x7e, v11
; %bb.4981:                             ;   in Loop: Header=BB4_4196 Depth=4
	s_or_b64 exec, exec, s[40:41]
                                        ; implicit-def: $vgpr8
.LBB4_4982:                             ;   in Loop: Header=BB4_4196 Depth=4
	s_andn2_saveexec_b64 s[40:41], s[36:37]
	s_cbranch_execz .LBB4_4195
; %bb.4983:                             ;   in Loop: Header=BB4_4196 Depth=4
	v_or_b32_sdwa v2, v8, s68 dst_sel:DWORD dst_unused:UNUSED_PAD src0_sel:BYTE_3 src1_sel:DWORD
	s_branch .LBB4_4195
.LBB4_4984:                             ;   in Loop: Header=BB4_4196 Depth=4
	s_or_saveexec_b64 vcc, vcc
	v_bfrev_b32_e32 v4, 1
	s_xor_b64 exec, exec, vcc
	s_cbranch_execz .LBB4_4566
.LBB4_4985:                             ;   in Loop: Header=BB4_4196 Depth=4
	v_cmp_ne_u16_sdwa s[36:37], v8, v3 src0_sel:BYTE_0 src1_sel:DWORD
	s_andn2_b64 s[40:41], s[40:41], exec
	s_and_b64 s[36:37], s[36:37], exec
	v_mov_b32_e32 v4, 0
	s_or_b64 s[40:41], s[40:41], s[36:37]
	s_or_b64 exec, exec, vcc
	s_and_saveexec_b64 s[36:37], s[40:41]
	s_cbranch_execnz .LBB4_4567
	s_branch .LBB4_4568
.LBB4_4986:                             ;   in Loop: Header=BB4_4196 Depth=4
	s_or_saveexec_b64 s[36:37], s[36:37]
	v_bfrev_b32_e32 v21, 1
	s_xor_b64 exec, exec, s[36:37]
	s_cbranch_execz .LBB4_4594
.LBB4_4987:                             ;   in Loop: Header=BB4_4196 Depth=4
	v_cmp_ne_u16_e32 vcc, 0, v46
	s_andn2_b64 s[40:41], s[40:41], exec
	s_and_b64 vcc, vcc, exec
	v_mov_b32_e32 v21, 0
	s_or_b64 s[40:41], s[40:41], vcc
	s_or_b64 exec, exec, s[36:37]
	s_and_saveexec_b64 s[36:37], s[40:41]
	s_cbranch_execnz .LBB4_4595
	s_branch .LBB4_4596
.LBB4_4988:                             ;   in Loop: Header=BB4_4196 Depth=4
	s_or_saveexec_b64 vcc, vcc
	v_bfrev_b32_e32 v35, 1
	s_xor_b64 exec, exec, vcc
	s_cbranch_execz .LBB4_4622
.LBB4_4989:                             ;   in Loop: Header=BB4_4196 Depth=4
	v_cmp_ne_u16_sdwa s[36:37], v30, v3 src0_sel:BYTE_0 src1_sel:DWORD
	s_andn2_b64 s[40:41], s[40:41], exec
	s_and_b64 s[36:37], s[36:37], exec
	v_mov_b32_e32 v35, 0
	s_or_b64 s[40:41], s[40:41], s[36:37]
	s_or_b64 exec, exec, vcc
	s_and_saveexec_b64 s[36:37], s[40:41]
	s_cbranch_execnz .LBB4_4623
	s_branch .LBB4_4624
.LBB4_4990:                             ;   in Loop: Header=BB4_4196 Depth=4
	s_or_saveexec_b64 s[36:37], s[36:37]
	v_bfrev_b32_e32 v30, 1
	s_xor_b64 exec, exec, s[36:37]
	s_cbranch_execz .LBB4_4702
.LBB4_4991:                             ;   in Loop: Header=BB4_4196 Depth=4
	v_cmp_ne_u16_e32 vcc, 0, v46
	s_andn2_b64 s[40:41], s[40:41], exec
	s_and_b64 vcc, vcc, exec
	v_mov_b32_e32 v30, 0
	s_or_b64 s[40:41], s[40:41], vcc
	s_or_b64 exec, exec, s[36:37]
	s_and_saveexec_b64 s[36:37], s[40:41]
	s_cbranch_execnz .LBB4_4703
	s_branch .LBB4_4704
.LBB4_4992:                             ;   in Loop: Header=BB4_4196 Depth=4
	s_or_saveexec_b64 vcc, vcc
	v_bfrev_b32_e32 v48, 1
	s_xor_b64 exec, exec, vcc
	s_cbranch_execz .LBB4_4730
.LBB4_4993:                             ;   in Loop: Header=BB4_4196 Depth=4
	v_cmp_ne_u16_sdwa s[36:37], v30, v3 src0_sel:BYTE_0 src1_sel:DWORD
	s_andn2_b64 s[40:41], s[40:41], exec
	s_and_b64 s[36:37], s[36:37], exec
	v_mov_b32_e32 v48, 0
	s_or_b64 s[40:41], s[40:41], s[36:37]
	s_or_b64 exec, exec, vcc
	s_and_saveexec_b64 s[36:37], s[40:41]
	s_cbranch_execnz .LBB4_4731
	s_branch .LBB4_4732
.LBB4_4994:                             ;   in Loop: Header=BB4_4196 Depth=4
	s_or_saveexec_b64 vcc, vcc
	v_bfrev_b32_e32 v9, 1
	s_xor_b64 exec, exec, vcc
	s_cbranch_execz .LBB4_4780
.LBB4_4995:                             ;   in Loop: Header=BB4_4196 Depth=4
	v_cmp_ne_u16_sdwa s[36:37], v10, v3 src0_sel:BYTE_0 src1_sel:DWORD
	s_andn2_b64 s[40:41], s[40:41], exec
	s_and_b64 s[36:37], s[36:37], exec
	v_mov_b32_e32 v9, 0
	s_or_b64 s[40:41], s[40:41], s[36:37]
	s_or_b64 exec, exec, vcc
	s_and_saveexec_b64 s[36:37], s[40:41]
	s_cbranch_execnz .LBB4_4781
	s_branch .LBB4_4782
.LBB4_4996:                             ;   in Loop: Header=BB4_4196 Depth=4
	s_or_saveexec_b64 s[36:37], s[36:37]
	v_bfrev_b32_e32 v9, 1
	s_xor_b64 exec, exec, s[36:37]
	s_cbranch_execz .LBB4_4808
.LBB4_4997:                             ;   in Loop: Header=BB4_4196 Depth=4
	v_cmp_ne_u16_e32 vcc, 0, v8
	s_andn2_b64 s[40:41], s[40:41], exec
	s_and_b64 vcc, vcc, exec
	v_mov_b32_e32 v9, 0
	s_or_b64 s[40:41], s[40:41], vcc
	s_or_b64 exec, exec, s[36:37]
	s_and_saveexec_b64 s[36:37], s[40:41]
	s_cbranch_execnz .LBB4_4809
	s_branch .LBB4_4810
.LBB4_4998:                             ;   in Loop: Header=BB4_4196 Depth=4
	s_or_saveexec_b64 vcc, vcc
	v_bfrev_b32_e32 v36, 1
	s_xor_b64 exec, exec, vcc
	s_cbranch_execz .LBB4_4836
.LBB4_4999:                             ;   in Loop: Header=BB4_4196 Depth=4
	v_cmp_ne_u16_sdwa s[36:37], v8, v3 src0_sel:BYTE_0 src1_sel:DWORD
	s_andn2_b64 s[40:41], s[40:41], exec
	s_and_b64 s[36:37], s[36:37], exec
	v_mov_b32_e32 v36, 0
	s_or_b64 s[40:41], s[40:41], s[36:37]
	s_or_b64 exec, exec, vcc
	s_and_saveexec_b64 s[36:37], s[40:41]
	s_cbranch_execnz .LBB4_4837
	s_branch .LBB4_4838
.LBB4_5000:                             ;   in Loop: Header=BB4_4196 Depth=4
	s_or_saveexec_b64 s[36:37], s[36:37]
	v_bfrev_b32_e32 v9, 1
	s_xor_b64 exec, exec, s[36:37]
	s_cbranch_execz .LBB4_4916
.LBB4_5001:                             ;   in Loop: Header=BB4_4196 Depth=4
	v_cmp_ne_u16_e32 vcc, 0, v8
	s_andn2_b64 s[40:41], s[40:41], exec
	s_and_b64 vcc, vcc, exec
	v_mov_b32_e32 v9, 0
	s_or_b64 s[40:41], s[40:41], vcc
	s_or_b64 exec, exec, s[36:37]
	s_and_saveexec_b64 s[36:37], s[40:41]
	s_cbranch_execnz .LBB4_4917
	s_branch .LBB4_4918
.LBB4_5002:                             ;   in Loop: Header=BB4_4196 Depth=4
	s_or_saveexec_b64 vcc, vcc
	v_bfrev_b32_e32 v28, 1
	s_xor_b64 exec, exec, vcc
	s_cbranch_execz .LBB4_4944
.LBB4_5003:                             ;   in Loop: Header=BB4_4196 Depth=4
	v_cmp_ne_u16_sdwa s[36:37], v8, v3 src0_sel:BYTE_0 src1_sel:DWORD
	s_andn2_b64 s[40:41], s[40:41], exec
	s_and_b64 s[36:37], s[36:37], exec
	v_mov_b32_e32 v28, 0
	s_or_b64 s[40:41], s[40:41], s[36:37]
	s_or_b64 exec, exec, vcc
	s_and_saveexec_b64 s[36:37], s[40:41]
	s_cbranch_execnz .LBB4_4945
	s_branch .LBB4_4946
.LBB4_5004:                             ;   in Loop: Header=BB4_2501 Depth=3
	s_or_b64 exec, exec, s[34:35]
	v_mov_b32_e32 v21, v53
	v_mov_b32_e32 v13, v40
	;; [unrolled: 1-line block ×4, first 2 shown]
.LBB4_5005:                             ;   in Loop: Header=BB4_2501 Depth=3
	s_or_b64 exec, exec, s[30:31]
	buffer_load_dword v2, off, s[0:3], s33 offset:148 ; 4-byte Folded Reload
	v_cmp_lt_i32_e32 vcc, 0, v18
	s_waitcnt vmcnt(0)
	v_and_b32_e32 v2, 15, v2
	v_sub_u32_e32 v4, v6, v2
	v_cndmask_b32_e64 v6, v6, v2, s[28:29]
	buffer_load_dword v2, off, s[0:3], s33 offset:88 ; 4-byte Folded Reload
	v_cndmask_b32_e64 v4, 0, v4, s[28:29]
	v_add3_u32 v1, v1, v16, v4
	s_waitcnt vmcnt(0)
	v_cndmask_b32_e32 v2, 0, v2, vcc
	v_sub_u32_e32 v2, v2, v18
	v_cmp_ne_u32_e32 vcc, 0, v6
	v_lshl_add_u32 v7, v2, 6, v7
	s_and_b64 s[28:29], vcc, exec
.LBB4_5006:                             ;   in Loop: Header=BB4_2501 Depth=3
	s_or_b64 exec, exec, s[94:95]
	s_and_saveexec_b64 s[40:41], s[28:29]
	s_cbranch_execz .LBB4_6011
.LBB4_5007:                             ;   in Loop: Header=BB4_2501 Depth=3
	s_waitcnt vmcnt(1)
	v_ashrrev_i32_e32 v2, 31, v7
	v_ashrrev_i32_e32 v4, 31, v6
	v_lshrrev_b32_e32 v2, 26, v2
	v_lshrrev_b32_e32 v4, 22, v4
	v_add_u32_e32 v2, v7, v2
	v_add_u32_e32 v4, v6, v4
	v_ashrrev_i32_e32 v16, 6, v2
	v_ashrrev_i32_e32 v20, 10, v4
	v_sub_u32_e32 v18, v20, v16
	v_cmp_lt_i32_e32 vcc, 0, v18
	s_and_saveexec_b64 s[94:95], vcc
	s_cbranch_execz .LBB4_5944
; %bb.5008:                             ;   in Loop: Header=BB4_2501 Depth=3
	v_and_b32_e32 v2, 0xffffffc0, v2
	s_trap 2
	ds_read_b64 v[10:11], v0
	v_sub_u32_e32 v2, v7, v2
	v_lshlrev_b32_e32 v4, 10, v16
	v_add3_u32 v2, v1, v2, v4
	v_ashrrev_i32_e32 v4, 31, v2
	v_add_co_u32_e32 v8, vcc, v2, v13
	v_addc_co_u32_e32 v9, vcc, v4, v14, vcc
	s_waitcnt lgkmcnt(0)
	v_add_co_u32_e32 v10, vcc, v10, v2
	v_addc_co_u32_e32 v11, vcc, v11, v4, vcc
	v_add_co_u32_e32 v12, vcc, 0x3c0, v21
	v_addc_co_u32_e32 v13, vcc, 0, v22, vcc
	;; [unrolled: 2-line block ×3, first 2 shown]
	s_mov_b64 s[30:31], 0
	s_branch .LBB4_5010
.LBB4_5009:                             ;   in Loop: Header=BB4_5010 Depth=4
	s_or_b64 exec, exec, s[28:29]
	v_add_co_u32_e32 v14, vcc, 0xfffffc40, v12
	v_addc_co_u32_e32 v15, vcc, -1, v13, vcc
	flat_store_byte v[14:15], v21 glc slc
	v_add_co_u32_e32 v14, vcc, 0xfffffc80, v12
	v_addc_co_u32_e32 v15, vcc, -1, v13, vcc
	flat_store_byte v[14:15], v31 glc slc
	v_add_co_u32_e32 v14, vcc, 0xfffffcc0, v12
	v_addc_co_u32_e32 v15, vcc, -1, v13, vcc
	flat_store_byte v[14:15], v49 glc slc
	v_add_co_u32_e32 v14, vcc, 0xfffffd00, v12
	v_addc_co_u32_e32 v15, vcc, -1, v13, vcc
	flat_store_byte v[14:15], v39 glc slc
	v_add_co_u32_e32 v14, vcc, 0xfffffd40, v12
	v_addc_co_u32_e32 v15, vcc, -1, v13, vcc
	flat_store_byte v[14:15], v38 glc slc
	v_add_co_u32_e32 v14, vcc, 0xfffffd80, v12
	v_addc_co_u32_e32 v15, vcc, -1, v13, vcc
	flat_store_byte v[14:15], v37 glc slc
	v_add_co_u32_e32 v14, vcc, 0xfffffdc0, v12
	v_addc_co_u32_e32 v15, vcc, -1, v13, vcc
	flat_store_byte v[14:15], v36 glc slc
	v_add_co_u32_e32 v14, vcc, 0xfffffe00, v12
	v_addc_co_u32_e32 v15, vcc, -1, v13, vcc
	flat_store_byte v[14:15], v35 glc slc
	v_add_co_u32_e32 v14, vcc, 0xfffffe40, v12
	v_addc_co_u32_e32 v15, vcc, -1, v13, vcc
	flat_store_byte v[14:15], v34 glc slc
	v_add_co_u32_e32 v14, vcc, 0xfffffe80, v12
	v_addc_co_u32_e32 v15, vcc, -1, v13, vcc
	flat_store_byte v[14:15], v29 glc slc
	v_add_co_u32_e32 v14, vcc, 0xfffffec0, v12
	v_addc_co_u32_e32 v15, vcc, -1, v13, vcc
	flat_store_byte v[14:15], v28 glc slc
	v_add_co_u32_e32 v14, vcc, 0xffffff00, v12
	v_addc_co_u32_e32 v15, vcc, -1, v13, vcc
	flat_store_byte v[14:15], v27 glc slc
	v_add_co_u32_e32 v14, vcc, 0xffffff40, v12
	v_addc_co_u32_e32 v15, vcc, -1, v13, vcc
	flat_store_byte v[14:15], v26 glc slc
	v_add_co_u32_e32 v14, vcc, 0xffffff80, v12
	v_addc_co_u32_e32 v15, vcc, -1, v13, vcc
	flat_store_byte v[14:15], v25 glc slc
	v_add_co_u32_e32 v14, vcc, s80, v12
	v_addc_co_u32_e32 v15, vcc, -1, v13, vcc
	flat_store_byte v[14:15], v24 glc slc
	flat_store_byte v[12:13], v2 glc slc
	buffer_load_dword v4, off, s[0:3], s33 offset:92 ; 4-byte Folded Reload
	s_nop 0
	buffer_load_dword v2, off, s[0:3], s33 offset:88 ; 4-byte Folded Reload
	s_waitcnt vmcnt(0)
	v_add_co_u32_e32 v8, vcc, v8, v4
	v_addc_co_u32_e32 v9, vcc, 0, v9, vcc
	v_add_co_u32_e32 v10, vcc, v10, v4
	v_addc_co_u32_e32 v11, vcc, 0, v11, vcc
	v_sub_u32_e32 v18, v18, v2
	v_cmp_gt_i32_e32 vcc, 1, v18
	s_or_b64 s[30:31], vcc, s[30:31]
	v_add_co_u32_e32 v12, vcc, v12, v4
	v_addc_co_u32_e32 v13, vcc, 0, v13, vcc
	s_andn2_b64 exec, exec, s[30:31]
	s_cbranch_execz .LBB4_5943
.LBB4_5010:                             ;   Parent Loop BB4_47 Depth=1
                                        ;     Parent Loop BB4_2498 Depth=2
                                        ;       Parent Loop BB4_2501 Depth=3
                                        ; =>      This Inner Loop Header: Depth=4
	s_trap 2
	ds_read_b64 v[14:15], v0
	s_waitcnt lgkmcnt(0)
	v_cmp_eq_u32_sdwa vcc, v14, v3 src0_sel:BYTE_0 src1_sel:DWORD
	v_readfirstlane_b32 s28, v14
	v_readfirstlane_b32 s29, v15
	s_and_b64 vcc, exec, vcc
	s_cbranch_vccnz .LBB4_5014
; %bb.5011:                             ;   in Loop: Header=BB4_5010 Depth=4
	v_cmp_eq_u32_sdwa vcc, v14, s70 src0_sel:BYTE_0 src1_sel:DWORD
	s_brev_b32 s45, 1
	s_and_b64 vcc, exec, vcc
	s_cbranch_vccnz .LBB4_5015
; %bb.5012:                             ;   in Loop: Header=BB4_5010 Depth=4
	s_and_b32 vcc_lo, s28, 0x7f
	s_cmpk_eq_i32 vcc_lo, 0x7f
	s_mov_b32 s45, 0x7f800001
	s_cbranch_scc1 .LBB4_5015
; %bb.5013:                             ;   in Loop: Header=BB4_5010 Depth=4
	s_and_b32 s45, s28, 7
	s_flbit_i32_b32 s45, s45
	s_min_u32 s45, s45, 32
	s_lshr_b32 vcc_hi, vcc_lo, 3
	s_sub_i32 s34, s45, 28
	s_sub_i32 s45, 29, s45
	s_cmp_lt_u32 vcc_lo, 8
	s_cselect_b32 s45, s45, vcc_hi
	s_cselect_b32 vcc_lo, s34, 0
	s_lshl_b64 vcc, s[28:29], vcc_lo
	s_lshl_b32 s28, s28, 24
	s_lshl_b32 s45, s45, 23
	s_lshl_b32 s29, vcc_lo, 20
	s_and_b32 s28, s28, 0x80000000
	s_add_i32 s45, s45, 0x3c000000
	s_and_b32 s29, s29, 0x700000
	s_or_b32 s28, s28, s45
	s_or_b32 s45, s28, s29
	s_branch .LBB4_5015
.LBB4_5014:                             ;   in Loop: Header=BB4_5010 Depth=4
	s_mov_b32 s45, 0
.LBB4_5015:                             ;   in Loop: Header=BB4_5010 Depth=4
	flat_load_ubyte v4, v[8:9] glc slc
	v_mov_b32_e32 v14, 0
	s_waitcnt vmcnt(0) lgkmcnt(0)
	v_cmp_ne_u16_e32 vcc, 0, v4
	s_and_saveexec_b64 s[28:29], vcc
	s_cbranch_execz .LBB4_5021
; %bb.5016:                             ;   in Loop: Header=BB4_5010 Depth=4
	v_cmp_ne_u16_e32 vcc, s70, v4
	v_bfrev_b32_e32 v14, 1
	s_and_saveexec_b64 s[34:35], vcc
	s_cbranch_execz .LBB4_5020
; %bb.5017:                             ;   in Loop: Header=BB4_5010 Depth=4
	v_and_b32_e32 v2, 0xffff, v4
	v_and_b32_e32 v15, 0x7f, v2
	v_cmp_ne_u32_e32 vcc, s68, v15
	v_mov_b32_e32 v14, 0x7f800001
	s_and_saveexec_b64 s[36:37], vcc
	s_cbranch_execz .LBB4_5019
; %bb.5018:                             ;   in Loop: Header=BB4_5010 Depth=4
	v_and_b32_e32 v17, 7, v2
	v_ffbh_u32_e32 v14, v17
	v_min_u32_e32 v22, 32, v14
	v_subrev_u32_e32 v14, 28, v22
	v_lshrrev_b32_e32 v21, 3, v15
	v_cmp_gt_u32_e32 vcc, 8, v15
	v_lshlrev_b64 v[14:15], v14, v[2:3]
	v_sub_u32_e32 v2, 29, v22
	v_and_b32_e32 v14, 7, v14
	v_cndmask_b32_e32 v2, v21, v2, vcc
	v_cndmask_b32_e32 v14, v17, v14, vcc
	v_lshlrev_b32_e32 v4, 24, v4
	v_lshlrev_b32_e32 v14, 20, v14
	v_and_b32_e32 v4, 0x80000000, v4
	v_lshl_add_u32 v2, v2, 23, v5
	v_or3_b32 v14, v4, v2, v14
.LBB4_5019:                             ;   in Loop: Header=BB4_5010 Depth=4
	s_or_b64 exec, exec, s[36:37]
.LBB4_5020:                             ;   in Loop: Header=BB4_5010 Depth=4
	s_or_b64 exec, exec, s[34:35]
.LBB4_5021:                             ;   in Loop: Header=BB4_5010 Depth=4
	s_or_b64 exec, exec, s[28:29]
	v_mul_f32_e32 v14, s45, v14
	v_and_b32_e32 v2, 0x7f800000, v14
	v_cmp_ne_u64_e32 vcc, s[62:63], v[2:3]
                                        ; implicit-def: $vgpr21
	s_and_saveexec_b64 s[28:29], vcc
	s_xor_b64 s[34:35], exec, s[28:29]
	s_cbranch_execz .LBB4_5039
; %bb.5022:                             ;   in Loop: Header=BB4_5010 Depth=4
	v_and_b32_e32 v2, 0x7fffffff, v14
	v_cmp_gt_u64_e32 vcc, s[72:73], v[2:3]
	v_and_b32_sdwa v4, v14, s70 dst_sel:DWORD dst_unused:UNUSED_PAD src0_sel:BYTE_3 src1_sel:DWORD
                                        ; implicit-def: $vgpr21
	s_and_saveexec_b64 s[28:29], vcc
	s_xor_b64 s[36:37], exec, s[28:29]
	s_cbranch_execz .LBB4_5036
; %bb.5023:                             ;   in Loop: Header=BB4_5010 Depth=4
	v_cmp_ne_u32_e32 vcc, 0, v14
	v_mov_b32_e32 v21, 0
	s_and_saveexec_b64 s[38:39], vcc
	s_cbranch_execz .LBB4_5035
; %bb.5024:                             ;   in Loop: Header=BB4_5010 Depth=4
	v_bfe_u32 v17, v14, 23, 8
	v_and_b32_e32 v2, 0x7fffff, v14
	v_cmp_gt_u32_e64 s[28:29], s71, v17
	v_sub_u32_e32 v14, 0x79, v17
	v_cmp_eq_u32_e32 vcc, 0, v17
	v_cndmask_b32_e64 v14, 0, v14, s[28:29]
	v_mov_b32_e32 v21, 0x78
	v_cndmask_b32_e32 v21, v14, v21, vcc
	v_or_b32_e32 v15, 0x800000, v2
	v_add_u32_e32 v14, 20, v21
	v_cndmask_b32_e32 v2, v15, v2, vcc
	v_lshlrev_b64 v[14:15], v14, -1
	v_add_u32_e32 v22, 19, v21
	v_lshlrev_b64 v[22:23], v22, 1
	v_bfi_b32 v15, v15, 0, 0
	v_bfi_b32 v14, v14, 0, v2
	v_cmp_eq_u64_e64 s[28:29], v[14:15], v[22:23]
	v_lshrrev_b64 v[14:15], v21, v[2:3]
	v_mov_b32_e32 v41, v15
	v_mov_b32_e32 v40, v14
	s_and_saveexec_b64 s[48:49], s[28:29]
; %bb.5025:                             ;   in Loop: Header=BB4_5010 Depth=4
	v_bfe_u32 v2, v14, 20, 1
	v_add_co_u32_e64 v2, s[28:29], v14, v2
	v_add_co_u32_e64 v40, s[28:29], -1, v2
; %bb.5026:                             ;   in Loop: Header=BB4_5010 Depth=4
	s_or_b64 exec, exec, s[48:49]
	v_add_u32_e32 v2, 0xffffff81, v17
	v_mov_b32_e32 v15, 0xffffff82
	v_cndmask_b32_e32 v2, v2, v15, vcc
	v_lshrrev_b32_e32 v15, 23, v14
	v_add3_u32 v24, v21, v2, v15
	v_add_u32_e32 v21, 6, v24
	v_and_b32_e32 v2, 0xfffff, v40
	v_add_u32_e32 v2, v2, v14
	v_cmp_ne_u32_e32 vcc, 0, v21
                                        ; implicit-def: $vgpr14_vgpr15
                                        ; implicit-def: $vgpr17
	s_and_saveexec_b64 s[28:29], vcc
	s_xor_b64 s[28:29], exec, s[28:29]
; %bb.5027:                             ;   in Loop: Header=BB4_5010 Depth=4
	v_cmp_lt_u64_e32 vcc, s[74:75], v[2:3]
	v_add_u32_e32 v14, 7, v24
	v_cndmask_b32_e32 v17, v21, v14, vcc
	v_cndmask_b32_e64 v14, 0, 1, vcc
	v_lshrrev_b64 v[14:15], v14, v[2:3]
; %bb.5028:                             ;   in Loop: Header=BB4_5010 Depth=4
	s_andn2_saveexec_b64 s[28:29], s[28:29]
; %bb.5029:                             ;   in Loop: Header=BB4_5010 Depth=4
	v_mov_b32_e32 v15, v3
	v_bfe_u32 v17, v2, 23, 1
	v_mov_b32_e32 v14, v2
; %bb.5030:                             ;   in Loop: Header=BB4_5010 Depth=4
	s_or_b64 exec, exec, s[28:29]
	v_lshrrev_b64 v[14:15], 20, v[14:15]
	v_cmp_gt_i32_e32 vcc, 16, v17
	v_cndmask_b32_e32 v15, 0, v15, vcc
	v_cndmask_b32_e32 v14, 7, v14, vcc
	v_cmp_ne_u64_e32 vcc, 0, v[14:15]
	v_cmp_ne_u32_e64 s[28:29], 0, v17
	s_or_b64 s[28:29], s[28:29], vcc
                                        ; implicit-def: $vgpr21
	s_and_saveexec_b64 vcc, s[28:29]
	s_xor_b64 s[28:29], exec, vcc
; %bb.5031:                             ;   in Loop: Header=BB4_5010 Depth=4
	v_min_i32_e32 v2, 15, v17
	v_lshl_or_b32 v2, v2, 3, v4
	v_and_or_b32 v21, v14, 7, v2
                                        ; implicit-def: $vgpr4
; %bb.5032:                             ;   in Loop: Header=BB4_5010 Depth=4
	s_andn2_saveexec_b64 s[28:29], s[28:29]
; %bb.5033:                             ;   in Loop: Header=BB4_5010 Depth=4
	v_mov_b32_e32 v21, v4
; %bb.5034:                             ;   in Loop: Header=BB4_5010 Depth=4
	s_or_b64 exec, exec, s[28:29]
.LBB4_5035:                             ;   in Loop: Header=BB4_5010 Depth=4
	s_or_b64 exec, exec, s[38:39]
                                        ; implicit-def: $vgpr4
.LBB4_5036:                             ;   in Loop: Header=BB4_5010 Depth=4
	s_andn2_saveexec_b64 s[28:29], s[36:37]
; %bb.5037:                             ;   in Loop: Header=BB4_5010 Depth=4
	v_or_b32_e32 v21, 0x7e, v4
; %bb.5038:                             ;   in Loop: Header=BB4_5010 Depth=4
	s_or_b64 exec, exec, s[28:29]
                                        ; implicit-def: $vgpr14
.LBB4_5039:                             ;   in Loop: Header=BB4_5010 Depth=4
	s_andn2_saveexec_b64 s[28:29], s[34:35]
; %bb.5040:                             ;   in Loop: Header=BB4_5010 Depth=4
	v_or_b32_sdwa v21, v14, s68 dst_sel:DWORD dst_unused:UNUSED_PAD src0_sel:BYTE_3 src1_sel:DWORD
; %bb.5041:                             ;   in Loop: Header=BB4_5010 Depth=4
	s_or_b64 exec, exec, s[28:29]
	flat_load_ubyte v4, v[8:9] offset:64 glc slc
	v_mov_b32_e32 v14, 0
	s_waitcnt vmcnt(0) lgkmcnt(0)
	v_cmp_ne_u16_e32 vcc, 0, v4
	s_and_saveexec_b64 s[28:29], vcc
	s_cbranch_execz .LBB4_5047
; %bb.5042:                             ;   in Loop: Header=BB4_5010 Depth=4
	v_cmp_ne_u16_e32 vcc, s70, v4
	v_bfrev_b32_e32 v14, 1
	s_and_saveexec_b64 s[34:35], vcc
	s_cbranch_execz .LBB4_5046
; %bb.5043:                             ;   in Loop: Header=BB4_5010 Depth=4
	v_and_b32_e32 v2, 0xffff, v4
	v_and_b32_e32 v15, 0x7f, v2
	v_cmp_ne_u32_e32 vcc, s68, v15
	v_mov_b32_e32 v14, 0x7f800001
	s_and_saveexec_b64 s[36:37], vcc
	s_cbranch_execz .LBB4_5045
; %bb.5044:                             ;   in Loop: Header=BB4_5010 Depth=4
	v_and_b32_e32 v17, 7, v2
	v_ffbh_u32_e32 v14, v17
	v_min_u32_e32 v23, 32, v14
	v_subrev_u32_e32 v14, 28, v23
	v_lshrrev_b32_e32 v22, 3, v15
	v_cmp_gt_u32_e32 vcc, 8, v15
	v_lshlrev_b64 v[14:15], v14, v[2:3]
	v_sub_u32_e32 v2, 29, v23
	v_and_b32_e32 v14, 7, v14
	v_cndmask_b32_e32 v2, v22, v2, vcc
	v_cndmask_b32_e32 v14, v17, v14, vcc
	v_lshlrev_b32_e32 v4, 24, v4
	v_lshlrev_b32_e32 v14, 20, v14
	v_and_b32_e32 v4, 0x80000000, v4
	v_lshl_add_u32 v2, v2, 23, v5
	v_or3_b32 v14, v4, v2, v14
.LBB4_5045:                             ;   in Loop: Header=BB4_5010 Depth=4
	s_or_b64 exec, exec, s[36:37]
.LBB4_5046:                             ;   in Loop: Header=BB4_5010 Depth=4
	s_or_b64 exec, exec, s[34:35]
.LBB4_5047:                             ;   in Loop: Header=BB4_5010 Depth=4
	s_or_b64 exec, exec, s[28:29]
	v_mul_f32_e32 v14, s45, v14
	v_and_b32_e32 v2, 0x7f800000, v14
	v_cmp_ne_u64_e32 vcc, s[62:63], v[2:3]
                                        ; implicit-def: $vgpr31
	s_and_saveexec_b64 s[28:29], vcc
	s_xor_b64 s[34:35], exec, s[28:29]
	s_cbranch_execz .LBB4_5065
; %bb.5048:                             ;   in Loop: Header=BB4_5010 Depth=4
	v_and_b32_e32 v2, 0x7fffffff, v14
	v_cmp_gt_u64_e32 vcc, s[72:73], v[2:3]
	v_and_b32_sdwa v4, v14, s70 dst_sel:DWORD dst_unused:UNUSED_PAD src0_sel:BYTE_3 src1_sel:DWORD
                                        ; implicit-def: $vgpr31
	s_and_saveexec_b64 s[28:29], vcc
	s_xor_b64 s[36:37], exec, s[28:29]
	s_cbranch_execz .LBB4_5062
; %bb.5049:                             ;   in Loop: Header=BB4_5010 Depth=4
	v_cmp_ne_u32_e32 vcc, 0, v14
	v_mov_b32_e32 v31, 0
	s_and_saveexec_b64 s[38:39], vcc
	s_cbranch_execz .LBB4_5061
; %bb.5050:                             ;   in Loop: Header=BB4_5010 Depth=4
	v_bfe_u32 v17, v14, 23, 8
	v_and_b32_e32 v2, 0x7fffff, v14
	v_cmp_gt_u32_e64 s[28:29], s71, v17
	v_sub_u32_e32 v14, 0x79, v17
	v_cmp_eq_u32_e32 vcc, 0, v17
	v_cndmask_b32_e64 v14, 0, v14, s[28:29]
	v_mov_b32_e32 v22, 0x78
	v_cndmask_b32_e32 v24, v14, v22, vcc
	v_or_b32_e32 v15, 0x800000, v2
	v_add_u32_e32 v14, 20, v24
	v_cndmask_b32_e32 v2, v15, v2, vcc
	v_lshlrev_b64 v[14:15], v14, -1
	v_add_u32_e32 v22, 19, v24
	v_lshlrev_b64 v[22:23], v22, 1
	v_bfi_b32 v15, v15, 0, 0
	v_bfi_b32 v14, v14, 0, v2
	v_cmp_eq_u64_e64 s[28:29], v[14:15], v[22:23]
	v_lshrrev_b64 v[14:15], v24, v[2:3]
	v_mov_b32_e32 v41, v15
	v_mov_b32_e32 v40, v14
	s_and_saveexec_b64 s[48:49], s[28:29]
; %bb.5051:                             ;   in Loop: Header=BB4_5010 Depth=4
	v_bfe_u32 v2, v14, 20, 1
	v_add_co_u32_e64 v2, s[28:29], v14, v2
	v_add_co_u32_e64 v40, s[28:29], -1, v2
; %bb.5052:                             ;   in Loop: Header=BB4_5010 Depth=4
	s_or_b64 exec, exec, s[48:49]
	v_add_u32_e32 v2, 0xffffff81, v17
	v_mov_b32_e32 v15, 0xffffff82
	v_cndmask_b32_e32 v2, v2, v15, vcc
	v_lshrrev_b32_e32 v15, 23, v14
	v_add3_u32 v25, v24, v2, v15
	v_add_u32_e32 v24, 6, v25
	v_and_b32_e32 v2, 0xfffff, v40
	v_add_u32_e32 v2, v2, v14
	v_cmp_ne_u32_e32 vcc, 0, v24
                                        ; implicit-def: $vgpr14_vgpr15
                                        ; implicit-def: $vgpr17
	s_and_saveexec_b64 s[28:29], vcc
	s_xor_b64 s[28:29], exec, s[28:29]
; %bb.5053:                             ;   in Loop: Header=BB4_5010 Depth=4
	v_cmp_lt_u64_e32 vcc, s[74:75], v[2:3]
	v_add_u32_e32 v14, 7, v25
	v_cndmask_b32_e32 v17, v24, v14, vcc
	v_cndmask_b32_e64 v14, 0, 1, vcc
	v_lshrrev_b64 v[14:15], v14, v[2:3]
; %bb.5054:                             ;   in Loop: Header=BB4_5010 Depth=4
	s_andn2_saveexec_b64 s[28:29], s[28:29]
; %bb.5055:                             ;   in Loop: Header=BB4_5010 Depth=4
	v_mov_b32_e32 v15, v3
	v_bfe_u32 v17, v2, 23, 1
	v_mov_b32_e32 v14, v2
; %bb.5056:                             ;   in Loop: Header=BB4_5010 Depth=4
	s_or_b64 exec, exec, s[28:29]
	v_lshrrev_b64 v[14:15], 20, v[14:15]
	v_cmp_gt_i32_e32 vcc, 16, v17
	v_cndmask_b32_e32 v15, 0, v15, vcc
	v_cndmask_b32_e32 v14, 7, v14, vcc
	v_cmp_ne_u64_e32 vcc, 0, v[14:15]
	v_cmp_ne_u32_e64 s[28:29], 0, v17
	s_or_b64 s[28:29], s[28:29], vcc
                                        ; implicit-def: $vgpr31
	s_and_saveexec_b64 vcc, s[28:29]
	s_xor_b64 s[28:29], exec, vcc
; %bb.5057:                             ;   in Loop: Header=BB4_5010 Depth=4
	v_min_i32_e32 v2, 15, v17
	v_lshl_or_b32 v2, v2, 3, v4
	v_and_or_b32 v31, v14, 7, v2
                                        ; implicit-def: $vgpr4
; %bb.5058:                             ;   in Loop: Header=BB4_5010 Depth=4
	s_andn2_saveexec_b64 s[28:29], s[28:29]
; %bb.5059:                             ;   in Loop: Header=BB4_5010 Depth=4
	v_mov_b32_e32 v31, v4
; %bb.5060:                             ;   in Loop: Header=BB4_5010 Depth=4
	s_or_b64 exec, exec, s[28:29]
.LBB4_5061:                             ;   in Loop: Header=BB4_5010 Depth=4
	s_or_b64 exec, exec, s[38:39]
                                        ; implicit-def: $vgpr4
.LBB4_5062:                             ;   in Loop: Header=BB4_5010 Depth=4
	s_andn2_saveexec_b64 s[28:29], s[36:37]
; %bb.5063:                             ;   in Loop: Header=BB4_5010 Depth=4
	v_or_b32_e32 v31, 0x7e, v4
; %bb.5064:                             ;   in Loop: Header=BB4_5010 Depth=4
	s_or_b64 exec, exec, s[28:29]
                                        ; implicit-def: $vgpr14
.LBB4_5065:                             ;   in Loop: Header=BB4_5010 Depth=4
	s_andn2_saveexec_b64 s[28:29], s[34:35]
; %bb.5066:                             ;   in Loop: Header=BB4_5010 Depth=4
	v_or_b32_sdwa v31, v14, s68 dst_sel:DWORD dst_unused:UNUSED_PAD src0_sel:BYTE_3 src1_sel:DWORD
; %bb.5067:                             ;   in Loop: Header=BB4_5010 Depth=4
	s_or_b64 exec, exec, s[28:29]
	flat_load_ubyte v4, v[8:9] offset:128 glc slc
	v_mov_b32_e32 v14, 0
	s_waitcnt vmcnt(0) lgkmcnt(0)
	v_cmp_ne_u16_e32 vcc, 0, v4
	s_and_saveexec_b64 s[28:29], vcc
	s_cbranch_execz .LBB4_5073
; %bb.5068:                             ;   in Loop: Header=BB4_5010 Depth=4
	v_cmp_ne_u16_e32 vcc, s70, v4
	v_bfrev_b32_e32 v14, 1
	s_and_saveexec_b64 s[34:35], vcc
	s_cbranch_execz .LBB4_5072
; %bb.5069:                             ;   in Loop: Header=BB4_5010 Depth=4
	v_and_b32_e32 v2, 0xffff, v4
	v_and_b32_e32 v15, 0x7f, v2
	v_cmp_ne_u32_e32 vcc, s68, v15
	v_mov_b32_e32 v14, 0x7f800001
	s_and_saveexec_b64 s[36:37], vcc
	s_cbranch_execz .LBB4_5071
; %bb.5070:                             ;   in Loop: Header=BB4_5010 Depth=4
	v_and_b32_e32 v17, 7, v2
	v_ffbh_u32_e32 v14, v17
	v_min_u32_e32 v23, 32, v14
	v_subrev_u32_e32 v14, 28, v23
	v_lshrrev_b32_e32 v22, 3, v15
	v_cmp_gt_u32_e32 vcc, 8, v15
	v_lshlrev_b64 v[14:15], v14, v[2:3]
	v_sub_u32_e32 v2, 29, v23
	v_and_b32_e32 v14, 7, v14
	v_cndmask_b32_e32 v2, v22, v2, vcc
	v_cndmask_b32_e32 v14, v17, v14, vcc
	v_lshlrev_b32_e32 v4, 24, v4
	v_lshlrev_b32_e32 v14, 20, v14
	v_and_b32_e32 v4, 0x80000000, v4
	v_lshl_add_u32 v2, v2, 23, v5
	v_or3_b32 v14, v4, v2, v14
.LBB4_5071:                             ;   in Loop: Header=BB4_5010 Depth=4
	s_or_b64 exec, exec, s[36:37]
.LBB4_5072:                             ;   in Loop: Header=BB4_5010 Depth=4
	s_or_b64 exec, exec, s[34:35]
.LBB4_5073:                             ;   in Loop: Header=BB4_5010 Depth=4
	s_or_b64 exec, exec, s[28:29]
	v_mul_f32_e32 v14, s45, v14
	v_and_b32_e32 v2, 0x7f800000, v14
	v_cmp_ne_u64_e32 vcc, s[62:63], v[2:3]
                                        ; implicit-def: $vgpr49
	s_and_saveexec_b64 s[28:29], vcc
	s_xor_b64 s[34:35], exec, s[28:29]
	s_cbranch_execz .LBB4_5091
; %bb.5074:                             ;   in Loop: Header=BB4_5010 Depth=4
	v_and_b32_e32 v2, 0x7fffffff, v14
	v_cmp_gt_u64_e32 vcc, s[72:73], v[2:3]
	v_and_b32_sdwa v4, v14, s70 dst_sel:DWORD dst_unused:UNUSED_PAD src0_sel:BYTE_3 src1_sel:DWORD
                                        ; implicit-def: $vgpr49
	s_and_saveexec_b64 s[28:29], vcc
	s_xor_b64 s[36:37], exec, s[28:29]
	s_cbranch_execz .LBB4_5088
; %bb.5075:                             ;   in Loop: Header=BB4_5010 Depth=4
	v_cmp_ne_u32_e32 vcc, 0, v14
	v_mov_b32_e32 v49, 0
	s_and_saveexec_b64 s[38:39], vcc
	s_cbranch_execz .LBB4_5087
; %bb.5076:                             ;   in Loop: Header=BB4_5010 Depth=4
	v_bfe_u32 v17, v14, 23, 8
	v_and_b32_e32 v2, 0x7fffff, v14
	v_cmp_gt_u32_e64 s[28:29], s71, v17
	v_sub_u32_e32 v14, 0x79, v17
	v_cmp_eq_u32_e32 vcc, 0, v17
	v_cndmask_b32_e64 v14, 0, v14, s[28:29]
	v_mov_b32_e32 v22, 0x78
	v_cndmask_b32_e32 v24, v14, v22, vcc
	v_or_b32_e32 v15, 0x800000, v2
	v_add_u32_e32 v14, 20, v24
	v_cndmask_b32_e32 v2, v15, v2, vcc
	v_lshlrev_b64 v[14:15], v14, -1
	v_add_u32_e32 v22, 19, v24
	v_lshlrev_b64 v[22:23], v22, 1
	v_bfi_b32 v15, v15, 0, 0
	v_bfi_b32 v14, v14, 0, v2
	v_cmp_eq_u64_e64 s[28:29], v[14:15], v[22:23]
	v_lshrrev_b64 v[14:15], v24, v[2:3]
	v_mov_b32_e32 v41, v15
	v_mov_b32_e32 v40, v14
	s_and_saveexec_b64 s[48:49], s[28:29]
; %bb.5077:                             ;   in Loop: Header=BB4_5010 Depth=4
	v_bfe_u32 v2, v14, 20, 1
	v_add_co_u32_e64 v2, s[28:29], v14, v2
	v_add_co_u32_e64 v40, s[28:29], -1, v2
; %bb.5078:                             ;   in Loop: Header=BB4_5010 Depth=4
	s_or_b64 exec, exec, s[48:49]
	v_add_u32_e32 v2, 0xffffff81, v17
	v_mov_b32_e32 v15, 0xffffff82
	v_cndmask_b32_e32 v2, v2, v15, vcc
	v_lshrrev_b32_e32 v15, 23, v14
	v_add3_u32 v25, v24, v2, v15
	v_add_u32_e32 v24, 6, v25
	v_and_b32_e32 v2, 0xfffff, v40
	v_add_u32_e32 v2, v2, v14
	v_cmp_ne_u32_e32 vcc, 0, v24
                                        ; implicit-def: $vgpr14_vgpr15
                                        ; implicit-def: $vgpr17
	s_and_saveexec_b64 s[28:29], vcc
	s_xor_b64 s[28:29], exec, s[28:29]
; %bb.5079:                             ;   in Loop: Header=BB4_5010 Depth=4
	v_cmp_lt_u64_e32 vcc, s[74:75], v[2:3]
	v_add_u32_e32 v14, 7, v25
	v_cndmask_b32_e32 v17, v24, v14, vcc
	v_cndmask_b32_e64 v14, 0, 1, vcc
	v_lshrrev_b64 v[14:15], v14, v[2:3]
; %bb.5080:                             ;   in Loop: Header=BB4_5010 Depth=4
	s_andn2_saveexec_b64 s[28:29], s[28:29]
; %bb.5081:                             ;   in Loop: Header=BB4_5010 Depth=4
	v_mov_b32_e32 v15, v3
	v_bfe_u32 v17, v2, 23, 1
	v_mov_b32_e32 v14, v2
; %bb.5082:                             ;   in Loop: Header=BB4_5010 Depth=4
	s_or_b64 exec, exec, s[28:29]
	v_lshrrev_b64 v[14:15], 20, v[14:15]
	v_cmp_gt_i32_e32 vcc, 16, v17
	v_cndmask_b32_e32 v15, 0, v15, vcc
	v_cndmask_b32_e32 v14, 7, v14, vcc
	v_cmp_ne_u64_e32 vcc, 0, v[14:15]
	v_cmp_ne_u32_e64 s[28:29], 0, v17
	s_or_b64 s[28:29], s[28:29], vcc
                                        ; implicit-def: $vgpr49
	s_and_saveexec_b64 vcc, s[28:29]
	s_xor_b64 s[28:29], exec, vcc
; %bb.5083:                             ;   in Loop: Header=BB4_5010 Depth=4
	v_min_i32_e32 v2, 15, v17
	v_lshl_or_b32 v2, v2, 3, v4
	v_and_or_b32 v49, v14, 7, v2
                                        ; implicit-def: $vgpr4
; %bb.5084:                             ;   in Loop: Header=BB4_5010 Depth=4
	s_andn2_saveexec_b64 s[28:29], s[28:29]
; %bb.5085:                             ;   in Loop: Header=BB4_5010 Depth=4
	v_mov_b32_e32 v49, v4
; %bb.5086:                             ;   in Loop: Header=BB4_5010 Depth=4
	s_or_b64 exec, exec, s[28:29]
.LBB4_5087:                             ;   in Loop: Header=BB4_5010 Depth=4
	s_or_b64 exec, exec, s[38:39]
                                        ; implicit-def: $vgpr4
.LBB4_5088:                             ;   in Loop: Header=BB4_5010 Depth=4
	s_andn2_saveexec_b64 s[28:29], s[36:37]
; %bb.5089:                             ;   in Loop: Header=BB4_5010 Depth=4
	v_or_b32_e32 v49, 0x7e, v4
; %bb.5090:                             ;   in Loop: Header=BB4_5010 Depth=4
	s_or_b64 exec, exec, s[28:29]
                                        ; implicit-def: $vgpr14
.LBB4_5091:                             ;   in Loop: Header=BB4_5010 Depth=4
	s_andn2_saveexec_b64 s[28:29], s[34:35]
; %bb.5092:                             ;   in Loop: Header=BB4_5010 Depth=4
	v_or_b32_sdwa v49, v14, s68 dst_sel:DWORD dst_unused:UNUSED_PAD src0_sel:BYTE_3 src1_sel:DWORD
; %bb.5093:                             ;   in Loop: Header=BB4_5010 Depth=4
	s_or_b64 exec, exec, s[28:29]
	flat_load_ubyte v4, v[8:9] offset:192 glc slc
	v_mov_b32_e32 v14, 0
	s_waitcnt vmcnt(0) lgkmcnt(0)
	v_cmp_ne_u16_e32 vcc, 0, v4
	s_and_saveexec_b64 s[28:29], vcc
	s_cbranch_execz .LBB4_5099
; %bb.5094:                             ;   in Loop: Header=BB4_5010 Depth=4
	v_cmp_ne_u16_e32 vcc, s70, v4
	v_bfrev_b32_e32 v14, 1
	s_and_saveexec_b64 s[34:35], vcc
	s_cbranch_execz .LBB4_5098
; %bb.5095:                             ;   in Loop: Header=BB4_5010 Depth=4
	v_and_b32_e32 v2, 0xffff, v4
	v_and_b32_e32 v15, 0x7f, v2
	v_cmp_ne_u32_e32 vcc, s68, v15
	v_mov_b32_e32 v14, 0x7f800001
	s_and_saveexec_b64 s[36:37], vcc
	s_cbranch_execz .LBB4_5097
; %bb.5096:                             ;   in Loop: Header=BB4_5010 Depth=4
	v_and_b32_e32 v17, 7, v2
	v_ffbh_u32_e32 v14, v17
	v_min_u32_e32 v23, 32, v14
	v_subrev_u32_e32 v14, 28, v23
	v_lshrrev_b32_e32 v22, 3, v15
	v_cmp_gt_u32_e32 vcc, 8, v15
	v_lshlrev_b64 v[14:15], v14, v[2:3]
	v_sub_u32_e32 v2, 29, v23
	v_and_b32_e32 v14, 7, v14
	v_cndmask_b32_e32 v2, v22, v2, vcc
	v_cndmask_b32_e32 v14, v17, v14, vcc
	v_lshlrev_b32_e32 v4, 24, v4
	v_lshlrev_b32_e32 v14, 20, v14
	v_and_b32_e32 v4, 0x80000000, v4
	v_lshl_add_u32 v2, v2, 23, v5
	v_or3_b32 v14, v4, v2, v14
.LBB4_5097:                             ;   in Loop: Header=BB4_5010 Depth=4
	s_or_b64 exec, exec, s[36:37]
.LBB4_5098:                             ;   in Loop: Header=BB4_5010 Depth=4
	s_or_b64 exec, exec, s[34:35]
.LBB4_5099:                             ;   in Loop: Header=BB4_5010 Depth=4
	s_or_b64 exec, exec, s[28:29]
	v_mul_f32_e32 v14, s45, v14
	v_and_b32_e32 v2, 0x7f800000, v14
	v_cmp_ne_u64_e32 vcc, s[62:63], v[2:3]
                                        ; implicit-def: $vgpr39
	s_and_saveexec_b64 s[28:29], vcc
	s_xor_b64 s[34:35], exec, s[28:29]
	s_cbranch_execz .LBB4_5117
; %bb.5100:                             ;   in Loop: Header=BB4_5010 Depth=4
	v_and_b32_e32 v2, 0x7fffffff, v14
	v_cmp_gt_u64_e32 vcc, s[72:73], v[2:3]
	v_and_b32_sdwa v4, v14, s70 dst_sel:DWORD dst_unused:UNUSED_PAD src0_sel:BYTE_3 src1_sel:DWORD
                                        ; implicit-def: $vgpr39
	s_and_saveexec_b64 s[28:29], vcc
	s_xor_b64 s[36:37], exec, s[28:29]
	s_cbranch_execz .LBB4_5114
; %bb.5101:                             ;   in Loop: Header=BB4_5010 Depth=4
	v_cmp_ne_u32_e32 vcc, 0, v14
	v_mov_b32_e32 v39, 0
	s_and_saveexec_b64 s[38:39], vcc
	s_cbranch_execz .LBB4_5113
; %bb.5102:                             ;   in Loop: Header=BB4_5010 Depth=4
	v_bfe_u32 v17, v14, 23, 8
	v_and_b32_e32 v2, 0x7fffff, v14
	v_cmp_gt_u32_e64 s[28:29], s71, v17
	v_sub_u32_e32 v14, 0x79, v17
	v_cmp_eq_u32_e32 vcc, 0, v17
	v_cndmask_b32_e64 v14, 0, v14, s[28:29]
	v_mov_b32_e32 v22, 0x78
	v_cndmask_b32_e32 v24, v14, v22, vcc
	v_or_b32_e32 v15, 0x800000, v2
	v_add_u32_e32 v14, 20, v24
	v_cndmask_b32_e32 v2, v15, v2, vcc
	v_lshlrev_b64 v[14:15], v14, -1
	v_add_u32_e32 v22, 19, v24
	v_lshlrev_b64 v[22:23], v22, 1
	v_bfi_b32 v15, v15, 0, 0
	v_bfi_b32 v14, v14, 0, v2
	v_cmp_eq_u64_e64 s[28:29], v[14:15], v[22:23]
	v_lshrrev_b64 v[14:15], v24, v[2:3]
	v_mov_b32_e32 v41, v15
	v_mov_b32_e32 v40, v14
	s_and_saveexec_b64 s[48:49], s[28:29]
; %bb.5103:                             ;   in Loop: Header=BB4_5010 Depth=4
	v_bfe_u32 v2, v14, 20, 1
	v_add_co_u32_e64 v2, s[28:29], v14, v2
	v_add_co_u32_e64 v40, s[28:29], -1, v2
; %bb.5104:                             ;   in Loop: Header=BB4_5010 Depth=4
	s_or_b64 exec, exec, s[48:49]
	v_add_u32_e32 v2, 0xffffff81, v17
	v_mov_b32_e32 v15, 0xffffff82
	v_cndmask_b32_e32 v2, v2, v15, vcc
	v_lshrrev_b32_e32 v15, 23, v14
	v_add3_u32 v25, v24, v2, v15
	v_add_u32_e32 v24, 6, v25
	v_and_b32_e32 v2, 0xfffff, v40
	v_add_u32_e32 v2, v2, v14
	v_cmp_ne_u32_e32 vcc, 0, v24
                                        ; implicit-def: $vgpr14_vgpr15
                                        ; implicit-def: $vgpr17
	s_and_saveexec_b64 s[28:29], vcc
	s_xor_b64 s[28:29], exec, s[28:29]
; %bb.5105:                             ;   in Loop: Header=BB4_5010 Depth=4
	v_cmp_lt_u64_e32 vcc, s[74:75], v[2:3]
	v_add_u32_e32 v14, 7, v25
	v_cndmask_b32_e32 v17, v24, v14, vcc
	v_cndmask_b32_e64 v14, 0, 1, vcc
	v_lshrrev_b64 v[14:15], v14, v[2:3]
; %bb.5106:                             ;   in Loop: Header=BB4_5010 Depth=4
	s_andn2_saveexec_b64 s[28:29], s[28:29]
; %bb.5107:                             ;   in Loop: Header=BB4_5010 Depth=4
	v_mov_b32_e32 v15, v3
	v_bfe_u32 v17, v2, 23, 1
	v_mov_b32_e32 v14, v2
; %bb.5108:                             ;   in Loop: Header=BB4_5010 Depth=4
	s_or_b64 exec, exec, s[28:29]
	v_lshrrev_b64 v[14:15], 20, v[14:15]
	v_cmp_gt_i32_e32 vcc, 16, v17
	v_cndmask_b32_e32 v15, 0, v15, vcc
	v_cndmask_b32_e32 v14, 7, v14, vcc
	v_cmp_ne_u64_e32 vcc, 0, v[14:15]
	v_cmp_ne_u32_e64 s[28:29], 0, v17
	s_or_b64 s[28:29], s[28:29], vcc
                                        ; implicit-def: $vgpr39
	s_and_saveexec_b64 vcc, s[28:29]
	s_xor_b64 s[28:29], exec, vcc
; %bb.5109:                             ;   in Loop: Header=BB4_5010 Depth=4
	v_min_i32_e32 v2, 15, v17
	v_lshl_or_b32 v2, v2, 3, v4
	v_and_or_b32 v39, v14, 7, v2
                                        ; implicit-def: $vgpr4
; %bb.5110:                             ;   in Loop: Header=BB4_5010 Depth=4
	s_andn2_saveexec_b64 s[28:29], s[28:29]
; %bb.5111:                             ;   in Loop: Header=BB4_5010 Depth=4
	v_mov_b32_e32 v39, v4
; %bb.5112:                             ;   in Loop: Header=BB4_5010 Depth=4
	s_or_b64 exec, exec, s[28:29]
.LBB4_5113:                             ;   in Loop: Header=BB4_5010 Depth=4
	s_or_b64 exec, exec, s[38:39]
                                        ; implicit-def: $vgpr4
.LBB4_5114:                             ;   in Loop: Header=BB4_5010 Depth=4
	s_andn2_saveexec_b64 s[28:29], s[36:37]
; %bb.5115:                             ;   in Loop: Header=BB4_5010 Depth=4
	v_or_b32_e32 v39, 0x7e, v4
; %bb.5116:                             ;   in Loop: Header=BB4_5010 Depth=4
	s_or_b64 exec, exec, s[28:29]
                                        ; implicit-def: $vgpr14
.LBB4_5117:                             ;   in Loop: Header=BB4_5010 Depth=4
	s_andn2_saveexec_b64 s[28:29], s[34:35]
; %bb.5118:                             ;   in Loop: Header=BB4_5010 Depth=4
	v_or_b32_sdwa v39, v14, s68 dst_sel:DWORD dst_unused:UNUSED_PAD src0_sel:BYTE_3 src1_sel:DWORD
; %bb.5119:                             ;   in Loop: Header=BB4_5010 Depth=4
	s_or_b64 exec, exec, s[28:29]
	flat_load_ubyte v4, v[8:9] offset:256 glc slc
	v_mov_b32_e32 v14, 0
	s_waitcnt vmcnt(0) lgkmcnt(0)
	v_cmp_ne_u16_e32 vcc, 0, v4
	s_and_saveexec_b64 s[28:29], vcc
	s_cbranch_execz .LBB4_5125
; %bb.5120:                             ;   in Loop: Header=BB4_5010 Depth=4
	v_cmp_ne_u16_e32 vcc, s70, v4
	v_bfrev_b32_e32 v14, 1
	s_and_saveexec_b64 s[34:35], vcc
	s_cbranch_execz .LBB4_5124
; %bb.5121:                             ;   in Loop: Header=BB4_5010 Depth=4
	v_and_b32_e32 v2, 0xffff, v4
	v_and_b32_e32 v15, 0x7f, v2
	v_cmp_ne_u32_e32 vcc, s68, v15
	v_mov_b32_e32 v14, 0x7f800001
	s_and_saveexec_b64 s[36:37], vcc
	s_cbranch_execz .LBB4_5123
; %bb.5122:                             ;   in Loop: Header=BB4_5010 Depth=4
	v_and_b32_e32 v17, 7, v2
	v_ffbh_u32_e32 v14, v17
	v_min_u32_e32 v23, 32, v14
	v_subrev_u32_e32 v14, 28, v23
	v_lshrrev_b32_e32 v22, 3, v15
	v_cmp_gt_u32_e32 vcc, 8, v15
	v_lshlrev_b64 v[14:15], v14, v[2:3]
	v_sub_u32_e32 v2, 29, v23
	v_and_b32_e32 v14, 7, v14
	v_cndmask_b32_e32 v2, v22, v2, vcc
	v_cndmask_b32_e32 v14, v17, v14, vcc
	v_lshlrev_b32_e32 v4, 24, v4
	v_lshlrev_b32_e32 v14, 20, v14
	v_and_b32_e32 v4, 0x80000000, v4
	v_lshl_add_u32 v2, v2, 23, v5
	v_or3_b32 v14, v4, v2, v14
.LBB4_5123:                             ;   in Loop: Header=BB4_5010 Depth=4
	s_or_b64 exec, exec, s[36:37]
.LBB4_5124:                             ;   in Loop: Header=BB4_5010 Depth=4
	s_or_b64 exec, exec, s[34:35]
.LBB4_5125:                             ;   in Loop: Header=BB4_5010 Depth=4
	s_or_b64 exec, exec, s[28:29]
	v_mul_f32_e32 v14, s45, v14
	v_and_b32_e32 v2, 0x7f800000, v14
	v_cmp_ne_u64_e32 vcc, s[62:63], v[2:3]
                                        ; implicit-def: $vgpr38
	s_and_saveexec_b64 s[28:29], vcc
	s_xor_b64 s[34:35], exec, s[28:29]
	s_cbranch_execz .LBB4_5143
; %bb.5126:                             ;   in Loop: Header=BB4_5010 Depth=4
	v_and_b32_e32 v2, 0x7fffffff, v14
	v_cmp_gt_u64_e32 vcc, s[72:73], v[2:3]
	v_and_b32_sdwa v4, v14, s70 dst_sel:DWORD dst_unused:UNUSED_PAD src0_sel:BYTE_3 src1_sel:DWORD
                                        ; implicit-def: $vgpr38
	s_and_saveexec_b64 s[28:29], vcc
	s_xor_b64 s[36:37], exec, s[28:29]
	s_cbranch_execz .LBB4_5140
; %bb.5127:                             ;   in Loop: Header=BB4_5010 Depth=4
	v_cmp_ne_u32_e32 vcc, 0, v14
	v_mov_b32_e32 v38, 0
	s_and_saveexec_b64 s[38:39], vcc
	s_cbranch_execz .LBB4_5139
; %bb.5128:                             ;   in Loop: Header=BB4_5010 Depth=4
	v_bfe_u32 v17, v14, 23, 8
	v_and_b32_e32 v2, 0x7fffff, v14
	v_cmp_gt_u32_e64 s[28:29], s71, v17
	v_sub_u32_e32 v14, 0x79, v17
	v_cmp_eq_u32_e32 vcc, 0, v17
	v_cndmask_b32_e64 v14, 0, v14, s[28:29]
	v_mov_b32_e32 v22, 0x78
	v_cndmask_b32_e32 v24, v14, v22, vcc
	v_or_b32_e32 v15, 0x800000, v2
	v_add_u32_e32 v14, 20, v24
	v_cndmask_b32_e32 v2, v15, v2, vcc
	v_lshlrev_b64 v[14:15], v14, -1
	v_add_u32_e32 v22, 19, v24
	v_lshlrev_b64 v[22:23], v22, 1
	v_bfi_b32 v15, v15, 0, 0
	v_bfi_b32 v14, v14, 0, v2
	v_cmp_eq_u64_e64 s[28:29], v[14:15], v[22:23]
	v_lshrrev_b64 v[14:15], v24, v[2:3]
	v_mov_b32_e32 v41, v15
	v_mov_b32_e32 v40, v14
	s_and_saveexec_b64 s[48:49], s[28:29]
; %bb.5129:                             ;   in Loop: Header=BB4_5010 Depth=4
	v_bfe_u32 v2, v14, 20, 1
	v_add_co_u32_e64 v2, s[28:29], v14, v2
	v_add_co_u32_e64 v40, s[28:29], -1, v2
; %bb.5130:                             ;   in Loop: Header=BB4_5010 Depth=4
	s_or_b64 exec, exec, s[48:49]
	v_add_u32_e32 v2, 0xffffff81, v17
	v_mov_b32_e32 v15, 0xffffff82
	v_cndmask_b32_e32 v2, v2, v15, vcc
	v_lshrrev_b32_e32 v15, 23, v14
	v_add3_u32 v25, v24, v2, v15
	v_add_u32_e32 v24, 6, v25
	v_and_b32_e32 v2, 0xfffff, v40
	v_add_u32_e32 v2, v2, v14
	v_cmp_ne_u32_e32 vcc, 0, v24
                                        ; implicit-def: $vgpr14_vgpr15
                                        ; implicit-def: $vgpr17
	s_and_saveexec_b64 s[28:29], vcc
	s_xor_b64 s[28:29], exec, s[28:29]
; %bb.5131:                             ;   in Loop: Header=BB4_5010 Depth=4
	v_cmp_lt_u64_e32 vcc, s[74:75], v[2:3]
	v_add_u32_e32 v14, 7, v25
	v_cndmask_b32_e32 v17, v24, v14, vcc
	v_cndmask_b32_e64 v14, 0, 1, vcc
	v_lshrrev_b64 v[14:15], v14, v[2:3]
; %bb.5132:                             ;   in Loop: Header=BB4_5010 Depth=4
	s_andn2_saveexec_b64 s[28:29], s[28:29]
; %bb.5133:                             ;   in Loop: Header=BB4_5010 Depth=4
	v_mov_b32_e32 v15, v3
	v_bfe_u32 v17, v2, 23, 1
	v_mov_b32_e32 v14, v2
; %bb.5134:                             ;   in Loop: Header=BB4_5010 Depth=4
	s_or_b64 exec, exec, s[28:29]
	v_lshrrev_b64 v[14:15], 20, v[14:15]
	v_cmp_gt_i32_e32 vcc, 16, v17
	v_cndmask_b32_e32 v15, 0, v15, vcc
	v_cndmask_b32_e32 v14, 7, v14, vcc
	v_cmp_ne_u64_e32 vcc, 0, v[14:15]
	v_cmp_ne_u32_e64 s[28:29], 0, v17
	s_or_b64 s[28:29], s[28:29], vcc
                                        ; implicit-def: $vgpr38
	s_and_saveexec_b64 vcc, s[28:29]
	s_xor_b64 s[28:29], exec, vcc
; %bb.5135:                             ;   in Loop: Header=BB4_5010 Depth=4
	v_min_i32_e32 v2, 15, v17
	v_lshl_or_b32 v2, v2, 3, v4
	v_and_or_b32 v38, v14, 7, v2
                                        ; implicit-def: $vgpr4
; %bb.5136:                             ;   in Loop: Header=BB4_5010 Depth=4
	s_andn2_saveexec_b64 s[28:29], s[28:29]
; %bb.5137:                             ;   in Loop: Header=BB4_5010 Depth=4
	v_mov_b32_e32 v38, v4
; %bb.5138:                             ;   in Loop: Header=BB4_5010 Depth=4
	s_or_b64 exec, exec, s[28:29]
.LBB4_5139:                             ;   in Loop: Header=BB4_5010 Depth=4
	s_or_b64 exec, exec, s[38:39]
                                        ; implicit-def: $vgpr4
.LBB4_5140:                             ;   in Loop: Header=BB4_5010 Depth=4
	s_andn2_saveexec_b64 s[28:29], s[36:37]
; %bb.5141:                             ;   in Loop: Header=BB4_5010 Depth=4
	v_or_b32_e32 v38, 0x7e, v4
; %bb.5142:                             ;   in Loop: Header=BB4_5010 Depth=4
	s_or_b64 exec, exec, s[28:29]
                                        ; implicit-def: $vgpr14
.LBB4_5143:                             ;   in Loop: Header=BB4_5010 Depth=4
	s_andn2_saveexec_b64 s[28:29], s[34:35]
; %bb.5144:                             ;   in Loop: Header=BB4_5010 Depth=4
	v_or_b32_sdwa v38, v14, s68 dst_sel:DWORD dst_unused:UNUSED_PAD src0_sel:BYTE_3 src1_sel:DWORD
; %bb.5145:                             ;   in Loop: Header=BB4_5010 Depth=4
	s_or_b64 exec, exec, s[28:29]
	flat_load_ubyte v4, v[8:9] offset:320 glc slc
	v_mov_b32_e32 v14, 0
	s_waitcnt vmcnt(0) lgkmcnt(0)
	v_cmp_ne_u16_e32 vcc, 0, v4
	s_and_saveexec_b64 s[28:29], vcc
	s_cbranch_execz .LBB4_5151
; %bb.5146:                             ;   in Loop: Header=BB4_5010 Depth=4
	v_cmp_ne_u16_e32 vcc, s70, v4
	v_bfrev_b32_e32 v14, 1
	s_and_saveexec_b64 s[34:35], vcc
	s_cbranch_execz .LBB4_5150
; %bb.5147:                             ;   in Loop: Header=BB4_5010 Depth=4
	v_and_b32_e32 v2, 0xffff, v4
	v_and_b32_e32 v15, 0x7f, v2
	v_cmp_ne_u32_e32 vcc, s68, v15
	v_mov_b32_e32 v14, 0x7f800001
	s_and_saveexec_b64 s[36:37], vcc
	s_cbranch_execz .LBB4_5149
; %bb.5148:                             ;   in Loop: Header=BB4_5010 Depth=4
	v_and_b32_e32 v17, 7, v2
	v_ffbh_u32_e32 v14, v17
	v_min_u32_e32 v23, 32, v14
	v_subrev_u32_e32 v14, 28, v23
	v_lshrrev_b32_e32 v22, 3, v15
	v_cmp_gt_u32_e32 vcc, 8, v15
	v_lshlrev_b64 v[14:15], v14, v[2:3]
	v_sub_u32_e32 v2, 29, v23
	v_and_b32_e32 v14, 7, v14
	v_cndmask_b32_e32 v2, v22, v2, vcc
	v_cndmask_b32_e32 v14, v17, v14, vcc
	v_lshlrev_b32_e32 v4, 24, v4
	v_lshlrev_b32_e32 v14, 20, v14
	v_and_b32_e32 v4, 0x80000000, v4
	v_lshl_add_u32 v2, v2, 23, v5
	v_or3_b32 v14, v4, v2, v14
.LBB4_5149:                             ;   in Loop: Header=BB4_5010 Depth=4
	s_or_b64 exec, exec, s[36:37]
.LBB4_5150:                             ;   in Loop: Header=BB4_5010 Depth=4
	s_or_b64 exec, exec, s[34:35]
.LBB4_5151:                             ;   in Loop: Header=BB4_5010 Depth=4
	s_or_b64 exec, exec, s[28:29]
	v_mul_f32_e32 v14, s45, v14
	v_and_b32_e32 v2, 0x7f800000, v14
	v_cmp_ne_u64_e32 vcc, s[62:63], v[2:3]
                                        ; implicit-def: $vgpr37
	s_and_saveexec_b64 s[28:29], vcc
	s_xor_b64 s[34:35], exec, s[28:29]
	s_cbranch_execz .LBB4_5169
; %bb.5152:                             ;   in Loop: Header=BB4_5010 Depth=4
	v_and_b32_e32 v2, 0x7fffffff, v14
	v_cmp_gt_u64_e32 vcc, s[72:73], v[2:3]
	v_and_b32_sdwa v4, v14, s70 dst_sel:DWORD dst_unused:UNUSED_PAD src0_sel:BYTE_3 src1_sel:DWORD
                                        ; implicit-def: $vgpr37
	s_and_saveexec_b64 s[28:29], vcc
	s_xor_b64 s[36:37], exec, s[28:29]
	s_cbranch_execz .LBB4_5166
; %bb.5153:                             ;   in Loop: Header=BB4_5010 Depth=4
	v_cmp_ne_u32_e32 vcc, 0, v14
	v_mov_b32_e32 v37, 0
	s_and_saveexec_b64 s[38:39], vcc
	s_cbranch_execz .LBB4_5165
; %bb.5154:                             ;   in Loop: Header=BB4_5010 Depth=4
	v_bfe_u32 v17, v14, 23, 8
	v_and_b32_e32 v2, 0x7fffff, v14
	v_cmp_gt_u32_e64 s[28:29], s71, v17
	v_sub_u32_e32 v14, 0x79, v17
	v_cmp_eq_u32_e32 vcc, 0, v17
	v_cndmask_b32_e64 v14, 0, v14, s[28:29]
	v_mov_b32_e32 v22, 0x78
	v_cndmask_b32_e32 v24, v14, v22, vcc
	v_or_b32_e32 v15, 0x800000, v2
	v_add_u32_e32 v14, 20, v24
	v_cndmask_b32_e32 v2, v15, v2, vcc
	v_lshlrev_b64 v[14:15], v14, -1
	v_add_u32_e32 v22, 19, v24
	v_lshlrev_b64 v[22:23], v22, 1
	v_bfi_b32 v15, v15, 0, 0
	v_bfi_b32 v14, v14, 0, v2
	v_cmp_eq_u64_e64 s[28:29], v[14:15], v[22:23]
	v_lshrrev_b64 v[14:15], v24, v[2:3]
	v_mov_b32_e32 v41, v15
	v_mov_b32_e32 v40, v14
	s_and_saveexec_b64 s[48:49], s[28:29]
; %bb.5155:                             ;   in Loop: Header=BB4_5010 Depth=4
	v_bfe_u32 v2, v14, 20, 1
	v_add_co_u32_e64 v2, s[28:29], v14, v2
	v_add_co_u32_e64 v40, s[28:29], -1, v2
; %bb.5156:                             ;   in Loop: Header=BB4_5010 Depth=4
	s_or_b64 exec, exec, s[48:49]
	v_add_u32_e32 v2, 0xffffff81, v17
	v_mov_b32_e32 v15, 0xffffff82
	v_cndmask_b32_e32 v2, v2, v15, vcc
	v_lshrrev_b32_e32 v15, 23, v14
	v_add3_u32 v25, v24, v2, v15
	v_add_u32_e32 v24, 6, v25
	v_and_b32_e32 v2, 0xfffff, v40
	v_add_u32_e32 v2, v2, v14
	v_cmp_ne_u32_e32 vcc, 0, v24
                                        ; implicit-def: $vgpr14_vgpr15
                                        ; implicit-def: $vgpr17
	s_and_saveexec_b64 s[28:29], vcc
	s_xor_b64 s[28:29], exec, s[28:29]
; %bb.5157:                             ;   in Loop: Header=BB4_5010 Depth=4
	v_cmp_lt_u64_e32 vcc, s[74:75], v[2:3]
	v_add_u32_e32 v14, 7, v25
	v_cndmask_b32_e32 v17, v24, v14, vcc
	v_cndmask_b32_e64 v14, 0, 1, vcc
	v_lshrrev_b64 v[14:15], v14, v[2:3]
; %bb.5158:                             ;   in Loop: Header=BB4_5010 Depth=4
	s_andn2_saveexec_b64 s[28:29], s[28:29]
; %bb.5159:                             ;   in Loop: Header=BB4_5010 Depth=4
	v_mov_b32_e32 v15, v3
	v_bfe_u32 v17, v2, 23, 1
	v_mov_b32_e32 v14, v2
; %bb.5160:                             ;   in Loop: Header=BB4_5010 Depth=4
	s_or_b64 exec, exec, s[28:29]
	v_lshrrev_b64 v[14:15], 20, v[14:15]
	v_cmp_gt_i32_e32 vcc, 16, v17
	v_cndmask_b32_e32 v15, 0, v15, vcc
	v_cndmask_b32_e32 v14, 7, v14, vcc
	v_cmp_ne_u64_e32 vcc, 0, v[14:15]
	v_cmp_ne_u32_e64 s[28:29], 0, v17
	s_or_b64 s[28:29], s[28:29], vcc
                                        ; implicit-def: $vgpr37
	s_and_saveexec_b64 vcc, s[28:29]
	s_xor_b64 s[28:29], exec, vcc
; %bb.5161:                             ;   in Loop: Header=BB4_5010 Depth=4
	v_min_i32_e32 v2, 15, v17
	v_lshl_or_b32 v2, v2, 3, v4
	v_and_or_b32 v37, v14, 7, v2
                                        ; implicit-def: $vgpr4
; %bb.5162:                             ;   in Loop: Header=BB4_5010 Depth=4
	s_andn2_saveexec_b64 s[28:29], s[28:29]
; %bb.5163:                             ;   in Loop: Header=BB4_5010 Depth=4
	v_mov_b32_e32 v37, v4
; %bb.5164:                             ;   in Loop: Header=BB4_5010 Depth=4
	s_or_b64 exec, exec, s[28:29]
.LBB4_5165:                             ;   in Loop: Header=BB4_5010 Depth=4
	s_or_b64 exec, exec, s[38:39]
                                        ; implicit-def: $vgpr4
.LBB4_5166:                             ;   in Loop: Header=BB4_5010 Depth=4
	s_andn2_saveexec_b64 s[28:29], s[36:37]
; %bb.5167:                             ;   in Loop: Header=BB4_5010 Depth=4
	v_or_b32_e32 v37, 0x7e, v4
; %bb.5168:                             ;   in Loop: Header=BB4_5010 Depth=4
	s_or_b64 exec, exec, s[28:29]
                                        ; implicit-def: $vgpr14
.LBB4_5169:                             ;   in Loop: Header=BB4_5010 Depth=4
	s_andn2_saveexec_b64 s[28:29], s[34:35]
; %bb.5170:                             ;   in Loop: Header=BB4_5010 Depth=4
	v_or_b32_sdwa v37, v14, s68 dst_sel:DWORD dst_unused:UNUSED_PAD src0_sel:BYTE_3 src1_sel:DWORD
; %bb.5171:                             ;   in Loop: Header=BB4_5010 Depth=4
	s_or_b64 exec, exec, s[28:29]
	flat_load_ubyte v4, v[8:9] offset:384 glc slc
	v_mov_b32_e32 v14, 0
	s_waitcnt vmcnt(0) lgkmcnt(0)
	v_cmp_ne_u16_e32 vcc, 0, v4
	s_and_saveexec_b64 s[28:29], vcc
	s_cbranch_execz .LBB4_5177
; %bb.5172:                             ;   in Loop: Header=BB4_5010 Depth=4
	v_cmp_ne_u16_e32 vcc, s70, v4
	v_bfrev_b32_e32 v14, 1
	s_and_saveexec_b64 s[34:35], vcc
	s_cbranch_execz .LBB4_5176
; %bb.5173:                             ;   in Loop: Header=BB4_5010 Depth=4
	v_and_b32_e32 v2, 0xffff, v4
	v_and_b32_e32 v15, 0x7f, v2
	v_cmp_ne_u32_e32 vcc, s68, v15
	v_mov_b32_e32 v14, 0x7f800001
	s_and_saveexec_b64 s[36:37], vcc
	s_cbranch_execz .LBB4_5175
; %bb.5174:                             ;   in Loop: Header=BB4_5010 Depth=4
	v_and_b32_e32 v17, 7, v2
	v_ffbh_u32_e32 v14, v17
	v_min_u32_e32 v23, 32, v14
	v_subrev_u32_e32 v14, 28, v23
	v_lshrrev_b32_e32 v22, 3, v15
	v_cmp_gt_u32_e32 vcc, 8, v15
	v_lshlrev_b64 v[14:15], v14, v[2:3]
	v_sub_u32_e32 v2, 29, v23
	v_and_b32_e32 v14, 7, v14
	v_cndmask_b32_e32 v2, v22, v2, vcc
	v_cndmask_b32_e32 v14, v17, v14, vcc
	v_lshlrev_b32_e32 v4, 24, v4
	v_lshlrev_b32_e32 v14, 20, v14
	v_and_b32_e32 v4, 0x80000000, v4
	v_lshl_add_u32 v2, v2, 23, v5
	v_or3_b32 v14, v4, v2, v14
.LBB4_5175:                             ;   in Loop: Header=BB4_5010 Depth=4
	s_or_b64 exec, exec, s[36:37]
.LBB4_5176:                             ;   in Loop: Header=BB4_5010 Depth=4
	s_or_b64 exec, exec, s[34:35]
.LBB4_5177:                             ;   in Loop: Header=BB4_5010 Depth=4
	s_or_b64 exec, exec, s[28:29]
	v_mul_f32_e32 v14, s45, v14
	v_and_b32_e32 v2, 0x7f800000, v14
	v_cmp_ne_u64_e32 vcc, s[62:63], v[2:3]
                                        ; implicit-def: $vgpr36
	s_and_saveexec_b64 s[28:29], vcc
	s_xor_b64 s[34:35], exec, s[28:29]
	s_cbranch_execz .LBB4_5195
; %bb.5178:                             ;   in Loop: Header=BB4_5010 Depth=4
	v_and_b32_e32 v2, 0x7fffffff, v14
	v_cmp_gt_u64_e32 vcc, s[72:73], v[2:3]
	v_and_b32_sdwa v4, v14, s70 dst_sel:DWORD dst_unused:UNUSED_PAD src0_sel:BYTE_3 src1_sel:DWORD
                                        ; implicit-def: $vgpr36
	s_and_saveexec_b64 s[28:29], vcc
	s_xor_b64 s[36:37], exec, s[28:29]
	s_cbranch_execz .LBB4_5192
; %bb.5179:                             ;   in Loop: Header=BB4_5010 Depth=4
	v_cmp_ne_u32_e32 vcc, 0, v14
	v_mov_b32_e32 v36, 0
	s_and_saveexec_b64 s[38:39], vcc
	s_cbranch_execz .LBB4_5191
; %bb.5180:                             ;   in Loop: Header=BB4_5010 Depth=4
	v_bfe_u32 v17, v14, 23, 8
	v_and_b32_e32 v2, 0x7fffff, v14
	v_cmp_gt_u32_e64 s[28:29], s71, v17
	v_sub_u32_e32 v14, 0x79, v17
	v_cmp_eq_u32_e32 vcc, 0, v17
	v_cndmask_b32_e64 v14, 0, v14, s[28:29]
	v_mov_b32_e32 v22, 0x78
	v_cndmask_b32_e32 v24, v14, v22, vcc
	v_or_b32_e32 v15, 0x800000, v2
	v_add_u32_e32 v14, 20, v24
	v_cndmask_b32_e32 v2, v15, v2, vcc
	v_lshlrev_b64 v[14:15], v14, -1
	v_add_u32_e32 v22, 19, v24
	v_lshlrev_b64 v[22:23], v22, 1
	v_bfi_b32 v15, v15, 0, 0
	v_bfi_b32 v14, v14, 0, v2
	v_cmp_eq_u64_e64 s[28:29], v[14:15], v[22:23]
	v_lshrrev_b64 v[14:15], v24, v[2:3]
	v_mov_b32_e32 v41, v15
	v_mov_b32_e32 v40, v14
	s_and_saveexec_b64 s[48:49], s[28:29]
; %bb.5181:                             ;   in Loop: Header=BB4_5010 Depth=4
	v_bfe_u32 v2, v14, 20, 1
	v_add_co_u32_e64 v2, s[28:29], v14, v2
	v_add_co_u32_e64 v40, s[28:29], -1, v2
; %bb.5182:                             ;   in Loop: Header=BB4_5010 Depth=4
	s_or_b64 exec, exec, s[48:49]
	v_add_u32_e32 v2, 0xffffff81, v17
	v_mov_b32_e32 v15, 0xffffff82
	v_cndmask_b32_e32 v2, v2, v15, vcc
	v_lshrrev_b32_e32 v15, 23, v14
	v_add3_u32 v25, v24, v2, v15
	v_add_u32_e32 v24, 6, v25
	v_and_b32_e32 v2, 0xfffff, v40
	v_add_u32_e32 v2, v2, v14
	v_cmp_ne_u32_e32 vcc, 0, v24
                                        ; implicit-def: $vgpr14_vgpr15
                                        ; implicit-def: $vgpr17
	s_and_saveexec_b64 s[28:29], vcc
	s_xor_b64 s[28:29], exec, s[28:29]
; %bb.5183:                             ;   in Loop: Header=BB4_5010 Depth=4
	v_cmp_lt_u64_e32 vcc, s[74:75], v[2:3]
	v_add_u32_e32 v14, 7, v25
	v_cndmask_b32_e32 v17, v24, v14, vcc
	v_cndmask_b32_e64 v14, 0, 1, vcc
	v_lshrrev_b64 v[14:15], v14, v[2:3]
; %bb.5184:                             ;   in Loop: Header=BB4_5010 Depth=4
	s_andn2_saveexec_b64 s[28:29], s[28:29]
; %bb.5185:                             ;   in Loop: Header=BB4_5010 Depth=4
	v_mov_b32_e32 v15, v3
	v_bfe_u32 v17, v2, 23, 1
	v_mov_b32_e32 v14, v2
; %bb.5186:                             ;   in Loop: Header=BB4_5010 Depth=4
	s_or_b64 exec, exec, s[28:29]
	v_lshrrev_b64 v[14:15], 20, v[14:15]
	v_cmp_gt_i32_e32 vcc, 16, v17
	v_cndmask_b32_e32 v15, 0, v15, vcc
	v_cndmask_b32_e32 v14, 7, v14, vcc
	v_cmp_ne_u64_e32 vcc, 0, v[14:15]
	v_cmp_ne_u32_e64 s[28:29], 0, v17
	s_or_b64 s[28:29], s[28:29], vcc
                                        ; implicit-def: $vgpr36
	s_and_saveexec_b64 vcc, s[28:29]
	s_xor_b64 s[28:29], exec, vcc
; %bb.5187:                             ;   in Loop: Header=BB4_5010 Depth=4
	v_min_i32_e32 v2, 15, v17
	v_lshl_or_b32 v2, v2, 3, v4
	v_and_or_b32 v36, v14, 7, v2
                                        ; implicit-def: $vgpr4
; %bb.5188:                             ;   in Loop: Header=BB4_5010 Depth=4
	s_andn2_saveexec_b64 s[28:29], s[28:29]
; %bb.5189:                             ;   in Loop: Header=BB4_5010 Depth=4
	v_mov_b32_e32 v36, v4
; %bb.5190:                             ;   in Loop: Header=BB4_5010 Depth=4
	s_or_b64 exec, exec, s[28:29]
.LBB4_5191:                             ;   in Loop: Header=BB4_5010 Depth=4
	s_or_b64 exec, exec, s[38:39]
                                        ; implicit-def: $vgpr4
.LBB4_5192:                             ;   in Loop: Header=BB4_5010 Depth=4
	s_andn2_saveexec_b64 s[28:29], s[36:37]
; %bb.5193:                             ;   in Loop: Header=BB4_5010 Depth=4
	v_or_b32_e32 v36, 0x7e, v4
; %bb.5194:                             ;   in Loop: Header=BB4_5010 Depth=4
	s_or_b64 exec, exec, s[28:29]
                                        ; implicit-def: $vgpr14
.LBB4_5195:                             ;   in Loop: Header=BB4_5010 Depth=4
	s_andn2_saveexec_b64 s[28:29], s[34:35]
; %bb.5196:                             ;   in Loop: Header=BB4_5010 Depth=4
	v_or_b32_sdwa v36, v14, s68 dst_sel:DWORD dst_unused:UNUSED_PAD src0_sel:BYTE_3 src1_sel:DWORD
; %bb.5197:                             ;   in Loop: Header=BB4_5010 Depth=4
	s_or_b64 exec, exec, s[28:29]
	flat_load_ubyte v4, v[8:9] offset:448 glc slc
	v_mov_b32_e32 v14, 0
	s_waitcnt vmcnt(0) lgkmcnt(0)
	v_cmp_ne_u16_e32 vcc, 0, v4
	s_and_saveexec_b64 s[28:29], vcc
	s_cbranch_execz .LBB4_5203
; %bb.5198:                             ;   in Loop: Header=BB4_5010 Depth=4
	v_cmp_ne_u16_e32 vcc, s70, v4
	v_bfrev_b32_e32 v14, 1
	s_and_saveexec_b64 s[34:35], vcc
	s_cbranch_execz .LBB4_5202
; %bb.5199:                             ;   in Loop: Header=BB4_5010 Depth=4
	v_and_b32_e32 v2, 0xffff, v4
	v_and_b32_e32 v15, 0x7f, v2
	v_cmp_ne_u32_e32 vcc, s68, v15
	v_mov_b32_e32 v14, 0x7f800001
	s_and_saveexec_b64 s[36:37], vcc
	s_cbranch_execz .LBB4_5201
; %bb.5200:                             ;   in Loop: Header=BB4_5010 Depth=4
	v_and_b32_e32 v17, 7, v2
	v_ffbh_u32_e32 v14, v17
	v_min_u32_e32 v23, 32, v14
	v_subrev_u32_e32 v14, 28, v23
	v_lshrrev_b32_e32 v22, 3, v15
	v_cmp_gt_u32_e32 vcc, 8, v15
	v_lshlrev_b64 v[14:15], v14, v[2:3]
	v_sub_u32_e32 v2, 29, v23
	v_and_b32_e32 v14, 7, v14
	v_cndmask_b32_e32 v2, v22, v2, vcc
	v_cndmask_b32_e32 v14, v17, v14, vcc
	v_lshlrev_b32_e32 v4, 24, v4
	v_lshlrev_b32_e32 v14, 20, v14
	v_and_b32_e32 v4, 0x80000000, v4
	v_lshl_add_u32 v2, v2, 23, v5
	v_or3_b32 v14, v4, v2, v14
.LBB4_5201:                             ;   in Loop: Header=BB4_5010 Depth=4
	s_or_b64 exec, exec, s[36:37]
.LBB4_5202:                             ;   in Loop: Header=BB4_5010 Depth=4
	s_or_b64 exec, exec, s[34:35]
.LBB4_5203:                             ;   in Loop: Header=BB4_5010 Depth=4
	s_or_b64 exec, exec, s[28:29]
	v_mul_f32_e32 v14, s45, v14
	v_and_b32_e32 v2, 0x7f800000, v14
	v_cmp_ne_u64_e32 vcc, s[62:63], v[2:3]
                                        ; implicit-def: $vgpr35
	s_and_saveexec_b64 s[28:29], vcc
	s_xor_b64 s[34:35], exec, s[28:29]
	s_cbranch_execz .LBB4_5221
; %bb.5204:                             ;   in Loop: Header=BB4_5010 Depth=4
	v_and_b32_e32 v2, 0x7fffffff, v14
	v_cmp_gt_u64_e32 vcc, s[72:73], v[2:3]
	v_and_b32_sdwa v4, v14, s70 dst_sel:DWORD dst_unused:UNUSED_PAD src0_sel:BYTE_3 src1_sel:DWORD
                                        ; implicit-def: $vgpr35
	s_and_saveexec_b64 s[28:29], vcc
	s_xor_b64 s[36:37], exec, s[28:29]
	s_cbranch_execz .LBB4_5218
; %bb.5205:                             ;   in Loop: Header=BB4_5010 Depth=4
	v_cmp_ne_u32_e32 vcc, 0, v14
	v_mov_b32_e32 v35, 0
	s_and_saveexec_b64 s[38:39], vcc
	s_cbranch_execz .LBB4_5217
; %bb.5206:                             ;   in Loop: Header=BB4_5010 Depth=4
	v_bfe_u32 v17, v14, 23, 8
	v_and_b32_e32 v2, 0x7fffff, v14
	v_cmp_gt_u32_e64 s[28:29], s71, v17
	v_sub_u32_e32 v14, 0x79, v17
	v_cmp_eq_u32_e32 vcc, 0, v17
	v_cndmask_b32_e64 v14, 0, v14, s[28:29]
	v_mov_b32_e32 v22, 0x78
	v_cndmask_b32_e32 v24, v14, v22, vcc
	v_or_b32_e32 v15, 0x800000, v2
	v_add_u32_e32 v14, 20, v24
	v_cndmask_b32_e32 v2, v15, v2, vcc
	v_lshlrev_b64 v[14:15], v14, -1
	v_add_u32_e32 v22, 19, v24
	v_lshlrev_b64 v[22:23], v22, 1
	v_bfi_b32 v15, v15, 0, 0
	v_bfi_b32 v14, v14, 0, v2
	v_cmp_eq_u64_e64 s[28:29], v[14:15], v[22:23]
	v_lshrrev_b64 v[14:15], v24, v[2:3]
	v_mov_b32_e32 v41, v15
	v_mov_b32_e32 v40, v14
	s_and_saveexec_b64 s[48:49], s[28:29]
; %bb.5207:                             ;   in Loop: Header=BB4_5010 Depth=4
	v_bfe_u32 v2, v14, 20, 1
	v_add_co_u32_e64 v2, s[28:29], v14, v2
	v_add_co_u32_e64 v40, s[28:29], -1, v2
; %bb.5208:                             ;   in Loop: Header=BB4_5010 Depth=4
	s_or_b64 exec, exec, s[48:49]
	v_add_u32_e32 v2, 0xffffff81, v17
	v_mov_b32_e32 v15, 0xffffff82
	v_cndmask_b32_e32 v2, v2, v15, vcc
	v_lshrrev_b32_e32 v15, 23, v14
	v_add3_u32 v25, v24, v2, v15
	v_add_u32_e32 v24, 6, v25
	v_and_b32_e32 v2, 0xfffff, v40
	v_add_u32_e32 v2, v2, v14
	v_cmp_ne_u32_e32 vcc, 0, v24
                                        ; implicit-def: $vgpr14_vgpr15
                                        ; implicit-def: $vgpr17
	s_and_saveexec_b64 s[28:29], vcc
	s_xor_b64 s[28:29], exec, s[28:29]
; %bb.5209:                             ;   in Loop: Header=BB4_5010 Depth=4
	v_cmp_lt_u64_e32 vcc, s[74:75], v[2:3]
	v_add_u32_e32 v14, 7, v25
	v_cndmask_b32_e32 v17, v24, v14, vcc
	v_cndmask_b32_e64 v14, 0, 1, vcc
	v_lshrrev_b64 v[14:15], v14, v[2:3]
; %bb.5210:                             ;   in Loop: Header=BB4_5010 Depth=4
	s_andn2_saveexec_b64 s[28:29], s[28:29]
; %bb.5211:                             ;   in Loop: Header=BB4_5010 Depth=4
	v_mov_b32_e32 v15, v3
	v_bfe_u32 v17, v2, 23, 1
	v_mov_b32_e32 v14, v2
; %bb.5212:                             ;   in Loop: Header=BB4_5010 Depth=4
	s_or_b64 exec, exec, s[28:29]
	v_lshrrev_b64 v[14:15], 20, v[14:15]
	v_cmp_gt_i32_e32 vcc, 16, v17
	v_cndmask_b32_e32 v15, 0, v15, vcc
	v_cndmask_b32_e32 v14, 7, v14, vcc
	v_cmp_ne_u64_e32 vcc, 0, v[14:15]
	v_cmp_ne_u32_e64 s[28:29], 0, v17
	s_or_b64 s[28:29], s[28:29], vcc
                                        ; implicit-def: $vgpr35
	s_and_saveexec_b64 vcc, s[28:29]
	s_xor_b64 s[28:29], exec, vcc
; %bb.5213:                             ;   in Loop: Header=BB4_5010 Depth=4
	v_min_i32_e32 v2, 15, v17
	v_lshl_or_b32 v2, v2, 3, v4
	v_and_or_b32 v35, v14, 7, v2
                                        ; implicit-def: $vgpr4
; %bb.5214:                             ;   in Loop: Header=BB4_5010 Depth=4
	s_andn2_saveexec_b64 s[28:29], s[28:29]
; %bb.5215:                             ;   in Loop: Header=BB4_5010 Depth=4
	v_mov_b32_e32 v35, v4
; %bb.5216:                             ;   in Loop: Header=BB4_5010 Depth=4
	s_or_b64 exec, exec, s[28:29]
.LBB4_5217:                             ;   in Loop: Header=BB4_5010 Depth=4
	s_or_b64 exec, exec, s[38:39]
                                        ; implicit-def: $vgpr4
.LBB4_5218:                             ;   in Loop: Header=BB4_5010 Depth=4
	s_andn2_saveexec_b64 s[28:29], s[36:37]
; %bb.5219:                             ;   in Loop: Header=BB4_5010 Depth=4
	v_or_b32_e32 v35, 0x7e, v4
; %bb.5220:                             ;   in Loop: Header=BB4_5010 Depth=4
	s_or_b64 exec, exec, s[28:29]
                                        ; implicit-def: $vgpr14
.LBB4_5221:                             ;   in Loop: Header=BB4_5010 Depth=4
	s_andn2_saveexec_b64 s[28:29], s[34:35]
; %bb.5222:                             ;   in Loop: Header=BB4_5010 Depth=4
	v_or_b32_sdwa v35, v14, s68 dst_sel:DWORD dst_unused:UNUSED_PAD src0_sel:BYTE_3 src1_sel:DWORD
; %bb.5223:                             ;   in Loop: Header=BB4_5010 Depth=4
	s_or_b64 exec, exec, s[28:29]
	flat_load_ubyte v4, v[8:9] offset:512 glc slc
	v_mov_b32_e32 v14, 0
	s_waitcnt vmcnt(0) lgkmcnt(0)
	v_cmp_ne_u16_e32 vcc, 0, v4
	s_and_saveexec_b64 s[28:29], vcc
	s_cbranch_execz .LBB4_5229
; %bb.5224:                             ;   in Loop: Header=BB4_5010 Depth=4
	v_cmp_ne_u16_e32 vcc, s70, v4
	v_bfrev_b32_e32 v14, 1
	s_and_saveexec_b64 s[34:35], vcc
	s_cbranch_execz .LBB4_5228
; %bb.5225:                             ;   in Loop: Header=BB4_5010 Depth=4
	v_and_b32_e32 v2, 0xffff, v4
	v_and_b32_e32 v15, 0x7f, v2
	v_cmp_ne_u32_e32 vcc, s68, v15
	v_mov_b32_e32 v14, 0x7f800001
	s_and_saveexec_b64 s[36:37], vcc
	s_cbranch_execz .LBB4_5227
; %bb.5226:                             ;   in Loop: Header=BB4_5010 Depth=4
	v_and_b32_e32 v17, 7, v2
	v_ffbh_u32_e32 v14, v17
	v_min_u32_e32 v23, 32, v14
	v_subrev_u32_e32 v14, 28, v23
	v_lshrrev_b32_e32 v22, 3, v15
	v_cmp_gt_u32_e32 vcc, 8, v15
	v_lshlrev_b64 v[14:15], v14, v[2:3]
	v_sub_u32_e32 v2, 29, v23
	v_and_b32_e32 v14, 7, v14
	v_cndmask_b32_e32 v2, v22, v2, vcc
	v_cndmask_b32_e32 v14, v17, v14, vcc
	v_lshlrev_b32_e32 v4, 24, v4
	v_lshlrev_b32_e32 v14, 20, v14
	v_and_b32_e32 v4, 0x80000000, v4
	v_lshl_add_u32 v2, v2, 23, v5
	v_or3_b32 v14, v4, v2, v14
.LBB4_5227:                             ;   in Loop: Header=BB4_5010 Depth=4
	s_or_b64 exec, exec, s[36:37]
.LBB4_5228:                             ;   in Loop: Header=BB4_5010 Depth=4
	s_or_b64 exec, exec, s[34:35]
.LBB4_5229:                             ;   in Loop: Header=BB4_5010 Depth=4
	s_or_b64 exec, exec, s[28:29]
	v_mul_f32_e32 v14, s45, v14
	v_and_b32_e32 v2, 0x7f800000, v14
	v_cmp_ne_u64_e32 vcc, s[62:63], v[2:3]
                                        ; implicit-def: $vgpr34
	s_and_saveexec_b64 s[28:29], vcc
	s_xor_b64 s[34:35], exec, s[28:29]
	s_cbranch_execz .LBB4_5247
; %bb.5230:                             ;   in Loop: Header=BB4_5010 Depth=4
	v_and_b32_e32 v2, 0x7fffffff, v14
	v_cmp_gt_u64_e32 vcc, s[72:73], v[2:3]
	v_and_b32_sdwa v4, v14, s70 dst_sel:DWORD dst_unused:UNUSED_PAD src0_sel:BYTE_3 src1_sel:DWORD
                                        ; implicit-def: $vgpr34
	s_and_saveexec_b64 s[28:29], vcc
	s_xor_b64 s[36:37], exec, s[28:29]
	s_cbranch_execz .LBB4_5244
; %bb.5231:                             ;   in Loop: Header=BB4_5010 Depth=4
	v_cmp_ne_u32_e32 vcc, 0, v14
	v_mov_b32_e32 v34, 0
	s_and_saveexec_b64 s[38:39], vcc
	s_cbranch_execz .LBB4_5243
; %bb.5232:                             ;   in Loop: Header=BB4_5010 Depth=4
	v_bfe_u32 v17, v14, 23, 8
	v_and_b32_e32 v2, 0x7fffff, v14
	v_cmp_gt_u32_e64 s[28:29], s71, v17
	v_sub_u32_e32 v14, 0x79, v17
	v_cmp_eq_u32_e32 vcc, 0, v17
	v_cndmask_b32_e64 v14, 0, v14, s[28:29]
	v_mov_b32_e32 v22, 0x78
	v_cndmask_b32_e32 v24, v14, v22, vcc
	v_or_b32_e32 v15, 0x800000, v2
	v_add_u32_e32 v14, 20, v24
	v_cndmask_b32_e32 v2, v15, v2, vcc
	v_lshlrev_b64 v[14:15], v14, -1
	v_add_u32_e32 v22, 19, v24
	v_lshlrev_b64 v[22:23], v22, 1
	v_bfi_b32 v15, v15, 0, 0
	v_bfi_b32 v14, v14, 0, v2
	v_cmp_eq_u64_e64 s[28:29], v[14:15], v[22:23]
	v_lshrrev_b64 v[14:15], v24, v[2:3]
	v_mov_b32_e32 v41, v15
	v_mov_b32_e32 v40, v14
	s_and_saveexec_b64 s[48:49], s[28:29]
; %bb.5233:                             ;   in Loop: Header=BB4_5010 Depth=4
	v_bfe_u32 v2, v14, 20, 1
	v_add_co_u32_e64 v2, s[28:29], v14, v2
	v_add_co_u32_e64 v40, s[28:29], -1, v2
; %bb.5234:                             ;   in Loop: Header=BB4_5010 Depth=4
	s_or_b64 exec, exec, s[48:49]
	v_add_u32_e32 v2, 0xffffff81, v17
	v_mov_b32_e32 v15, 0xffffff82
	v_cndmask_b32_e32 v2, v2, v15, vcc
	v_lshrrev_b32_e32 v15, 23, v14
	v_add3_u32 v25, v24, v2, v15
	v_add_u32_e32 v24, 6, v25
	v_and_b32_e32 v2, 0xfffff, v40
	v_add_u32_e32 v2, v2, v14
	v_cmp_ne_u32_e32 vcc, 0, v24
                                        ; implicit-def: $vgpr14_vgpr15
                                        ; implicit-def: $vgpr17
	s_and_saveexec_b64 s[28:29], vcc
	s_xor_b64 s[28:29], exec, s[28:29]
; %bb.5235:                             ;   in Loop: Header=BB4_5010 Depth=4
	v_cmp_lt_u64_e32 vcc, s[74:75], v[2:3]
	v_add_u32_e32 v14, 7, v25
	v_cndmask_b32_e32 v17, v24, v14, vcc
	v_cndmask_b32_e64 v14, 0, 1, vcc
	v_lshrrev_b64 v[14:15], v14, v[2:3]
; %bb.5236:                             ;   in Loop: Header=BB4_5010 Depth=4
	s_andn2_saveexec_b64 s[28:29], s[28:29]
; %bb.5237:                             ;   in Loop: Header=BB4_5010 Depth=4
	v_mov_b32_e32 v15, v3
	v_bfe_u32 v17, v2, 23, 1
	v_mov_b32_e32 v14, v2
; %bb.5238:                             ;   in Loop: Header=BB4_5010 Depth=4
	s_or_b64 exec, exec, s[28:29]
	v_lshrrev_b64 v[14:15], 20, v[14:15]
	v_cmp_gt_i32_e32 vcc, 16, v17
	v_cndmask_b32_e32 v15, 0, v15, vcc
	v_cndmask_b32_e32 v14, 7, v14, vcc
	v_cmp_ne_u64_e32 vcc, 0, v[14:15]
	v_cmp_ne_u32_e64 s[28:29], 0, v17
	s_or_b64 s[28:29], s[28:29], vcc
                                        ; implicit-def: $vgpr34
	s_and_saveexec_b64 vcc, s[28:29]
	s_xor_b64 s[28:29], exec, vcc
; %bb.5239:                             ;   in Loop: Header=BB4_5010 Depth=4
	v_min_i32_e32 v2, 15, v17
	v_lshl_or_b32 v2, v2, 3, v4
	v_and_or_b32 v34, v14, 7, v2
                                        ; implicit-def: $vgpr4
; %bb.5240:                             ;   in Loop: Header=BB4_5010 Depth=4
	s_andn2_saveexec_b64 s[28:29], s[28:29]
; %bb.5241:                             ;   in Loop: Header=BB4_5010 Depth=4
	v_mov_b32_e32 v34, v4
; %bb.5242:                             ;   in Loop: Header=BB4_5010 Depth=4
	s_or_b64 exec, exec, s[28:29]
.LBB4_5243:                             ;   in Loop: Header=BB4_5010 Depth=4
	s_or_b64 exec, exec, s[38:39]
                                        ; implicit-def: $vgpr4
.LBB4_5244:                             ;   in Loop: Header=BB4_5010 Depth=4
	s_andn2_saveexec_b64 s[28:29], s[36:37]
; %bb.5245:                             ;   in Loop: Header=BB4_5010 Depth=4
	v_or_b32_e32 v34, 0x7e, v4
; %bb.5246:                             ;   in Loop: Header=BB4_5010 Depth=4
	s_or_b64 exec, exec, s[28:29]
                                        ; implicit-def: $vgpr14
.LBB4_5247:                             ;   in Loop: Header=BB4_5010 Depth=4
	s_andn2_saveexec_b64 s[28:29], s[34:35]
; %bb.5248:                             ;   in Loop: Header=BB4_5010 Depth=4
	v_or_b32_sdwa v34, v14, s68 dst_sel:DWORD dst_unused:UNUSED_PAD src0_sel:BYTE_3 src1_sel:DWORD
; %bb.5249:                             ;   in Loop: Header=BB4_5010 Depth=4
	s_or_b64 exec, exec, s[28:29]
	flat_load_ubyte v4, v[8:9] offset:576 glc slc
	v_mov_b32_e32 v14, 0
	s_waitcnt vmcnt(0) lgkmcnt(0)
	v_cmp_ne_u16_e32 vcc, 0, v4
	s_and_saveexec_b64 s[28:29], vcc
	s_cbranch_execz .LBB4_5255
; %bb.5250:                             ;   in Loop: Header=BB4_5010 Depth=4
	v_cmp_ne_u16_e32 vcc, s70, v4
	v_bfrev_b32_e32 v14, 1
	s_and_saveexec_b64 s[34:35], vcc
	s_cbranch_execz .LBB4_5254
; %bb.5251:                             ;   in Loop: Header=BB4_5010 Depth=4
	v_and_b32_e32 v2, 0xffff, v4
	v_and_b32_e32 v15, 0x7f, v2
	v_cmp_ne_u32_e32 vcc, s68, v15
	v_mov_b32_e32 v14, 0x7f800001
	s_and_saveexec_b64 s[36:37], vcc
	s_cbranch_execz .LBB4_5253
; %bb.5252:                             ;   in Loop: Header=BB4_5010 Depth=4
	v_and_b32_e32 v17, 7, v2
	v_ffbh_u32_e32 v14, v17
	v_min_u32_e32 v23, 32, v14
	v_subrev_u32_e32 v14, 28, v23
	v_lshrrev_b32_e32 v22, 3, v15
	v_cmp_gt_u32_e32 vcc, 8, v15
	v_lshlrev_b64 v[14:15], v14, v[2:3]
	v_sub_u32_e32 v2, 29, v23
	v_and_b32_e32 v14, 7, v14
	v_cndmask_b32_e32 v2, v22, v2, vcc
	v_cndmask_b32_e32 v14, v17, v14, vcc
	v_lshlrev_b32_e32 v4, 24, v4
	v_lshlrev_b32_e32 v14, 20, v14
	v_and_b32_e32 v4, 0x80000000, v4
	v_lshl_add_u32 v2, v2, 23, v5
	v_or3_b32 v14, v4, v2, v14
.LBB4_5253:                             ;   in Loop: Header=BB4_5010 Depth=4
	s_or_b64 exec, exec, s[36:37]
.LBB4_5254:                             ;   in Loop: Header=BB4_5010 Depth=4
	s_or_b64 exec, exec, s[34:35]
.LBB4_5255:                             ;   in Loop: Header=BB4_5010 Depth=4
	s_or_b64 exec, exec, s[28:29]
	v_mul_f32_e32 v14, s45, v14
	v_and_b32_e32 v2, 0x7f800000, v14
	v_cmp_ne_u64_e32 vcc, s[62:63], v[2:3]
                                        ; implicit-def: $vgpr29
	s_and_saveexec_b64 s[28:29], vcc
	s_xor_b64 s[34:35], exec, s[28:29]
	s_cbranch_execz .LBB4_5273
; %bb.5256:                             ;   in Loop: Header=BB4_5010 Depth=4
	v_and_b32_e32 v2, 0x7fffffff, v14
	v_cmp_gt_u64_e32 vcc, s[72:73], v[2:3]
	v_and_b32_sdwa v4, v14, s70 dst_sel:DWORD dst_unused:UNUSED_PAD src0_sel:BYTE_3 src1_sel:DWORD
                                        ; implicit-def: $vgpr29
	s_and_saveexec_b64 s[28:29], vcc
	s_xor_b64 s[36:37], exec, s[28:29]
	s_cbranch_execz .LBB4_5270
; %bb.5257:                             ;   in Loop: Header=BB4_5010 Depth=4
	v_cmp_ne_u32_e32 vcc, 0, v14
	v_mov_b32_e32 v29, 0
	s_and_saveexec_b64 s[38:39], vcc
	s_cbranch_execz .LBB4_5269
; %bb.5258:                             ;   in Loop: Header=BB4_5010 Depth=4
	v_bfe_u32 v17, v14, 23, 8
	v_and_b32_e32 v2, 0x7fffff, v14
	v_cmp_gt_u32_e64 s[28:29], s71, v17
	v_sub_u32_e32 v14, 0x79, v17
	v_cmp_eq_u32_e32 vcc, 0, v17
	v_cndmask_b32_e64 v14, 0, v14, s[28:29]
	v_mov_b32_e32 v22, 0x78
	v_cndmask_b32_e32 v24, v14, v22, vcc
	v_or_b32_e32 v15, 0x800000, v2
	v_add_u32_e32 v14, 20, v24
	v_cndmask_b32_e32 v2, v15, v2, vcc
	v_lshlrev_b64 v[14:15], v14, -1
	v_add_u32_e32 v22, 19, v24
	v_lshlrev_b64 v[22:23], v22, 1
	v_bfi_b32 v15, v15, 0, 0
	v_bfi_b32 v14, v14, 0, v2
	v_cmp_eq_u64_e64 s[28:29], v[14:15], v[22:23]
	v_lshrrev_b64 v[14:15], v24, v[2:3]
	v_mov_b32_e32 v41, v15
	v_mov_b32_e32 v40, v14
	s_and_saveexec_b64 s[48:49], s[28:29]
; %bb.5259:                             ;   in Loop: Header=BB4_5010 Depth=4
	v_bfe_u32 v2, v14, 20, 1
	v_add_co_u32_e64 v2, s[28:29], v14, v2
	v_add_co_u32_e64 v40, s[28:29], -1, v2
; %bb.5260:                             ;   in Loop: Header=BB4_5010 Depth=4
	s_or_b64 exec, exec, s[48:49]
	v_add_u32_e32 v2, 0xffffff81, v17
	v_mov_b32_e32 v15, 0xffffff82
	v_cndmask_b32_e32 v2, v2, v15, vcc
	v_lshrrev_b32_e32 v15, 23, v14
	v_add3_u32 v25, v24, v2, v15
	v_add_u32_e32 v24, 6, v25
	v_and_b32_e32 v2, 0xfffff, v40
	v_add_u32_e32 v2, v2, v14
	v_cmp_ne_u32_e32 vcc, 0, v24
                                        ; implicit-def: $vgpr14_vgpr15
                                        ; implicit-def: $vgpr17
	s_and_saveexec_b64 s[28:29], vcc
	s_xor_b64 s[28:29], exec, s[28:29]
; %bb.5261:                             ;   in Loop: Header=BB4_5010 Depth=4
	v_cmp_lt_u64_e32 vcc, s[74:75], v[2:3]
	v_add_u32_e32 v14, 7, v25
	v_cndmask_b32_e32 v17, v24, v14, vcc
	v_cndmask_b32_e64 v14, 0, 1, vcc
	v_lshrrev_b64 v[14:15], v14, v[2:3]
; %bb.5262:                             ;   in Loop: Header=BB4_5010 Depth=4
	s_andn2_saveexec_b64 s[28:29], s[28:29]
; %bb.5263:                             ;   in Loop: Header=BB4_5010 Depth=4
	v_mov_b32_e32 v15, v3
	v_bfe_u32 v17, v2, 23, 1
	v_mov_b32_e32 v14, v2
; %bb.5264:                             ;   in Loop: Header=BB4_5010 Depth=4
	s_or_b64 exec, exec, s[28:29]
	v_lshrrev_b64 v[14:15], 20, v[14:15]
	v_cmp_gt_i32_e32 vcc, 16, v17
	v_cndmask_b32_e32 v15, 0, v15, vcc
	v_cndmask_b32_e32 v14, 7, v14, vcc
	v_cmp_ne_u64_e32 vcc, 0, v[14:15]
	v_cmp_ne_u32_e64 s[28:29], 0, v17
	s_or_b64 s[28:29], s[28:29], vcc
                                        ; implicit-def: $vgpr29
	s_and_saveexec_b64 vcc, s[28:29]
	s_xor_b64 s[28:29], exec, vcc
; %bb.5265:                             ;   in Loop: Header=BB4_5010 Depth=4
	v_min_i32_e32 v2, 15, v17
	v_lshl_or_b32 v2, v2, 3, v4
	v_and_or_b32 v29, v14, 7, v2
                                        ; implicit-def: $vgpr4
; %bb.5266:                             ;   in Loop: Header=BB4_5010 Depth=4
	s_andn2_saveexec_b64 s[28:29], s[28:29]
; %bb.5267:                             ;   in Loop: Header=BB4_5010 Depth=4
	v_mov_b32_e32 v29, v4
; %bb.5268:                             ;   in Loop: Header=BB4_5010 Depth=4
	s_or_b64 exec, exec, s[28:29]
.LBB4_5269:                             ;   in Loop: Header=BB4_5010 Depth=4
	s_or_b64 exec, exec, s[38:39]
                                        ; implicit-def: $vgpr4
.LBB4_5270:                             ;   in Loop: Header=BB4_5010 Depth=4
	s_andn2_saveexec_b64 s[28:29], s[36:37]
; %bb.5271:                             ;   in Loop: Header=BB4_5010 Depth=4
	v_or_b32_e32 v29, 0x7e, v4
; %bb.5272:                             ;   in Loop: Header=BB4_5010 Depth=4
	s_or_b64 exec, exec, s[28:29]
                                        ; implicit-def: $vgpr14
.LBB4_5273:                             ;   in Loop: Header=BB4_5010 Depth=4
	s_andn2_saveexec_b64 s[28:29], s[34:35]
; %bb.5274:                             ;   in Loop: Header=BB4_5010 Depth=4
	v_or_b32_sdwa v29, v14, s68 dst_sel:DWORD dst_unused:UNUSED_PAD src0_sel:BYTE_3 src1_sel:DWORD
; %bb.5275:                             ;   in Loop: Header=BB4_5010 Depth=4
	s_or_b64 exec, exec, s[28:29]
	flat_load_ubyte v4, v[8:9] offset:640 glc slc
	v_mov_b32_e32 v14, 0
	s_waitcnt vmcnt(0) lgkmcnt(0)
	v_cmp_ne_u16_e32 vcc, 0, v4
	s_and_saveexec_b64 s[28:29], vcc
	s_cbranch_execz .LBB4_5281
; %bb.5276:                             ;   in Loop: Header=BB4_5010 Depth=4
	v_cmp_ne_u16_e32 vcc, s70, v4
	v_bfrev_b32_e32 v14, 1
	s_and_saveexec_b64 s[34:35], vcc
	s_cbranch_execz .LBB4_5280
; %bb.5277:                             ;   in Loop: Header=BB4_5010 Depth=4
	v_and_b32_e32 v2, 0xffff, v4
	v_and_b32_e32 v15, 0x7f, v2
	v_cmp_ne_u32_e32 vcc, s68, v15
	v_mov_b32_e32 v14, 0x7f800001
	s_and_saveexec_b64 s[36:37], vcc
	s_cbranch_execz .LBB4_5279
; %bb.5278:                             ;   in Loop: Header=BB4_5010 Depth=4
	v_and_b32_e32 v17, 7, v2
	v_ffbh_u32_e32 v14, v17
	v_min_u32_e32 v23, 32, v14
	v_subrev_u32_e32 v14, 28, v23
	v_lshrrev_b32_e32 v22, 3, v15
	v_cmp_gt_u32_e32 vcc, 8, v15
	v_lshlrev_b64 v[14:15], v14, v[2:3]
	v_sub_u32_e32 v2, 29, v23
	v_and_b32_e32 v14, 7, v14
	v_cndmask_b32_e32 v2, v22, v2, vcc
	v_cndmask_b32_e32 v14, v17, v14, vcc
	v_lshlrev_b32_e32 v4, 24, v4
	v_lshlrev_b32_e32 v14, 20, v14
	v_and_b32_e32 v4, 0x80000000, v4
	v_lshl_add_u32 v2, v2, 23, v5
	v_or3_b32 v14, v4, v2, v14
.LBB4_5279:                             ;   in Loop: Header=BB4_5010 Depth=4
	s_or_b64 exec, exec, s[36:37]
.LBB4_5280:                             ;   in Loop: Header=BB4_5010 Depth=4
	s_or_b64 exec, exec, s[34:35]
.LBB4_5281:                             ;   in Loop: Header=BB4_5010 Depth=4
	s_or_b64 exec, exec, s[28:29]
	v_mul_f32_e32 v14, s45, v14
	v_and_b32_e32 v2, 0x7f800000, v14
	v_cmp_ne_u64_e32 vcc, s[62:63], v[2:3]
                                        ; implicit-def: $vgpr28
	s_and_saveexec_b64 s[28:29], vcc
	s_xor_b64 s[34:35], exec, s[28:29]
	s_cbranch_execz .LBB4_5299
; %bb.5282:                             ;   in Loop: Header=BB4_5010 Depth=4
	v_and_b32_e32 v2, 0x7fffffff, v14
	v_cmp_gt_u64_e32 vcc, s[72:73], v[2:3]
	v_and_b32_sdwa v4, v14, s70 dst_sel:DWORD dst_unused:UNUSED_PAD src0_sel:BYTE_3 src1_sel:DWORD
                                        ; implicit-def: $vgpr28
	s_and_saveexec_b64 s[28:29], vcc
	s_xor_b64 s[36:37], exec, s[28:29]
	s_cbranch_execz .LBB4_5296
; %bb.5283:                             ;   in Loop: Header=BB4_5010 Depth=4
	v_cmp_ne_u32_e32 vcc, 0, v14
	v_mov_b32_e32 v28, 0
	s_and_saveexec_b64 s[38:39], vcc
	s_cbranch_execz .LBB4_5295
; %bb.5284:                             ;   in Loop: Header=BB4_5010 Depth=4
	v_bfe_u32 v17, v14, 23, 8
	v_and_b32_e32 v2, 0x7fffff, v14
	v_cmp_gt_u32_e64 s[28:29], s71, v17
	v_sub_u32_e32 v14, 0x79, v17
	v_cmp_eq_u32_e32 vcc, 0, v17
	v_cndmask_b32_e64 v14, 0, v14, s[28:29]
	v_mov_b32_e32 v22, 0x78
	v_cndmask_b32_e32 v24, v14, v22, vcc
	v_or_b32_e32 v15, 0x800000, v2
	v_add_u32_e32 v14, 20, v24
	v_cndmask_b32_e32 v2, v15, v2, vcc
	v_lshlrev_b64 v[14:15], v14, -1
	v_add_u32_e32 v22, 19, v24
	v_lshlrev_b64 v[22:23], v22, 1
	v_bfi_b32 v15, v15, 0, 0
	v_bfi_b32 v14, v14, 0, v2
	v_cmp_eq_u64_e64 s[28:29], v[14:15], v[22:23]
	v_lshrrev_b64 v[14:15], v24, v[2:3]
	v_mov_b32_e32 v41, v15
	v_mov_b32_e32 v40, v14
	s_and_saveexec_b64 s[48:49], s[28:29]
; %bb.5285:                             ;   in Loop: Header=BB4_5010 Depth=4
	v_bfe_u32 v2, v14, 20, 1
	v_add_co_u32_e64 v2, s[28:29], v14, v2
	v_add_co_u32_e64 v40, s[28:29], -1, v2
; %bb.5286:                             ;   in Loop: Header=BB4_5010 Depth=4
	s_or_b64 exec, exec, s[48:49]
	v_add_u32_e32 v2, 0xffffff81, v17
	v_mov_b32_e32 v15, 0xffffff82
	v_cndmask_b32_e32 v2, v2, v15, vcc
	v_lshrrev_b32_e32 v15, 23, v14
	v_add3_u32 v25, v24, v2, v15
	v_add_u32_e32 v24, 6, v25
	v_and_b32_e32 v2, 0xfffff, v40
	v_add_u32_e32 v2, v2, v14
	v_cmp_ne_u32_e32 vcc, 0, v24
                                        ; implicit-def: $vgpr14_vgpr15
                                        ; implicit-def: $vgpr17
	s_and_saveexec_b64 s[28:29], vcc
	s_xor_b64 s[28:29], exec, s[28:29]
; %bb.5287:                             ;   in Loop: Header=BB4_5010 Depth=4
	v_cmp_lt_u64_e32 vcc, s[74:75], v[2:3]
	v_add_u32_e32 v14, 7, v25
	v_cndmask_b32_e32 v17, v24, v14, vcc
	v_cndmask_b32_e64 v14, 0, 1, vcc
	v_lshrrev_b64 v[14:15], v14, v[2:3]
; %bb.5288:                             ;   in Loop: Header=BB4_5010 Depth=4
	s_andn2_saveexec_b64 s[28:29], s[28:29]
; %bb.5289:                             ;   in Loop: Header=BB4_5010 Depth=4
	v_mov_b32_e32 v15, v3
	v_bfe_u32 v17, v2, 23, 1
	v_mov_b32_e32 v14, v2
; %bb.5290:                             ;   in Loop: Header=BB4_5010 Depth=4
	s_or_b64 exec, exec, s[28:29]
	v_lshrrev_b64 v[14:15], 20, v[14:15]
	v_cmp_gt_i32_e32 vcc, 16, v17
	v_cndmask_b32_e32 v15, 0, v15, vcc
	v_cndmask_b32_e32 v14, 7, v14, vcc
	v_cmp_ne_u64_e32 vcc, 0, v[14:15]
	v_cmp_ne_u32_e64 s[28:29], 0, v17
	s_or_b64 s[28:29], s[28:29], vcc
                                        ; implicit-def: $vgpr28
	s_and_saveexec_b64 vcc, s[28:29]
	s_xor_b64 s[28:29], exec, vcc
; %bb.5291:                             ;   in Loop: Header=BB4_5010 Depth=4
	v_min_i32_e32 v2, 15, v17
	v_lshl_or_b32 v2, v2, 3, v4
	v_and_or_b32 v28, v14, 7, v2
                                        ; implicit-def: $vgpr4
; %bb.5292:                             ;   in Loop: Header=BB4_5010 Depth=4
	s_andn2_saveexec_b64 s[28:29], s[28:29]
; %bb.5293:                             ;   in Loop: Header=BB4_5010 Depth=4
	v_mov_b32_e32 v28, v4
; %bb.5294:                             ;   in Loop: Header=BB4_5010 Depth=4
	s_or_b64 exec, exec, s[28:29]
.LBB4_5295:                             ;   in Loop: Header=BB4_5010 Depth=4
	s_or_b64 exec, exec, s[38:39]
                                        ; implicit-def: $vgpr4
.LBB4_5296:                             ;   in Loop: Header=BB4_5010 Depth=4
	s_andn2_saveexec_b64 s[28:29], s[36:37]
; %bb.5297:                             ;   in Loop: Header=BB4_5010 Depth=4
	v_or_b32_e32 v28, 0x7e, v4
; %bb.5298:                             ;   in Loop: Header=BB4_5010 Depth=4
	s_or_b64 exec, exec, s[28:29]
                                        ; implicit-def: $vgpr14
.LBB4_5299:                             ;   in Loop: Header=BB4_5010 Depth=4
	s_andn2_saveexec_b64 s[28:29], s[34:35]
; %bb.5300:                             ;   in Loop: Header=BB4_5010 Depth=4
	v_or_b32_sdwa v28, v14, s68 dst_sel:DWORD dst_unused:UNUSED_PAD src0_sel:BYTE_3 src1_sel:DWORD
; %bb.5301:                             ;   in Loop: Header=BB4_5010 Depth=4
	s_or_b64 exec, exec, s[28:29]
	flat_load_ubyte v4, v[8:9] offset:704 glc slc
	v_mov_b32_e32 v14, 0
	s_waitcnt vmcnt(0) lgkmcnt(0)
	v_cmp_ne_u16_e32 vcc, 0, v4
	s_and_saveexec_b64 s[28:29], vcc
	s_cbranch_execz .LBB4_5307
; %bb.5302:                             ;   in Loop: Header=BB4_5010 Depth=4
	v_cmp_ne_u16_e32 vcc, s70, v4
	v_bfrev_b32_e32 v14, 1
	s_and_saveexec_b64 s[34:35], vcc
	s_cbranch_execz .LBB4_5306
; %bb.5303:                             ;   in Loop: Header=BB4_5010 Depth=4
	v_and_b32_e32 v2, 0xffff, v4
	v_and_b32_e32 v15, 0x7f, v2
	v_cmp_ne_u32_e32 vcc, s68, v15
	v_mov_b32_e32 v14, 0x7f800001
	s_and_saveexec_b64 s[36:37], vcc
	s_cbranch_execz .LBB4_5305
; %bb.5304:                             ;   in Loop: Header=BB4_5010 Depth=4
	v_and_b32_e32 v17, 7, v2
	v_ffbh_u32_e32 v14, v17
	v_min_u32_e32 v23, 32, v14
	v_subrev_u32_e32 v14, 28, v23
	v_lshrrev_b32_e32 v22, 3, v15
	v_cmp_gt_u32_e32 vcc, 8, v15
	v_lshlrev_b64 v[14:15], v14, v[2:3]
	v_sub_u32_e32 v2, 29, v23
	v_and_b32_e32 v14, 7, v14
	v_cndmask_b32_e32 v2, v22, v2, vcc
	v_cndmask_b32_e32 v14, v17, v14, vcc
	v_lshlrev_b32_e32 v4, 24, v4
	v_lshlrev_b32_e32 v14, 20, v14
	v_and_b32_e32 v4, 0x80000000, v4
	v_lshl_add_u32 v2, v2, 23, v5
	v_or3_b32 v14, v4, v2, v14
.LBB4_5305:                             ;   in Loop: Header=BB4_5010 Depth=4
	s_or_b64 exec, exec, s[36:37]
.LBB4_5306:                             ;   in Loop: Header=BB4_5010 Depth=4
	s_or_b64 exec, exec, s[34:35]
.LBB4_5307:                             ;   in Loop: Header=BB4_5010 Depth=4
	s_or_b64 exec, exec, s[28:29]
	v_mul_f32_e32 v14, s45, v14
	v_and_b32_e32 v2, 0x7f800000, v14
	v_cmp_ne_u64_e32 vcc, s[62:63], v[2:3]
                                        ; implicit-def: $vgpr27
	s_and_saveexec_b64 s[28:29], vcc
	s_xor_b64 s[34:35], exec, s[28:29]
	s_cbranch_execz .LBB4_5325
; %bb.5308:                             ;   in Loop: Header=BB4_5010 Depth=4
	v_and_b32_e32 v2, 0x7fffffff, v14
	v_cmp_gt_u64_e32 vcc, s[72:73], v[2:3]
	v_and_b32_sdwa v4, v14, s70 dst_sel:DWORD dst_unused:UNUSED_PAD src0_sel:BYTE_3 src1_sel:DWORD
                                        ; implicit-def: $vgpr27
	s_and_saveexec_b64 s[28:29], vcc
	s_xor_b64 s[36:37], exec, s[28:29]
	s_cbranch_execz .LBB4_5322
; %bb.5309:                             ;   in Loop: Header=BB4_5010 Depth=4
	v_cmp_ne_u32_e32 vcc, 0, v14
	v_mov_b32_e32 v27, 0
	s_and_saveexec_b64 s[38:39], vcc
	s_cbranch_execz .LBB4_5321
; %bb.5310:                             ;   in Loop: Header=BB4_5010 Depth=4
	v_bfe_u32 v17, v14, 23, 8
	v_and_b32_e32 v2, 0x7fffff, v14
	v_cmp_gt_u32_e64 s[28:29], s71, v17
	v_sub_u32_e32 v14, 0x79, v17
	v_cmp_eq_u32_e32 vcc, 0, v17
	v_cndmask_b32_e64 v14, 0, v14, s[28:29]
	v_mov_b32_e32 v22, 0x78
	v_cndmask_b32_e32 v24, v14, v22, vcc
	v_or_b32_e32 v15, 0x800000, v2
	v_add_u32_e32 v14, 20, v24
	v_cndmask_b32_e32 v2, v15, v2, vcc
	v_lshlrev_b64 v[14:15], v14, -1
	v_add_u32_e32 v22, 19, v24
	v_lshlrev_b64 v[22:23], v22, 1
	v_bfi_b32 v15, v15, 0, 0
	v_bfi_b32 v14, v14, 0, v2
	v_cmp_eq_u64_e64 s[28:29], v[14:15], v[22:23]
	v_lshrrev_b64 v[14:15], v24, v[2:3]
	v_mov_b32_e32 v41, v15
	v_mov_b32_e32 v40, v14
	s_and_saveexec_b64 s[48:49], s[28:29]
; %bb.5311:                             ;   in Loop: Header=BB4_5010 Depth=4
	v_bfe_u32 v2, v14, 20, 1
	v_add_co_u32_e64 v2, s[28:29], v14, v2
	v_add_co_u32_e64 v40, s[28:29], -1, v2
; %bb.5312:                             ;   in Loop: Header=BB4_5010 Depth=4
	s_or_b64 exec, exec, s[48:49]
	v_add_u32_e32 v2, 0xffffff81, v17
	v_mov_b32_e32 v15, 0xffffff82
	v_cndmask_b32_e32 v2, v2, v15, vcc
	v_lshrrev_b32_e32 v15, 23, v14
	v_add3_u32 v25, v24, v2, v15
	v_add_u32_e32 v24, 6, v25
	v_and_b32_e32 v2, 0xfffff, v40
	v_add_u32_e32 v2, v2, v14
	v_cmp_ne_u32_e32 vcc, 0, v24
                                        ; implicit-def: $vgpr14_vgpr15
                                        ; implicit-def: $vgpr17
	s_and_saveexec_b64 s[28:29], vcc
	s_xor_b64 s[28:29], exec, s[28:29]
; %bb.5313:                             ;   in Loop: Header=BB4_5010 Depth=4
	v_cmp_lt_u64_e32 vcc, s[74:75], v[2:3]
	v_add_u32_e32 v14, 7, v25
	v_cndmask_b32_e32 v17, v24, v14, vcc
	v_cndmask_b32_e64 v14, 0, 1, vcc
	v_lshrrev_b64 v[14:15], v14, v[2:3]
; %bb.5314:                             ;   in Loop: Header=BB4_5010 Depth=4
	s_andn2_saveexec_b64 s[28:29], s[28:29]
; %bb.5315:                             ;   in Loop: Header=BB4_5010 Depth=4
	v_mov_b32_e32 v15, v3
	v_bfe_u32 v17, v2, 23, 1
	v_mov_b32_e32 v14, v2
; %bb.5316:                             ;   in Loop: Header=BB4_5010 Depth=4
	s_or_b64 exec, exec, s[28:29]
	v_lshrrev_b64 v[14:15], 20, v[14:15]
	v_cmp_gt_i32_e32 vcc, 16, v17
	v_cndmask_b32_e32 v15, 0, v15, vcc
	v_cndmask_b32_e32 v14, 7, v14, vcc
	v_cmp_ne_u64_e32 vcc, 0, v[14:15]
	v_cmp_ne_u32_e64 s[28:29], 0, v17
	s_or_b64 s[28:29], s[28:29], vcc
                                        ; implicit-def: $vgpr27
	s_and_saveexec_b64 vcc, s[28:29]
	s_xor_b64 s[28:29], exec, vcc
; %bb.5317:                             ;   in Loop: Header=BB4_5010 Depth=4
	v_min_i32_e32 v2, 15, v17
	v_lshl_or_b32 v2, v2, 3, v4
	v_and_or_b32 v27, v14, 7, v2
                                        ; implicit-def: $vgpr4
; %bb.5318:                             ;   in Loop: Header=BB4_5010 Depth=4
	s_andn2_saveexec_b64 s[28:29], s[28:29]
; %bb.5319:                             ;   in Loop: Header=BB4_5010 Depth=4
	v_mov_b32_e32 v27, v4
; %bb.5320:                             ;   in Loop: Header=BB4_5010 Depth=4
	s_or_b64 exec, exec, s[28:29]
.LBB4_5321:                             ;   in Loop: Header=BB4_5010 Depth=4
	s_or_b64 exec, exec, s[38:39]
                                        ; implicit-def: $vgpr4
.LBB4_5322:                             ;   in Loop: Header=BB4_5010 Depth=4
	s_andn2_saveexec_b64 s[28:29], s[36:37]
; %bb.5323:                             ;   in Loop: Header=BB4_5010 Depth=4
	v_or_b32_e32 v27, 0x7e, v4
; %bb.5324:                             ;   in Loop: Header=BB4_5010 Depth=4
	s_or_b64 exec, exec, s[28:29]
                                        ; implicit-def: $vgpr14
.LBB4_5325:                             ;   in Loop: Header=BB4_5010 Depth=4
	s_andn2_saveexec_b64 s[28:29], s[34:35]
; %bb.5326:                             ;   in Loop: Header=BB4_5010 Depth=4
	v_or_b32_sdwa v27, v14, s68 dst_sel:DWORD dst_unused:UNUSED_PAD src0_sel:BYTE_3 src1_sel:DWORD
; %bb.5327:                             ;   in Loop: Header=BB4_5010 Depth=4
	s_or_b64 exec, exec, s[28:29]
	flat_load_ubyte v4, v[8:9] offset:768 glc slc
	v_mov_b32_e32 v14, 0
	s_waitcnt vmcnt(0) lgkmcnt(0)
	v_cmp_ne_u16_e32 vcc, 0, v4
	s_and_saveexec_b64 s[28:29], vcc
	s_cbranch_execz .LBB4_5333
; %bb.5328:                             ;   in Loop: Header=BB4_5010 Depth=4
	v_cmp_ne_u16_e32 vcc, s70, v4
	v_bfrev_b32_e32 v14, 1
	s_and_saveexec_b64 s[34:35], vcc
	s_cbranch_execz .LBB4_5332
; %bb.5329:                             ;   in Loop: Header=BB4_5010 Depth=4
	v_and_b32_e32 v2, 0xffff, v4
	v_and_b32_e32 v15, 0x7f, v2
	v_cmp_ne_u32_e32 vcc, s68, v15
	v_mov_b32_e32 v14, 0x7f800001
	s_and_saveexec_b64 s[36:37], vcc
	s_cbranch_execz .LBB4_5331
; %bb.5330:                             ;   in Loop: Header=BB4_5010 Depth=4
	v_and_b32_e32 v17, 7, v2
	v_ffbh_u32_e32 v14, v17
	v_min_u32_e32 v23, 32, v14
	v_subrev_u32_e32 v14, 28, v23
	v_lshrrev_b32_e32 v22, 3, v15
	v_cmp_gt_u32_e32 vcc, 8, v15
	v_lshlrev_b64 v[14:15], v14, v[2:3]
	v_sub_u32_e32 v2, 29, v23
	v_and_b32_e32 v14, 7, v14
	v_cndmask_b32_e32 v2, v22, v2, vcc
	v_cndmask_b32_e32 v14, v17, v14, vcc
	v_lshlrev_b32_e32 v4, 24, v4
	v_lshlrev_b32_e32 v14, 20, v14
	v_and_b32_e32 v4, 0x80000000, v4
	v_lshl_add_u32 v2, v2, 23, v5
	v_or3_b32 v14, v4, v2, v14
.LBB4_5331:                             ;   in Loop: Header=BB4_5010 Depth=4
	s_or_b64 exec, exec, s[36:37]
.LBB4_5332:                             ;   in Loop: Header=BB4_5010 Depth=4
	s_or_b64 exec, exec, s[34:35]
.LBB4_5333:                             ;   in Loop: Header=BB4_5010 Depth=4
	s_or_b64 exec, exec, s[28:29]
	v_mul_f32_e32 v14, s45, v14
	v_and_b32_e32 v2, 0x7f800000, v14
	v_cmp_ne_u64_e32 vcc, s[62:63], v[2:3]
                                        ; implicit-def: $vgpr26
	s_and_saveexec_b64 s[28:29], vcc
	s_xor_b64 s[34:35], exec, s[28:29]
	s_cbranch_execz .LBB4_5351
; %bb.5334:                             ;   in Loop: Header=BB4_5010 Depth=4
	v_and_b32_e32 v2, 0x7fffffff, v14
	v_cmp_gt_u64_e32 vcc, s[72:73], v[2:3]
	v_and_b32_sdwa v4, v14, s70 dst_sel:DWORD dst_unused:UNUSED_PAD src0_sel:BYTE_3 src1_sel:DWORD
                                        ; implicit-def: $vgpr26
	s_and_saveexec_b64 s[28:29], vcc
	s_xor_b64 s[36:37], exec, s[28:29]
	s_cbranch_execz .LBB4_5348
; %bb.5335:                             ;   in Loop: Header=BB4_5010 Depth=4
	v_cmp_ne_u32_e32 vcc, 0, v14
	v_mov_b32_e32 v26, 0
	s_and_saveexec_b64 s[38:39], vcc
	s_cbranch_execz .LBB4_5347
; %bb.5336:                             ;   in Loop: Header=BB4_5010 Depth=4
	v_bfe_u32 v17, v14, 23, 8
	v_and_b32_e32 v2, 0x7fffff, v14
	v_cmp_gt_u32_e64 s[28:29], s71, v17
	v_sub_u32_e32 v14, 0x79, v17
	v_cmp_eq_u32_e32 vcc, 0, v17
	v_cndmask_b32_e64 v14, 0, v14, s[28:29]
	v_mov_b32_e32 v22, 0x78
	v_cndmask_b32_e32 v24, v14, v22, vcc
	v_or_b32_e32 v15, 0x800000, v2
	v_add_u32_e32 v14, 20, v24
	v_cndmask_b32_e32 v2, v15, v2, vcc
	v_lshlrev_b64 v[14:15], v14, -1
	v_add_u32_e32 v22, 19, v24
	v_lshlrev_b64 v[22:23], v22, 1
	v_bfi_b32 v15, v15, 0, 0
	v_bfi_b32 v14, v14, 0, v2
	v_cmp_eq_u64_e64 s[28:29], v[14:15], v[22:23]
	v_lshrrev_b64 v[14:15], v24, v[2:3]
	v_mov_b32_e32 v41, v15
	v_mov_b32_e32 v40, v14
	s_and_saveexec_b64 s[48:49], s[28:29]
; %bb.5337:                             ;   in Loop: Header=BB4_5010 Depth=4
	v_bfe_u32 v2, v14, 20, 1
	v_add_co_u32_e64 v2, s[28:29], v14, v2
	v_add_co_u32_e64 v40, s[28:29], -1, v2
; %bb.5338:                             ;   in Loop: Header=BB4_5010 Depth=4
	s_or_b64 exec, exec, s[48:49]
	v_add_u32_e32 v2, 0xffffff81, v17
	v_mov_b32_e32 v15, 0xffffff82
	v_cndmask_b32_e32 v2, v2, v15, vcc
	v_lshrrev_b32_e32 v15, 23, v14
	v_add3_u32 v25, v24, v2, v15
	v_add_u32_e32 v24, 6, v25
	v_and_b32_e32 v2, 0xfffff, v40
	v_add_u32_e32 v2, v2, v14
	v_cmp_ne_u32_e32 vcc, 0, v24
                                        ; implicit-def: $vgpr14_vgpr15
                                        ; implicit-def: $vgpr17
	s_and_saveexec_b64 s[28:29], vcc
	s_xor_b64 s[28:29], exec, s[28:29]
; %bb.5339:                             ;   in Loop: Header=BB4_5010 Depth=4
	v_cmp_lt_u64_e32 vcc, s[74:75], v[2:3]
	v_add_u32_e32 v14, 7, v25
	v_cndmask_b32_e32 v17, v24, v14, vcc
	v_cndmask_b32_e64 v14, 0, 1, vcc
	v_lshrrev_b64 v[14:15], v14, v[2:3]
; %bb.5340:                             ;   in Loop: Header=BB4_5010 Depth=4
	s_andn2_saveexec_b64 s[28:29], s[28:29]
; %bb.5341:                             ;   in Loop: Header=BB4_5010 Depth=4
	v_mov_b32_e32 v15, v3
	v_bfe_u32 v17, v2, 23, 1
	v_mov_b32_e32 v14, v2
; %bb.5342:                             ;   in Loop: Header=BB4_5010 Depth=4
	s_or_b64 exec, exec, s[28:29]
	v_lshrrev_b64 v[14:15], 20, v[14:15]
	v_cmp_gt_i32_e32 vcc, 16, v17
	v_cndmask_b32_e32 v15, 0, v15, vcc
	v_cndmask_b32_e32 v14, 7, v14, vcc
	v_cmp_ne_u64_e32 vcc, 0, v[14:15]
	v_cmp_ne_u32_e64 s[28:29], 0, v17
	s_or_b64 s[28:29], s[28:29], vcc
                                        ; implicit-def: $vgpr26
	s_and_saveexec_b64 vcc, s[28:29]
	s_xor_b64 s[28:29], exec, vcc
; %bb.5343:                             ;   in Loop: Header=BB4_5010 Depth=4
	v_min_i32_e32 v2, 15, v17
	v_lshl_or_b32 v2, v2, 3, v4
	v_and_or_b32 v26, v14, 7, v2
                                        ; implicit-def: $vgpr4
; %bb.5344:                             ;   in Loop: Header=BB4_5010 Depth=4
	s_andn2_saveexec_b64 s[28:29], s[28:29]
; %bb.5345:                             ;   in Loop: Header=BB4_5010 Depth=4
	v_mov_b32_e32 v26, v4
; %bb.5346:                             ;   in Loop: Header=BB4_5010 Depth=4
	s_or_b64 exec, exec, s[28:29]
.LBB4_5347:                             ;   in Loop: Header=BB4_5010 Depth=4
	s_or_b64 exec, exec, s[38:39]
                                        ; implicit-def: $vgpr4
.LBB4_5348:                             ;   in Loop: Header=BB4_5010 Depth=4
	s_andn2_saveexec_b64 s[28:29], s[36:37]
; %bb.5349:                             ;   in Loop: Header=BB4_5010 Depth=4
	v_or_b32_e32 v26, 0x7e, v4
; %bb.5350:                             ;   in Loop: Header=BB4_5010 Depth=4
	s_or_b64 exec, exec, s[28:29]
                                        ; implicit-def: $vgpr14
.LBB4_5351:                             ;   in Loop: Header=BB4_5010 Depth=4
	s_andn2_saveexec_b64 s[28:29], s[34:35]
; %bb.5352:                             ;   in Loop: Header=BB4_5010 Depth=4
	v_or_b32_sdwa v26, v14, s68 dst_sel:DWORD dst_unused:UNUSED_PAD src0_sel:BYTE_3 src1_sel:DWORD
; %bb.5353:                             ;   in Loop: Header=BB4_5010 Depth=4
	s_or_b64 exec, exec, s[28:29]
	flat_load_ubyte v4, v[8:9] offset:832 glc slc
	v_mov_b32_e32 v14, 0
	s_waitcnt vmcnt(0) lgkmcnt(0)
	v_cmp_ne_u16_e32 vcc, 0, v4
	s_and_saveexec_b64 s[28:29], vcc
	s_cbranch_execz .LBB4_5359
; %bb.5354:                             ;   in Loop: Header=BB4_5010 Depth=4
	v_cmp_ne_u16_e32 vcc, s70, v4
	v_bfrev_b32_e32 v14, 1
	s_and_saveexec_b64 s[34:35], vcc
	s_cbranch_execz .LBB4_5358
; %bb.5355:                             ;   in Loop: Header=BB4_5010 Depth=4
	v_and_b32_e32 v2, 0xffff, v4
	v_and_b32_e32 v15, 0x7f, v2
	v_cmp_ne_u32_e32 vcc, s68, v15
	v_mov_b32_e32 v14, 0x7f800001
	s_and_saveexec_b64 s[36:37], vcc
	s_cbranch_execz .LBB4_5357
; %bb.5356:                             ;   in Loop: Header=BB4_5010 Depth=4
	v_and_b32_e32 v17, 7, v2
	v_ffbh_u32_e32 v14, v17
	v_min_u32_e32 v23, 32, v14
	v_subrev_u32_e32 v14, 28, v23
	v_lshrrev_b32_e32 v22, 3, v15
	v_cmp_gt_u32_e32 vcc, 8, v15
	v_lshlrev_b64 v[14:15], v14, v[2:3]
	v_sub_u32_e32 v2, 29, v23
	v_and_b32_e32 v14, 7, v14
	v_cndmask_b32_e32 v2, v22, v2, vcc
	v_cndmask_b32_e32 v14, v17, v14, vcc
	v_lshlrev_b32_e32 v4, 24, v4
	v_lshlrev_b32_e32 v14, 20, v14
	v_and_b32_e32 v4, 0x80000000, v4
	v_lshl_add_u32 v2, v2, 23, v5
	v_or3_b32 v14, v4, v2, v14
.LBB4_5357:                             ;   in Loop: Header=BB4_5010 Depth=4
	s_or_b64 exec, exec, s[36:37]
.LBB4_5358:                             ;   in Loop: Header=BB4_5010 Depth=4
	s_or_b64 exec, exec, s[34:35]
.LBB4_5359:                             ;   in Loop: Header=BB4_5010 Depth=4
	s_or_b64 exec, exec, s[28:29]
	v_mul_f32_e32 v14, s45, v14
	v_and_b32_e32 v2, 0x7f800000, v14
	v_cmp_ne_u64_e32 vcc, s[62:63], v[2:3]
                                        ; implicit-def: $vgpr25
	s_and_saveexec_b64 s[28:29], vcc
	s_xor_b64 s[34:35], exec, s[28:29]
	s_cbranch_execz .LBB4_5377
; %bb.5360:                             ;   in Loop: Header=BB4_5010 Depth=4
	v_and_b32_e32 v2, 0x7fffffff, v14
	v_cmp_gt_u64_e32 vcc, s[72:73], v[2:3]
	v_and_b32_sdwa v4, v14, s70 dst_sel:DWORD dst_unused:UNUSED_PAD src0_sel:BYTE_3 src1_sel:DWORD
                                        ; implicit-def: $vgpr25
	s_and_saveexec_b64 s[28:29], vcc
	s_xor_b64 s[36:37], exec, s[28:29]
	s_cbranch_execz .LBB4_5374
; %bb.5361:                             ;   in Loop: Header=BB4_5010 Depth=4
	v_cmp_ne_u32_e32 vcc, 0, v14
	v_mov_b32_e32 v25, 0
	s_and_saveexec_b64 s[38:39], vcc
	s_cbranch_execz .LBB4_5373
; %bb.5362:                             ;   in Loop: Header=BB4_5010 Depth=4
	v_bfe_u32 v17, v14, 23, 8
	v_and_b32_e32 v2, 0x7fffff, v14
	v_cmp_gt_u32_e64 s[28:29], s71, v17
	v_sub_u32_e32 v14, 0x79, v17
	v_cmp_eq_u32_e32 vcc, 0, v17
	v_cndmask_b32_e64 v14, 0, v14, s[28:29]
	v_mov_b32_e32 v22, 0x78
	v_cndmask_b32_e32 v24, v14, v22, vcc
	v_or_b32_e32 v15, 0x800000, v2
	v_add_u32_e32 v14, 20, v24
	v_cndmask_b32_e32 v2, v15, v2, vcc
	v_lshlrev_b64 v[14:15], v14, -1
	v_add_u32_e32 v22, 19, v24
	v_lshlrev_b64 v[22:23], v22, 1
	v_bfi_b32 v15, v15, 0, 0
	v_bfi_b32 v14, v14, 0, v2
	v_cmp_eq_u64_e64 s[28:29], v[14:15], v[22:23]
	v_lshrrev_b64 v[14:15], v24, v[2:3]
	v_mov_b32_e32 v41, v15
	v_mov_b32_e32 v40, v14
	s_and_saveexec_b64 s[48:49], s[28:29]
; %bb.5363:                             ;   in Loop: Header=BB4_5010 Depth=4
	v_bfe_u32 v2, v14, 20, 1
	v_add_co_u32_e64 v2, s[28:29], v14, v2
	v_add_co_u32_e64 v40, s[28:29], -1, v2
; %bb.5364:                             ;   in Loop: Header=BB4_5010 Depth=4
	s_or_b64 exec, exec, s[48:49]
	v_add_u32_e32 v2, 0xffffff81, v17
	v_mov_b32_e32 v15, 0xffffff82
	v_cndmask_b32_e32 v2, v2, v15, vcc
	v_lshrrev_b32_e32 v15, 23, v14
	v_add3_u32 v25, v24, v2, v15
	v_add_u32_e32 v24, 6, v25
	v_and_b32_e32 v2, 0xfffff, v40
	v_add_u32_e32 v2, v2, v14
	v_cmp_ne_u32_e32 vcc, 0, v24
                                        ; implicit-def: $vgpr14_vgpr15
                                        ; implicit-def: $vgpr17
	s_and_saveexec_b64 s[28:29], vcc
	s_xor_b64 s[28:29], exec, s[28:29]
; %bb.5365:                             ;   in Loop: Header=BB4_5010 Depth=4
	v_cmp_lt_u64_e32 vcc, s[74:75], v[2:3]
	v_add_u32_e32 v14, 7, v25
	v_cndmask_b32_e32 v17, v24, v14, vcc
	v_cndmask_b32_e64 v14, 0, 1, vcc
	v_lshrrev_b64 v[14:15], v14, v[2:3]
; %bb.5366:                             ;   in Loop: Header=BB4_5010 Depth=4
	s_andn2_saveexec_b64 s[28:29], s[28:29]
; %bb.5367:                             ;   in Loop: Header=BB4_5010 Depth=4
	v_mov_b32_e32 v15, v3
	v_bfe_u32 v17, v2, 23, 1
	v_mov_b32_e32 v14, v2
; %bb.5368:                             ;   in Loop: Header=BB4_5010 Depth=4
	s_or_b64 exec, exec, s[28:29]
	v_lshrrev_b64 v[14:15], 20, v[14:15]
	v_cmp_gt_i32_e32 vcc, 16, v17
	v_cndmask_b32_e32 v15, 0, v15, vcc
	v_cndmask_b32_e32 v14, 7, v14, vcc
	v_cmp_ne_u64_e32 vcc, 0, v[14:15]
	v_cmp_ne_u32_e64 s[28:29], 0, v17
	s_or_b64 s[28:29], s[28:29], vcc
                                        ; implicit-def: $vgpr25
	s_and_saveexec_b64 vcc, s[28:29]
	s_xor_b64 s[28:29], exec, vcc
; %bb.5369:                             ;   in Loop: Header=BB4_5010 Depth=4
	v_min_i32_e32 v2, 15, v17
	v_lshl_or_b32 v2, v2, 3, v4
	v_and_or_b32 v25, v14, 7, v2
                                        ; implicit-def: $vgpr4
; %bb.5370:                             ;   in Loop: Header=BB4_5010 Depth=4
	s_andn2_saveexec_b64 s[28:29], s[28:29]
; %bb.5371:                             ;   in Loop: Header=BB4_5010 Depth=4
	v_mov_b32_e32 v25, v4
; %bb.5372:                             ;   in Loop: Header=BB4_5010 Depth=4
	s_or_b64 exec, exec, s[28:29]
.LBB4_5373:                             ;   in Loop: Header=BB4_5010 Depth=4
	s_or_b64 exec, exec, s[38:39]
                                        ; implicit-def: $vgpr4
.LBB4_5374:                             ;   in Loop: Header=BB4_5010 Depth=4
	s_andn2_saveexec_b64 s[28:29], s[36:37]
; %bb.5375:                             ;   in Loop: Header=BB4_5010 Depth=4
	v_or_b32_e32 v25, 0x7e, v4
; %bb.5376:                             ;   in Loop: Header=BB4_5010 Depth=4
	s_or_b64 exec, exec, s[28:29]
                                        ; implicit-def: $vgpr14
.LBB4_5377:                             ;   in Loop: Header=BB4_5010 Depth=4
	s_andn2_saveexec_b64 s[28:29], s[34:35]
; %bb.5378:                             ;   in Loop: Header=BB4_5010 Depth=4
	v_or_b32_sdwa v25, v14, s68 dst_sel:DWORD dst_unused:UNUSED_PAD src0_sel:BYTE_3 src1_sel:DWORD
; %bb.5379:                             ;   in Loop: Header=BB4_5010 Depth=4
	s_or_b64 exec, exec, s[28:29]
	flat_load_ubyte v4, v[8:9] offset:896 glc slc
	v_mov_b32_e32 v14, 0
	s_waitcnt vmcnt(0) lgkmcnt(0)
	v_cmp_ne_u16_e32 vcc, 0, v4
	s_and_saveexec_b64 s[28:29], vcc
	s_cbranch_execz .LBB4_5385
; %bb.5380:                             ;   in Loop: Header=BB4_5010 Depth=4
	v_cmp_ne_u16_e32 vcc, s70, v4
	v_bfrev_b32_e32 v14, 1
	s_and_saveexec_b64 s[34:35], vcc
	s_cbranch_execz .LBB4_5384
; %bb.5381:                             ;   in Loop: Header=BB4_5010 Depth=4
	v_and_b32_e32 v2, 0xffff, v4
	v_and_b32_e32 v15, 0x7f, v2
	v_cmp_ne_u32_e32 vcc, s68, v15
	v_mov_b32_e32 v14, 0x7f800001
	s_and_saveexec_b64 s[36:37], vcc
	s_cbranch_execz .LBB4_5383
; %bb.5382:                             ;   in Loop: Header=BB4_5010 Depth=4
	v_and_b32_e32 v17, 7, v2
	v_ffbh_u32_e32 v14, v17
	v_min_u32_e32 v23, 32, v14
	v_subrev_u32_e32 v14, 28, v23
	v_lshrrev_b32_e32 v22, 3, v15
	v_cmp_gt_u32_e32 vcc, 8, v15
	v_lshlrev_b64 v[14:15], v14, v[2:3]
	v_sub_u32_e32 v2, 29, v23
	v_and_b32_e32 v14, 7, v14
	v_cndmask_b32_e32 v2, v22, v2, vcc
	v_cndmask_b32_e32 v14, v17, v14, vcc
	v_lshlrev_b32_e32 v4, 24, v4
	v_lshlrev_b32_e32 v14, 20, v14
	v_and_b32_e32 v4, 0x80000000, v4
	v_lshl_add_u32 v2, v2, 23, v5
	v_or3_b32 v14, v4, v2, v14
.LBB4_5383:                             ;   in Loop: Header=BB4_5010 Depth=4
	s_or_b64 exec, exec, s[36:37]
.LBB4_5384:                             ;   in Loop: Header=BB4_5010 Depth=4
	s_or_b64 exec, exec, s[34:35]
.LBB4_5385:                             ;   in Loop: Header=BB4_5010 Depth=4
	s_or_b64 exec, exec, s[28:29]
	v_mul_f32_e32 v14, s45, v14
	v_and_b32_e32 v2, 0x7f800000, v14
	v_cmp_ne_u64_e32 vcc, s[62:63], v[2:3]
                                        ; implicit-def: $vgpr24
	s_and_saveexec_b64 s[28:29], vcc
	s_xor_b64 s[34:35], exec, s[28:29]
	s_cbranch_execz .LBB4_5403
; %bb.5386:                             ;   in Loop: Header=BB4_5010 Depth=4
	v_and_b32_e32 v2, 0x7fffffff, v14
	v_cmp_gt_u64_e32 vcc, s[72:73], v[2:3]
	v_and_b32_sdwa v4, v14, s70 dst_sel:DWORD dst_unused:UNUSED_PAD src0_sel:BYTE_3 src1_sel:DWORD
                                        ; implicit-def: $vgpr24
	s_and_saveexec_b64 s[28:29], vcc
	s_xor_b64 s[36:37], exec, s[28:29]
	s_cbranch_execz .LBB4_5400
; %bb.5387:                             ;   in Loop: Header=BB4_5010 Depth=4
	v_cmp_ne_u32_e32 vcc, 0, v14
	v_mov_b32_e32 v24, 0
	s_and_saveexec_b64 s[38:39], vcc
	s_cbranch_execz .LBB4_5399
; %bb.5388:                             ;   in Loop: Header=BB4_5010 Depth=4
	v_bfe_u32 v17, v14, 23, 8
	v_and_b32_e32 v2, 0x7fffff, v14
	v_cmp_gt_u32_e64 s[28:29], s71, v17
	v_sub_u32_e32 v14, 0x79, v17
	v_cmp_eq_u32_e32 vcc, 0, v17
	v_cndmask_b32_e64 v14, 0, v14, s[28:29]
	v_mov_b32_e32 v22, 0x78
	v_cndmask_b32_e32 v24, v14, v22, vcc
	v_or_b32_e32 v15, 0x800000, v2
	v_add_u32_e32 v14, 20, v24
	v_cndmask_b32_e32 v2, v15, v2, vcc
	v_lshlrev_b64 v[14:15], v14, -1
	v_add_u32_e32 v22, 19, v24
	v_lshlrev_b64 v[22:23], v22, 1
	v_bfi_b32 v15, v15, 0, 0
	v_bfi_b32 v14, v14, 0, v2
	v_cmp_eq_u64_e64 s[28:29], v[14:15], v[22:23]
	v_lshrrev_b64 v[14:15], v24, v[2:3]
	v_mov_b32_e32 v41, v15
	v_mov_b32_e32 v40, v14
	s_and_saveexec_b64 s[48:49], s[28:29]
; %bb.5389:                             ;   in Loop: Header=BB4_5010 Depth=4
	v_bfe_u32 v2, v14, 20, 1
	v_add_co_u32_e64 v2, s[28:29], v14, v2
	v_add_co_u32_e64 v40, s[28:29], -1, v2
; %bb.5390:                             ;   in Loop: Header=BB4_5010 Depth=4
	s_or_b64 exec, exec, s[48:49]
	v_add_u32_e32 v2, 0xffffff81, v17
	v_mov_b32_e32 v15, 0xffffff82
	v_cndmask_b32_e32 v2, v2, v15, vcc
	v_lshrrev_b32_e32 v15, 23, v14
	v_add3_u32 v30, v24, v2, v15
	v_add_u32_e32 v24, 6, v30
	v_and_b32_e32 v2, 0xfffff, v40
	v_add_u32_e32 v2, v2, v14
	v_cmp_ne_u32_e32 vcc, 0, v24
                                        ; implicit-def: $vgpr14_vgpr15
                                        ; implicit-def: $vgpr17
	s_and_saveexec_b64 s[28:29], vcc
	s_xor_b64 s[28:29], exec, s[28:29]
; %bb.5391:                             ;   in Loop: Header=BB4_5010 Depth=4
	v_cmp_lt_u64_e32 vcc, s[74:75], v[2:3]
	v_add_u32_e32 v14, 7, v30
	v_cndmask_b32_e32 v17, v24, v14, vcc
	v_cndmask_b32_e64 v14, 0, 1, vcc
	v_lshrrev_b64 v[14:15], v14, v[2:3]
; %bb.5392:                             ;   in Loop: Header=BB4_5010 Depth=4
	s_andn2_saveexec_b64 s[28:29], s[28:29]
; %bb.5393:                             ;   in Loop: Header=BB4_5010 Depth=4
	v_mov_b32_e32 v15, v3
	v_bfe_u32 v17, v2, 23, 1
	v_mov_b32_e32 v14, v2
; %bb.5394:                             ;   in Loop: Header=BB4_5010 Depth=4
	s_or_b64 exec, exec, s[28:29]
	v_lshrrev_b64 v[14:15], 20, v[14:15]
	v_cmp_gt_i32_e32 vcc, 16, v17
	v_cndmask_b32_e32 v15, 0, v15, vcc
	v_cndmask_b32_e32 v14, 7, v14, vcc
	v_cmp_ne_u64_e32 vcc, 0, v[14:15]
	v_cmp_ne_u32_e64 s[28:29], 0, v17
	s_or_b64 s[28:29], s[28:29], vcc
                                        ; implicit-def: $vgpr24
	s_and_saveexec_b64 vcc, s[28:29]
	s_xor_b64 s[28:29], exec, vcc
; %bb.5395:                             ;   in Loop: Header=BB4_5010 Depth=4
	v_min_i32_e32 v2, 15, v17
	v_lshl_or_b32 v2, v2, 3, v4
	v_and_or_b32 v24, v14, 7, v2
                                        ; implicit-def: $vgpr4
; %bb.5396:                             ;   in Loop: Header=BB4_5010 Depth=4
	s_andn2_saveexec_b64 s[28:29], s[28:29]
; %bb.5397:                             ;   in Loop: Header=BB4_5010 Depth=4
	v_mov_b32_e32 v24, v4
; %bb.5398:                             ;   in Loop: Header=BB4_5010 Depth=4
	s_or_b64 exec, exec, s[28:29]
.LBB4_5399:                             ;   in Loop: Header=BB4_5010 Depth=4
	s_or_b64 exec, exec, s[38:39]
                                        ; implicit-def: $vgpr4
.LBB4_5400:                             ;   in Loop: Header=BB4_5010 Depth=4
	s_andn2_saveexec_b64 s[28:29], s[36:37]
; %bb.5401:                             ;   in Loop: Header=BB4_5010 Depth=4
	v_or_b32_e32 v24, 0x7e, v4
; %bb.5402:                             ;   in Loop: Header=BB4_5010 Depth=4
	s_or_b64 exec, exec, s[28:29]
                                        ; implicit-def: $vgpr14
.LBB4_5403:                             ;   in Loop: Header=BB4_5010 Depth=4
	s_andn2_saveexec_b64 s[28:29], s[34:35]
; %bb.5404:                             ;   in Loop: Header=BB4_5010 Depth=4
	v_or_b32_sdwa v24, v14, s68 dst_sel:DWORD dst_unused:UNUSED_PAD src0_sel:BYTE_3 src1_sel:DWORD
; %bb.5405:                             ;   in Loop: Header=BB4_5010 Depth=4
	s_or_b64 exec, exec, s[28:29]
	flat_load_ubyte v4, v[8:9] offset:960 glc slc
	v_mov_b32_e32 v14, 0
	s_waitcnt vmcnt(0) lgkmcnt(0)
	v_cmp_ne_u16_e32 vcc, 0, v4
	s_and_saveexec_b64 s[28:29], vcc
	s_cbranch_execz .LBB4_5411
; %bb.5406:                             ;   in Loop: Header=BB4_5010 Depth=4
	v_cmp_ne_u16_e32 vcc, s70, v4
	v_bfrev_b32_e32 v14, 1
	s_and_saveexec_b64 s[34:35], vcc
	s_cbranch_execz .LBB4_5410
; %bb.5407:                             ;   in Loop: Header=BB4_5010 Depth=4
	v_and_b32_e32 v2, 0xffff, v4
	v_and_b32_e32 v15, 0x7f, v2
	v_cmp_ne_u32_e32 vcc, s68, v15
	v_mov_b32_e32 v14, 0x7f800001
	s_and_saveexec_b64 s[36:37], vcc
	s_cbranch_execz .LBB4_5409
; %bb.5408:                             ;   in Loop: Header=BB4_5010 Depth=4
	v_and_b32_e32 v17, 7, v2
	v_ffbh_u32_e32 v14, v17
	v_min_u32_e32 v23, 32, v14
	v_subrev_u32_e32 v14, 28, v23
	v_lshrrev_b32_e32 v22, 3, v15
	v_cmp_gt_u32_e32 vcc, 8, v15
	v_lshlrev_b64 v[14:15], v14, v[2:3]
	v_sub_u32_e32 v2, 29, v23
	v_and_b32_e32 v14, 7, v14
	v_cndmask_b32_e32 v2, v22, v2, vcc
	v_cndmask_b32_e32 v14, v17, v14, vcc
	v_lshlrev_b32_e32 v4, 24, v4
	v_lshlrev_b32_e32 v14, 20, v14
	v_and_b32_e32 v4, 0x80000000, v4
	v_lshl_add_u32 v2, v2, 23, v5
	v_or3_b32 v14, v4, v2, v14
.LBB4_5409:                             ;   in Loop: Header=BB4_5010 Depth=4
	s_or_b64 exec, exec, s[36:37]
.LBB4_5410:                             ;   in Loop: Header=BB4_5010 Depth=4
	s_or_b64 exec, exec, s[34:35]
.LBB4_5411:                             ;   in Loop: Header=BB4_5010 Depth=4
	s_or_b64 exec, exec, s[28:29]
	v_mul_f32_e32 v14, s45, v14
	v_and_b32_e32 v2, 0x7f800000, v14
	v_cmp_ne_u64_e32 vcc, s[62:63], v[2:3]
                                        ; implicit-def: $vgpr4
	s_and_saveexec_b64 s[28:29], vcc
	s_xor_b64 s[34:35], exec, s[28:29]
	s_cbranch_execz .LBB4_5429
; %bb.5412:                             ;   in Loop: Header=BB4_5010 Depth=4
	v_and_b32_e32 v2, 0x7fffffff, v14
	v_cmp_gt_u64_e32 vcc, s[72:73], v[2:3]
	v_and_b32_sdwa v17, v14, s70 dst_sel:DWORD dst_unused:UNUSED_PAD src0_sel:BYTE_3 src1_sel:DWORD
                                        ; implicit-def: $vgpr4
	s_and_saveexec_b64 s[28:29], vcc
	s_xor_b64 s[36:37], exec, s[28:29]
	s_cbranch_execz .LBB4_5426
; %bb.5413:                             ;   in Loop: Header=BB4_5010 Depth=4
	v_cmp_ne_u32_e32 vcc, 0, v14
	v_mov_b32_e32 v4, 0
	s_and_saveexec_b64 s[38:39], vcc
	s_cbranch_execz .LBB4_5425
; %bb.5414:                             ;   in Loop: Header=BB4_5010 Depth=4
	v_bfe_u32 v4, v14, 23, 8
	v_and_b32_e32 v2, 0x7fffff, v14
	v_cmp_gt_u32_e64 s[28:29], s71, v4
	v_sub_u32_e32 v14, 0x79, v4
	v_cmp_eq_u32_e32 vcc, 0, v4
	v_cndmask_b32_e64 v14, 0, v14, s[28:29]
	v_mov_b32_e32 v22, 0x78
	v_cndmask_b32_e32 v30, v14, v22, vcc
	v_or_b32_e32 v15, 0x800000, v2
	v_add_u32_e32 v14, 20, v30
	v_cndmask_b32_e32 v2, v15, v2, vcc
	v_lshlrev_b64 v[14:15], v14, -1
	v_add_u32_e32 v22, 19, v30
	v_lshlrev_b64 v[22:23], v22, 1
	v_bfi_b32 v15, v15, 0, 0
	v_bfi_b32 v14, v14, 0, v2
	v_cmp_eq_u64_e64 s[28:29], v[14:15], v[22:23]
	v_lshrrev_b64 v[14:15], v30, v[2:3]
	v_mov_b32_e32 v41, v15
	v_mov_b32_e32 v40, v14
	s_and_saveexec_b64 s[48:49], s[28:29]
; %bb.5415:                             ;   in Loop: Header=BB4_5010 Depth=4
	v_bfe_u32 v2, v14, 20, 1
	v_add_co_u32_e64 v2, s[28:29], v14, v2
	v_add_co_u32_e64 v40, s[28:29], -1, v2
; %bb.5416:                             ;   in Loop: Header=BB4_5010 Depth=4
	s_or_b64 exec, exec, s[48:49]
	v_add_u32_e32 v2, 0xffffff81, v4
	v_mov_b32_e32 v4, 0xffffff82
	v_cndmask_b32_e32 v2, v2, v4, vcc
	v_lshrrev_b32_e32 v4, 23, v14
	v_add3_u32 v48, v30, v2, v4
	v_add_u32_e32 v4, 6, v48
	v_and_b32_e32 v2, 0xfffff, v40
	v_add_u32_e32 v2, v2, v14
	v_cmp_ne_u32_e32 vcc, 0, v4
                                        ; implicit-def: $vgpr14_vgpr15
                                        ; implicit-def: $vgpr30
	s_and_saveexec_b64 s[28:29], vcc
	s_xor_b64 s[28:29], exec, s[28:29]
; %bb.5417:                             ;   in Loop: Header=BB4_5010 Depth=4
	v_cmp_lt_u64_e32 vcc, s[74:75], v[2:3]
	v_add_u32_e32 v14, 7, v48
	v_cndmask_b32_e32 v30, v4, v14, vcc
	v_cndmask_b32_e64 v4, 0, 1, vcc
	v_lshrrev_b64 v[14:15], v4, v[2:3]
; %bb.5418:                             ;   in Loop: Header=BB4_5010 Depth=4
	s_andn2_saveexec_b64 s[28:29], s[28:29]
; %bb.5419:                             ;   in Loop: Header=BB4_5010 Depth=4
	v_mov_b32_e32 v15, v3
	v_bfe_u32 v30, v2, 23, 1
	v_mov_b32_e32 v14, v2
; %bb.5420:                             ;   in Loop: Header=BB4_5010 Depth=4
	s_or_b64 exec, exec, s[28:29]
	v_lshrrev_b64 v[14:15], 20, v[14:15]
	v_cmp_gt_i32_e32 vcc, 16, v30
	v_cndmask_b32_e32 v15, 0, v15, vcc
	v_cndmask_b32_e32 v14, 7, v14, vcc
	v_cmp_ne_u64_e32 vcc, 0, v[14:15]
	v_cmp_ne_u32_e64 s[28:29], 0, v30
	s_or_b64 s[28:29], s[28:29], vcc
                                        ; implicit-def: $vgpr4
	s_and_saveexec_b64 vcc, s[28:29]
	s_xor_b64 s[28:29], exec, vcc
; %bb.5421:                             ;   in Loop: Header=BB4_5010 Depth=4
	v_min_i32_e32 v2, 15, v30
	v_lshl_or_b32 v2, v2, 3, v17
	v_and_or_b32 v4, v14, 7, v2
                                        ; implicit-def: $vgpr17
; %bb.5422:                             ;   in Loop: Header=BB4_5010 Depth=4
	s_andn2_saveexec_b64 s[28:29], s[28:29]
; %bb.5423:                             ;   in Loop: Header=BB4_5010 Depth=4
	v_mov_b32_e32 v4, v17
; %bb.5424:                             ;   in Loop: Header=BB4_5010 Depth=4
	s_or_b64 exec, exec, s[28:29]
.LBB4_5425:                             ;   in Loop: Header=BB4_5010 Depth=4
	s_or_b64 exec, exec, s[38:39]
                                        ; implicit-def: $vgpr17
.LBB4_5426:                             ;   in Loop: Header=BB4_5010 Depth=4
	s_andn2_saveexec_b64 s[28:29], s[36:37]
; %bb.5427:                             ;   in Loop: Header=BB4_5010 Depth=4
	v_or_b32_e32 v4, 0x7e, v17
; %bb.5428:                             ;   in Loop: Header=BB4_5010 Depth=4
	s_or_b64 exec, exec, s[28:29]
                                        ; implicit-def: $vgpr14
.LBB4_5429:                             ;   in Loop: Header=BB4_5010 Depth=4
	s_andn2_saveexec_b64 s[28:29], s[34:35]
; %bb.5430:                             ;   in Loop: Header=BB4_5010 Depth=4
	v_or_b32_sdwa v4, v14, s68 dst_sel:DWORD dst_unused:UNUSED_PAD src0_sel:BYTE_3 src1_sel:DWORD
; %bb.5431:                             ;   in Loop: Header=BB4_5010 Depth=4
	s_or_b64 exec, exec, s[28:29]
	flat_load_ubyte v14, v[10:11] glc slc
	flat_load_ubyte v56, v[10:11] offset:64 glc slc
	flat_load_ubyte v47, v[10:11] offset:128 glc slc
	;; [unrolled: 1-line block ×15, first 2 shown]
	v_and_b32_e32 v2, 0xff, v21
	v_cmp_ne_u16_e32 vcc, 0, v2
	v_mov_b32_e32 v15, 0
	v_mov_b32_e32 v40, 0
	s_and_saveexec_b64 s[28:29], vcc
	s_cbranch_execz .LBB4_5437
; %bb.5432:                             ;   in Loop: Header=BB4_5010 Depth=4
	v_cmp_ne_u16_e32 vcc, s70, v2
	v_bfrev_b32_e32 v40, 1
	s_and_saveexec_b64 s[34:35], vcc
	s_cbranch_execz .LBB4_5436
; %bb.5433:                             ;   in Loop: Header=BB4_5010 Depth=4
	v_and_b32_e32 v41, 0x7f, v21
	v_cmp_ne_u32_e32 vcc, s68, v41
	v_mov_b32_e32 v40, 0x7f800001
	s_and_saveexec_b64 s[36:37], vcc
	s_cbranch_execz .LBB4_5435
; %bb.5434:                             ;   in Loop: Header=BB4_5010 Depth=4
	v_and_b32_e32 v32, 7, v2
	v_ffbh_u32_e32 v22, v32
	v_min_u32_e32 v40, 32, v22
	v_subrev_u32_e32 v22, 28, v40
	v_lshlrev_b64 v[22:23], v22, v[2:3]
	v_lshrrev_b32_e32 v33, 3, v41
	v_cmp_gt_u32_e32 vcc, 8, v41
	v_sub_u32_e32 v2, 29, v40
	v_and_b32_e32 v22, 7, v22
	v_cndmask_b32_e32 v2, v33, v2, vcc
	v_cndmask_b32_e32 v22, v32, v22, vcc
	v_lshlrev_b32_e32 v21, 24, v21
	v_lshlrev_b32_e32 v22, 20, v22
	v_and_b32_e32 v21, 0x80000000, v21
	v_lshl_add_u32 v2, v2, 23, v5
	v_or3_b32 v40, v21, v2, v22
.LBB4_5435:                             ;   in Loop: Header=BB4_5010 Depth=4
	s_or_b64 exec, exec, s[36:37]
.LBB4_5436:                             ;   in Loop: Header=BB4_5010 Depth=4
	s_or_b64 exec, exec, s[34:35]
.LBB4_5437:                             ;   in Loop: Header=BB4_5010 Depth=4
	s_or_b64 exec, exec, s[28:29]
	s_waitcnt vmcnt(0) lgkmcnt(0)
	v_and_b32_e32 v2, 0xff, v14
	v_cmp_ne_u16_e32 vcc, 0, v2
	s_and_saveexec_b64 s[28:29], vcc
	s_cbranch_execz .LBB4_5443
; %bb.5438:                             ;   in Loop: Header=BB4_5010 Depth=4
	v_cmp_ne_u16_e32 vcc, s70, v2
	v_bfrev_b32_e32 v15, 1
	s_and_saveexec_b64 s[34:35], vcc
	s_cbranch_execz .LBB4_5442
; %bb.5439:                             ;   in Loop: Header=BB4_5010 Depth=4
	v_and_b32_e32 v21, 0x7f, v14
	v_cmp_ne_u32_e32 vcc, s68, v21
	v_mov_b32_e32 v15, 0x7f800001
	s_and_saveexec_b64 s[36:37], vcc
	s_cbranch_execz .LBB4_5441
; %bb.5440:                             ;   in Loop: Header=BB4_5010 Depth=4
	v_and_b32_e32 v15, 7, v2
	v_lshrrev_b32_e32 v23, 3, v21
	v_cmp_gt_u32_e32 vcc, 8, v21
	v_ffbh_u32_e32 v21, v15
	v_min_u32_e32 v32, 32, v21
	v_subrev_u32_e32 v21, 28, v32
	v_lshlrev_b64 v[21:22], v21, v[2:3]
	v_sub_u32_e32 v2, 29, v32
	v_and_b32_e32 v21, 7, v21
	v_cndmask_b32_e32 v2, v23, v2, vcc
	v_cndmask_b32_e32 v15, v15, v21, vcc
	v_lshlrev_b32_e32 v14, 24, v14
	v_lshlrev_b32_e32 v15, 20, v15
	v_and_b32_e32 v14, 0x80000000, v14
	v_lshl_add_u32 v2, v2, 23, v5
	v_or3_b32 v15, v14, v2, v15
.LBB4_5441:                             ;   in Loop: Header=BB4_5010 Depth=4
	s_or_b64 exec, exec, s[36:37]
.LBB4_5442:                             ;   in Loop: Header=BB4_5010 Depth=4
	s_or_b64 exec, exec, s[34:35]
.LBB4_5443:                             ;   in Loop: Header=BB4_5010 Depth=4
	s_or_b64 exec, exec, s[28:29]
	v_add_f32_e32 v14, v40, v15
	v_and_b32_e32 v2, 0x7f800000, v14
	v_cmp_ne_u64_e32 vcc, s[62:63], v[2:3]
                                        ; implicit-def: $vgpr21
	s_and_saveexec_b64 s[28:29], vcc
	s_xor_b64 s[34:35], exec, s[28:29]
	s_cbranch_execz .LBB4_5461
; %bb.5444:                             ;   in Loop: Header=BB4_5010 Depth=4
	v_and_b32_e32 v2, 0x7fffffff, v14
	v_cmp_gt_u64_e32 vcc, s[72:73], v[2:3]
	v_and_b32_sdwa v57, v14, s70 dst_sel:DWORD dst_unused:UNUSED_PAD src0_sel:BYTE_3 src1_sel:DWORD
                                        ; implicit-def: $vgpr21
	s_and_saveexec_b64 s[28:29], vcc
	s_xor_b64 s[36:37], exec, s[28:29]
	s_cbranch_execz .LBB4_5458
; %bb.5445:                             ;   in Loop: Header=BB4_5010 Depth=4
	v_cmp_ne_u32_e32 vcc, 0, v14
	v_mov_b32_e32 v21, 0
	s_and_saveexec_b64 s[38:39], vcc
	s_cbranch_execz .LBB4_5457
; %bb.5446:                             ;   in Loop: Header=BB4_5010 Depth=4
	v_bfe_u32 v21, v14, 23, 8
	v_and_b32_e32 v2, 0x7fffff, v14
	v_cmp_gt_u32_e64 s[28:29], s71, v21
	v_sub_u32_e32 v14, 0x79, v21
	v_cmp_eq_u32_e32 vcc, 0, v21
	v_cndmask_b32_e64 v14, 0, v14, s[28:29]
	v_mov_b32_e32 v22, 0x78
	v_cndmask_b32_e32 v58, v14, v22, vcc
	v_or_b32_e32 v15, 0x800000, v2
	v_add_u32_e32 v14, 20, v58
	v_cndmask_b32_e32 v2, v15, v2, vcc
	v_lshlrev_b64 v[14:15], v14, -1
	v_add_u32_e32 v22, 19, v58
	v_lshlrev_b64 v[22:23], v22, 1
	v_bfi_b32 v15, v15, 0, 0
	v_bfi_b32 v14, v14, 0, v2
	v_cmp_eq_u64_e64 s[28:29], v[14:15], v[22:23]
	v_lshrrev_b64 v[14:15], v58, v[2:3]
	v_mov_b32_e32 v41, v15
	v_mov_b32_e32 v40, v14
	s_and_saveexec_b64 s[48:49], s[28:29]
; %bb.5447:                             ;   in Loop: Header=BB4_5010 Depth=4
	v_bfe_u32 v2, v14, 20, 1
	v_add_co_u32_e64 v2, s[28:29], v14, v2
	v_add_co_u32_e64 v40, s[28:29], -1, v2
; %bb.5448:                             ;   in Loop: Header=BB4_5010 Depth=4
	s_or_b64 exec, exec, s[48:49]
	v_add_u32_e32 v2, 0xffffff81, v21
	v_mov_b32_e32 v15, 0xffffff82
	v_cndmask_b32_e32 v2, v2, v15, vcc
	v_lshrrev_b32_e32 v15, 23, v14
	v_add3_u32 v41, v58, v2, v15
	v_add_u32_e32 v21, 6, v41
	v_and_b32_e32 v2, 0xfffff, v40
	v_add_u32_e32 v2, v2, v14
	v_cmp_ne_u32_e32 vcc, 0, v21
                                        ; implicit-def: $vgpr14_vgpr15
                                        ; implicit-def: $vgpr40
	s_and_saveexec_b64 s[28:29], vcc
	s_xor_b64 s[28:29], exec, s[28:29]
; %bb.5449:                             ;   in Loop: Header=BB4_5010 Depth=4
	v_cmp_lt_u64_e32 vcc, s[74:75], v[2:3]
	v_add_u32_e32 v14, 7, v41
	v_cndmask_b32_e32 v40, v21, v14, vcc
	v_cndmask_b32_e64 v14, 0, 1, vcc
	v_lshrrev_b64 v[14:15], v14, v[2:3]
; %bb.5450:                             ;   in Loop: Header=BB4_5010 Depth=4
	s_andn2_saveexec_b64 s[28:29], s[28:29]
; %bb.5451:                             ;   in Loop: Header=BB4_5010 Depth=4
	v_mov_b32_e32 v15, v3
	v_bfe_u32 v40, v2, 23, 1
	v_mov_b32_e32 v14, v2
; %bb.5452:                             ;   in Loop: Header=BB4_5010 Depth=4
	s_or_b64 exec, exec, s[28:29]
	v_lshrrev_b64 v[14:15], 20, v[14:15]
	v_cmp_gt_i32_e32 vcc, 16, v40
	v_cndmask_b32_e32 v15, 0, v15, vcc
	v_cndmask_b32_e32 v14, 7, v14, vcc
	v_cmp_ne_u64_e32 vcc, 0, v[14:15]
	v_cmp_ne_u32_e64 s[28:29], 0, v40
	s_or_b64 s[28:29], s[28:29], vcc
                                        ; implicit-def: $vgpr21
	s_and_saveexec_b64 vcc, s[28:29]
	s_xor_b64 s[28:29], exec, vcc
; %bb.5453:                             ;   in Loop: Header=BB4_5010 Depth=4
	v_min_i32_e32 v2, 15, v40
	v_lshl_or_b32 v2, v2, 3, v57
	v_and_or_b32 v21, v14, 7, v2
                                        ; implicit-def: $vgpr57
; %bb.5454:                             ;   in Loop: Header=BB4_5010 Depth=4
	s_andn2_saveexec_b64 s[28:29], s[28:29]
; %bb.5455:                             ;   in Loop: Header=BB4_5010 Depth=4
	v_mov_b32_e32 v21, v57
; %bb.5456:                             ;   in Loop: Header=BB4_5010 Depth=4
	s_or_b64 exec, exec, s[28:29]
.LBB4_5457:                             ;   in Loop: Header=BB4_5010 Depth=4
	s_or_b64 exec, exec, s[38:39]
                                        ; implicit-def: $vgpr57
.LBB4_5458:                             ;   in Loop: Header=BB4_5010 Depth=4
	s_andn2_saveexec_b64 s[28:29], s[36:37]
; %bb.5459:                             ;   in Loop: Header=BB4_5010 Depth=4
	v_or_b32_e32 v21, 0x7e, v57
; %bb.5460:                             ;   in Loop: Header=BB4_5010 Depth=4
	s_or_b64 exec, exec, s[28:29]
                                        ; implicit-def: $vgpr14
.LBB4_5461:                             ;   in Loop: Header=BB4_5010 Depth=4
	s_andn2_saveexec_b64 s[28:29], s[34:35]
; %bb.5462:                             ;   in Loop: Header=BB4_5010 Depth=4
	v_or_b32_sdwa v21, v14, s68 dst_sel:DWORD dst_unused:UNUSED_PAD src0_sel:BYTE_3 src1_sel:DWORD
; %bb.5463:                             ;   in Loop: Header=BB4_5010 Depth=4
	s_or_b64 exec, exec, s[28:29]
	v_and_b32_e32 v2, 0xff, v31
	v_cmp_ne_u16_e32 vcc, 0, v2
	v_mov_b32_e32 v14, 0
	v_mov_b32_e32 v15, 0
	s_and_saveexec_b64 s[28:29], vcc
	s_cbranch_execz .LBB4_5469
; %bb.5464:                             ;   in Loop: Header=BB4_5010 Depth=4
	v_cmp_ne_u16_e32 vcc, s70, v2
	v_bfrev_b32_e32 v15, 1
	s_and_saveexec_b64 s[34:35], vcc
	s_cbranch_execz .LBB4_5468
; %bb.5465:                             ;   in Loop: Header=BB4_5010 Depth=4
	v_and_b32_e32 v40, 0x7f, v31
	v_cmp_ne_u32_e32 vcc, s68, v40
	v_mov_b32_e32 v15, 0x7f800001
	s_and_saveexec_b64 s[36:37], vcc
	s_cbranch_execz .LBB4_5467
; %bb.5466:                             ;   in Loop: Header=BB4_5010 Depth=4
	v_and_b32_e32 v15, 7, v2
	v_ffbh_u32_e32 v22, v15
	v_min_u32_e32 v33, 32, v22
	v_subrev_u32_e32 v22, 28, v33
	v_lshlrev_b64 v[22:23], v22, v[2:3]
	v_lshrrev_b32_e32 v32, 3, v40
	v_cmp_gt_u32_e32 vcc, 8, v40
	v_sub_u32_e32 v2, 29, v33
	v_and_b32_e32 v22, 7, v22
	v_cndmask_b32_e32 v2, v32, v2, vcc
	v_cndmask_b32_e32 v15, v15, v22, vcc
	v_lshlrev_b32_e32 v22, 24, v31
	v_lshlrev_b32_e32 v15, 20, v15
	v_and_b32_e32 v22, 0x80000000, v22
	v_lshl_add_u32 v2, v2, 23, v5
	v_or3_b32 v15, v22, v2, v15
.LBB4_5467:                             ;   in Loop: Header=BB4_5010 Depth=4
	s_or_b64 exec, exec, s[36:37]
.LBB4_5468:                             ;   in Loop: Header=BB4_5010 Depth=4
	s_or_b64 exec, exec, s[34:35]
.LBB4_5469:                             ;   in Loop: Header=BB4_5010 Depth=4
	s_or_b64 exec, exec, s[28:29]
	v_and_b32_e32 v2, 0xff, v56
	v_cmp_ne_u16_e32 vcc, 0, v2
	s_and_saveexec_b64 s[28:29], vcc
	s_cbranch_execz .LBB4_5475
; %bb.5470:                             ;   in Loop: Header=BB4_5010 Depth=4
	v_cmp_ne_u16_e32 vcc, s70, v2
	v_bfrev_b32_e32 v14, 1
	s_and_saveexec_b64 s[34:35], vcc
	s_cbranch_execz .LBB4_5474
; %bb.5471:                             ;   in Loop: Header=BB4_5010 Depth=4
	v_and_b32_e32 v31, 0x7f, v56
	v_cmp_ne_u32_e32 vcc, s68, v31
	v_mov_b32_e32 v14, 0x7f800001
	s_and_saveexec_b64 s[36:37], vcc
	s_cbranch_execz .LBB4_5473
; %bb.5472:                             ;   in Loop: Header=BB4_5010 Depth=4
	v_and_b32_e32 v14, 7, v2
	v_ffbh_u32_e32 v22, v14
	v_lshrrev_b32_e32 v32, 3, v31
	v_cmp_gt_u32_e32 vcc, 8, v31
	v_min_u32_e32 v31, 32, v22
	v_subrev_u32_e32 v22, 28, v31
	v_lshlrev_b64 v[22:23], v22, v[2:3]
	v_sub_u32_e32 v2, 29, v31
	v_and_b32_e32 v22, 7, v22
	v_cndmask_b32_e32 v2, v32, v2, vcc
	v_cndmask_b32_e32 v14, v14, v22, vcc
	v_lshlrev_b32_e32 v22, 24, v56
	v_lshlrev_b32_e32 v14, 20, v14
	v_and_b32_e32 v22, 0x80000000, v22
	v_lshl_add_u32 v2, v2, 23, v5
	v_or3_b32 v14, v22, v2, v14
.LBB4_5473:                             ;   in Loop: Header=BB4_5010 Depth=4
	s_or_b64 exec, exec, s[36:37]
.LBB4_5474:                             ;   in Loop: Header=BB4_5010 Depth=4
	s_or_b64 exec, exec, s[34:35]
.LBB4_5475:                             ;   in Loop: Header=BB4_5010 Depth=4
	s_or_b64 exec, exec, s[28:29]
	v_add_f32_e32 v14, v15, v14
	v_and_b32_e32 v2, 0x7f800000, v14
	v_cmp_ne_u64_e32 vcc, s[62:63], v[2:3]
                                        ; implicit-def: $vgpr31
	s_and_saveexec_b64 s[28:29], vcc
	s_xor_b64 s[34:35], exec, s[28:29]
	s_cbranch_execz .LBB4_5493
; %bb.5476:                             ;   in Loop: Header=BB4_5010 Depth=4
	v_and_b32_e32 v2, 0x7fffffff, v14
	v_cmp_gt_u64_e32 vcc, s[72:73], v[2:3]
	v_and_b32_sdwa v56, v14, s70 dst_sel:DWORD dst_unused:UNUSED_PAD src0_sel:BYTE_3 src1_sel:DWORD
                                        ; implicit-def: $vgpr31
	s_and_saveexec_b64 s[28:29], vcc
	s_xor_b64 s[36:37], exec, s[28:29]
	s_cbranch_execz .LBB4_5490
; %bb.5477:                             ;   in Loop: Header=BB4_5010 Depth=4
	v_cmp_ne_u32_e32 vcc, 0, v14
	v_mov_b32_e32 v31, 0
	s_and_saveexec_b64 s[38:39], vcc
	s_cbranch_execz .LBB4_5489
; %bb.5478:                             ;   in Loop: Header=BB4_5010 Depth=4
	v_bfe_u32 v31, v14, 23, 8
	v_and_b32_e32 v2, 0x7fffff, v14
	v_cmp_gt_u32_e64 s[28:29], s71, v31
	v_sub_u32_e32 v14, 0x79, v31
	v_cmp_eq_u32_e32 vcc, 0, v31
	v_cndmask_b32_e64 v14, 0, v14, s[28:29]
	v_mov_b32_e32 v22, 0x78
	v_cndmask_b32_e32 v57, v14, v22, vcc
	v_or_b32_e32 v15, 0x800000, v2
	v_add_u32_e32 v14, 20, v57
	v_cndmask_b32_e32 v2, v15, v2, vcc
	v_lshlrev_b64 v[14:15], v14, -1
	v_add_u32_e32 v22, 19, v57
	v_lshlrev_b64 v[22:23], v22, 1
	v_bfi_b32 v15, v15, 0, 0
	v_bfi_b32 v14, v14, 0, v2
	v_cmp_eq_u64_e64 s[28:29], v[14:15], v[22:23]
	v_lshrrev_b64 v[14:15], v57, v[2:3]
	v_mov_b32_e32 v41, v15
	v_mov_b32_e32 v40, v14
	s_and_saveexec_b64 s[48:49], s[28:29]
; %bb.5479:                             ;   in Loop: Header=BB4_5010 Depth=4
	v_bfe_u32 v2, v14, 20, 1
	v_add_co_u32_e64 v2, s[28:29], v14, v2
	v_add_co_u32_e64 v40, s[28:29], -1, v2
; %bb.5480:                             ;   in Loop: Header=BB4_5010 Depth=4
	s_or_b64 exec, exec, s[48:49]
	v_add_u32_e32 v2, 0xffffff81, v31
	v_mov_b32_e32 v15, 0xffffff82
	v_cndmask_b32_e32 v2, v2, v15, vcc
	v_lshrrev_b32_e32 v15, 23, v14
	v_add3_u32 v41, v57, v2, v15
	v_add_u32_e32 v31, 6, v41
	v_and_b32_e32 v2, 0xfffff, v40
	v_add_u32_e32 v2, v2, v14
	v_cmp_ne_u32_e32 vcc, 0, v31
                                        ; implicit-def: $vgpr14_vgpr15
                                        ; implicit-def: $vgpr40
	s_and_saveexec_b64 s[28:29], vcc
	s_xor_b64 s[28:29], exec, s[28:29]
; %bb.5481:                             ;   in Loop: Header=BB4_5010 Depth=4
	v_cmp_lt_u64_e32 vcc, s[74:75], v[2:3]
	v_add_u32_e32 v14, 7, v41
	v_cndmask_b32_e32 v40, v31, v14, vcc
	v_cndmask_b32_e64 v14, 0, 1, vcc
	v_lshrrev_b64 v[14:15], v14, v[2:3]
; %bb.5482:                             ;   in Loop: Header=BB4_5010 Depth=4
	s_andn2_saveexec_b64 s[28:29], s[28:29]
; %bb.5483:                             ;   in Loop: Header=BB4_5010 Depth=4
	v_mov_b32_e32 v15, v3
	v_bfe_u32 v40, v2, 23, 1
	v_mov_b32_e32 v14, v2
; %bb.5484:                             ;   in Loop: Header=BB4_5010 Depth=4
	s_or_b64 exec, exec, s[28:29]
	v_lshrrev_b64 v[14:15], 20, v[14:15]
	v_cmp_gt_i32_e32 vcc, 16, v40
	v_cndmask_b32_e32 v15, 0, v15, vcc
	v_cndmask_b32_e32 v14, 7, v14, vcc
	v_cmp_ne_u64_e32 vcc, 0, v[14:15]
	v_cmp_ne_u32_e64 s[28:29], 0, v40
	s_or_b64 s[28:29], s[28:29], vcc
                                        ; implicit-def: $vgpr31
	s_and_saveexec_b64 vcc, s[28:29]
	s_xor_b64 s[28:29], exec, vcc
; %bb.5485:                             ;   in Loop: Header=BB4_5010 Depth=4
	v_min_i32_e32 v2, 15, v40
	v_lshl_or_b32 v2, v2, 3, v56
	v_and_or_b32 v31, v14, 7, v2
                                        ; implicit-def: $vgpr56
; %bb.5486:                             ;   in Loop: Header=BB4_5010 Depth=4
	s_andn2_saveexec_b64 s[28:29], s[28:29]
; %bb.5487:                             ;   in Loop: Header=BB4_5010 Depth=4
	v_mov_b32_e32 v31, v56
; %bb.5488:                             ;   in Loop: Header=BB4_5010 Depth=4
	s_or_b64 exec, exec, s[28:29]
.LBB4_5489:                             ;   in Loop: Header=BB4_5010 Depth=4
	s_or_b64 exec, exec, s[38:39]
                                        ; implicit-def: $vgpr56
.LBB4_5490:                             ;   in Loop: Header=BB4_5010 Depth=4
	s_andn2_saveexec_b64 s[28:29], s[36:37]
; %bb.5491:                             ;   in Loop: Header=BB4_5010 Depth=4
	v_or_b32_e32 v31, 0x7e, v56
; %bb.5492:                             ;   in Loop: Header=BB4_5010 Depth=4
	s_or_b64 exec, exec, s[28:29]
                                        ; implicit-def: $vgpr14
.LBB4_5493:                             ;   in Loop: Header=BB4_5010 Depth=4
	s_andn2_saveexec_b64 s[28:29], s[34:35]
; %bb.5494:                             ;   in Loop: Header=BB4_5010 Depth=4
	v_or_b32_sdwa v31, v14, s68 dst_sel:DWORD dst_unused:UNUSED_PAD src0_sel:BYTE_3 src1_sel:DWORD
; %bb.5495:                             ;   in Loop: Header=BB4_5010 Depth=4
	s_or_b64 exec, exec, s[28:29]
	v_and_b32_e32 v2, 0xff, v49
	v_cmp_ne_u16_e32 vcc, 0, v2
	v_mov_b32_e32 v14, 0
	v_mov_b32_e32 v15, 0
	s_and_saveexec_b64 s[28:29], vcc
	s_cbranch_execz .LBB4_5501
; %bb.5496:                             ;   in Loop: Header=BB4_5010 Depth=4
	v_cmp_ne_u16_e32 vcc, s70, v2
	v_bfrev_b32_e32 v15, 1
	s_and_saveexec_b64 s[34:35], vcc
	s_cbranch_execz .LBB4_5500
; %bb.5497:                             ;   in Loop: Header=BB4_5010 Depth=4
	v_and_b32_e32 v40, 0x7f, v49
	v_cmp_ne_u32_e32 vcc, s68, v40
	v_mov_b32_e32 v15, 0x7f800001
	s_and_saveexec_b64 s[36:37], vcc
	s_cbranch_execz .LBB4_5499
; %bb.5498:                             ;   in Loop: Header=BB4_5010 Depth=4
	v_and_b32_e32 v15, 7, v2
	v_ffbh_u32_e32 v22, v15
	v_min_u32_e32 v33, 32, v22
	v_subrev_u32_e32 v22, 28, v33
	v_lshlrev_b64 v[22:23], v22, v[2:3]
	v_lshrrev_b32_e32 v32, 3, v40
	v_cmp_gt_u32_e32 vcc, 8, v40
	v_sub_u32_e32 v2, 29, v33
	v_and_b32_e32 v22, 7, v22
	v_cndmask_b32_e32 v2, v32, v2, vcc
	v_cndmask_b32_e32 v15, v15, v22, vcc
	v_lshlrev_b32_e32 v22, 24, v49
	v_lshlrev_b32_e32 v15, 20, v15
	v_and_b32_e32 v22, 0x80000000, v22
	v_lshl_add_u32 v2, v2, 23, v5
	v_or3_b32 v15, v22, v2, v15
.LBB4_5499:                             ;   in Loop: Header=BB4_5010 Depth=4
	s_or_b64 exec, exec, s[36:37]
.LBB4_5500:                             ;   in Loop: Header=BB4_5010 Depth=4
	s_or_b64 exec, exec, s[34:35]
.LBB4_5501:                             ;   in Loop: Header=BB4_5010 Depth=4
	s_or_b64 exec, exec, s[28:29]
	v_and_b32_e32 v2, 0xff, v47
	v_cmp_ne_u16_e32 vcc, 0, v2
	s_and_saveexec_b64 s[28:29], vcc
	s_cbranch_execz .LBB4_5507
; %bb.5502:                             ;   in Loop: Header=BB4_5010 Depth=4
	v_cmp_ne_u16_e32 vcc, s70, v2
	v_bfrev_b32_e32 v14, 1
	s_and_saveexec_b64 s[34:35], vcc
	s_cbranch_execz .LBB4_5506
; %bb.5503:                             ;   in Loop: Header=BB4_5010 Depth=4
	v_and_b32_e32 v49, 0x7f, v47
	v_cmp_ne_u32_e32 vcc, s68, v49
	v_mov_b32_e32 v14, 0x7f800001
	s_and_saveexec_b64 s[36:37], vcc
	s_cbranch_execz .LBB4_5505
; %bb.5504:                             ;   in Loop: Header=BB4_5010 Depth=4
	v_and_b32_e32 v14, 7, v2
	v_ffbh_u32_e32 v22, v14
	v_min_u32_e32 v33, 32, v22
	v_subrev_u32_e32 v22, 28, v33
	v_lshlrev_b64 v[22:23], v22, v[2:3]
	v_lshrrev_b32_e32 v32, 3, v49
	v_cmp_gt_u32_e32 vcc, 8, v49
	v_sub_u32_e32 v2, 29, v33
	v_and_b32_e32 v22, 7, v22
	v_cndmask_b32_e32 v2, v32, v2, vcc
	v_cndmask_b32_e32 v14, v14, v22, vcc
	v_lshlrev_b32_e32 v22, 24, v47
	v_lshlrev_b32_e32 v14, 20, v14
	v_and_b32_e32 v22, 0x80000000, v22
	v_lshl_add_u32 v2, v2, 23, v5
	v_or3_b32 v14, v22, v2, v14
.LBB4_5505:                             ;   in Loop: Header=BB4_5010 Depth=4
	s_or_b64 exec, exec, s[36:37]
.LBB4_5506:                             ;   in Loop: Header=BB4_5010 Depth=4
	s_or_b64 exec, exec, s[34:35]
.LBB4_5507:                             ;   in Loop: Header=BB4_5010 Depth=4
	s_or_b64 exec, exec, s[28:29]
	v_add_f32_e32 v14, v15, v14
	v_and_b32_e32 v2, 0x7f800000, v14
	v_cmp_ne_u64_e32 vcc, s[62:63], v[2:3]
                                        ; implicit-def: $vgpr49
	s_and_saveexec_b64 s[28:29], vcc
	s_xor_b64 s[34:35], exec, s[28:29]
	s_cbranch_execz .LBB4_5525
; %bb.5508:                             ;   in Loop: Header=BB4_5010 Depth=4
	v_and_b32_e32 v2, 0x7fffffff, v14
	v_cmp_gt_u64_e32 vcc, s[72:73], v[2:3]
	v_and_b32_sdwa v47, v14, s70 dst_sel:DWORD dst_unused:UNUSED_PAD src0_sel:BYTE_3 src1_sel:DWORD
                                        ; implicit-def: $vgpr49
	s_and_saveexec_b64 s[28:29], vcc
	s_xor_b64 s[36:37], exec, s[28:29]
	s_cbranch_execz .LBB4_5522
; %bb.5509:                             ;   in Loop: Header=BB4_5010 Depth=4
	v_cmp_ne_u32_e32 vcc, 0, v14
	v_mov_b32_e32 v49, 0
	s_and_saveexec_b64 s[38:39], vcc
	s_cbranch_execz .LBB4_5521
; %bb.5510:                             ;   in Loop: Header=BB4_5010 Depth=4
	v_bfe_u32 v49, v14, 23, 8
	v_and_b32_e32 v2, 0x7fffff, v14
	v_cmp_gt_u32_e64 s[28:29], s71, v49
	v_sub_u32_e32 v14, 0x79, v49
	v_cmp_eq_u32_e32 vcc, 0, v49
	v_cndmask_b32_e64 v14, 0, v14, s[28:29]
	v_mov_b32_e32 v22, 0x78
	v_cndmask_b32_e32 v56, v14, v22, vcc
	v_or_b32_e32 v15, 0x800000, v2
	v_add_u32_e32 v14, 20, v56
	v_cndmask_b32_e32 v2, v15, v2, vcc
	v_lshlrev_b64 v[14:15], v14, -1
	v_add_u32_e32 v22, 19, v56
	v_lshlrev_b64 v[22:23], v22, 1
	v_bfi_b32 v15, v15, 0, 0
	v_bfi_b32 v14, v14, 0, v2
	v_cmp_eq_u64_e64 s[28:29], v[14:15], v[22:23]
	v_lshrrev_b64 v[14:15], v56, v[2:3]
	v_mov_b32_e32 v41, v15
	v_mov_b32_e32 v40, v14
	s_and_saveexec_b64 s[48:49], s[28:29]
; %bb.5511:                             ;   in Loop: Header=BB4_5010 Depth=4
	v_bfe_u32 v2, v14, 20, 1
	v_add_co_u32_e64 v2, s[28:29], v14, v2
	v_add_co_u32_e64 v40, s[28:29], -1, v2
; %bb.5512:                             ;   in Loop: Header=BB4_5010 Depth=4
	s_or_b64 exec, exec, s[48:49]
	v_add_u32_e32 v2, 0xffffff81, v49
	v_mov_b32_e32 v15, 0xffffff82
	v_cndmask_b32_e32 v2, v2, v15, vcc
	v_lshrrev_b32_e32 v15, 23, v14
	v_add3_u32 v41, v56, v2, v15
	v_add_u32_e32 v49, 6, v41
	v_and_b32_e32 v2, 0xfffff, v40
	v_add_u32_e32 v2, v2, v14
	v_cmp_ne_u32_e32 vcc, 0, v49
                                        ; implicit-def: $vgpr14_vgpr15
                                        ; implicit-def: $vgpr40
	s_and_saveexec_b64 s[28:29], vcc
	s_xor_b64 s[28:29], exec, s[28:29]
; %bb.5513:                             ;   in Loop: Header=BB4_5010 Depth=4
	v_cmp_lt_u64_e32 vcc, s[74:75], v[2:3]
	v_add_u32_e32 v14, 7, v41
	v_cndmask_b32_e32 v40, v49, v14, vcc
	v_cndmask_b32_e64 v14, 0, 1, vcc
	v_lshrrev_b64 v[14:15], v14, v[2:3]
; %bb.5514:                             ;   in Loop: Header=BB4_5010 Depth=4
	s_andn2_saveexec_b64 s[28:29], s[28:29]
; %bb.5515:                             ;   in Loop: Header=BB4_5010 Depth=4
	v_mov_b32_e32 v15, v3
	v_bfe_u32 v40, v2, 23, 1
	v_mov_b32_e32 v14, v2
; %bb.5516:                             ;   in Loop: Header=BB4_5010 Depth=4
	s_or_b64 exec, exec, s[28:29]
	v_lshrrev_b64 v[14:15], 20, v[14:15]
	v_cmp_gt_i32_e32 vcc, 16, v40
	v_cndmask_b32_e32 v15, 0, v15, vcc
	v_cndmask_b32_e32 v14, 7, v14, vcc
	v_cmp_ne_u64_e32 vcc, 0, v[14:15]
	v_cmp_ne_u32_e64 s[28:29], 0, v40
	s_or_b64 s[28:29], s[28:29], vcc
                                        ; implicit-def: $vgpr49
	s_and_saveexec_b64 vcc, s[28:29]
	s_xor_b64 s[28:29], exec, vcc
; %bb.5517:                             ;   in Loop: Header=BB4_5010 Depth=4
	v_min_i32_e32 v2, 15, v40
	v_lshl_or_b32 v2, v2, 3, v47
	v_and_or_b32 v49, v14, 7, v2
                                        ; implicit-def: $vgpr47
; %bb.5518:                             ;   in Loop: Header=BB4_5010 Depth=4
	s_andn2_saveexec_b64 s[28:29], s[28:29]
; %bb.5519:                             ;   in Loop: Header=BB4_5010 Depth=4
	v_mov_b32_e32 v49, v47
; %bb.5520:                             ;   in Loop: Header=BB4_5010 Depth=4
	s_or_b64 exec, exec, s[28:29]
.LBB4_5521:                             ;   in Loop: Header=BB4_5010 Depth=4
	s_or_b64 exec, exec, s[38:39]
                                        ; implicit-def: $vgpr47
.LBB4_5522:                             ;   in Loop: Header=BB4_5010 Depth=4
	s_andn2_saveexec_b64 s[28:29], s[36:37]
; %bb.5523:                             ;   in Loop: Header=BB4_5010 Depth=4
	v_or_b32_e32 v49, 0x7e, v47
; %bb.5524:                             ;   in Loop: Header=BB4_5010 Depth=4
	s_or_b64 exec, exec, s[28:29]
                                        ; implicit-def: $vgpr14
.LBB4_5525:                             ;   in Loop: Header=BB4_5010 Depth=4
	s_andn2_saveexec_b64 s[28:29], s[34:35]
; %bb.5526:                             ;   in Loop: Header=BB4_5010 Depth=4
	v_or_b32_sdwa v49, v14, s68 dst_sel:DWORD dst_unused:UNUSED_PAD src0_sel:BYTE_3 src1_sel:DWORD
; %bb.5527:                             ;   in Loop: Header=BB4_5010 Depth=4
	s_or_b64 exec, exec, s[28:29]
	v_and_b32_e32 v2, 0xff, v39
	v_cmp_ne_u16_e32 vcc, 0, v2
	v_mov_b32_e32 v14, 0
	v_mov_b32_e32 v15, 0
	s_and_saveexec_b64 s[28:29], vcc
	s_cbranch_execz .LBB4_5533
; %bb.5528:                             ;   in Loop: Header=BB4_5010 Depth=4
	v_cmp_ne_u16_e32 vcc, s70, v2
	v_bfrev_b32_e32 v15, 1
	s_and_saveexec_b64 s[34:35], vcc
	s_cbranch_execz .LBB4_5532
; %bb.5529:                             ;   in Loop: Header=BB4_5010 Depth=4
	v_and_b32_e32 v40, 0x7f, v39
	v_cmp_ne_u32_e32 vcc, s68, v40
	v_mov_b32_e32 v15, 0x7f800001
	s_and_saveexec_b64 s[36:37], vcc
	s_cbranch_execz .LBB4_5531
; %bb.5530:                             ;   in Loop: Header=BB4_5010 Depth=4
	v_and_b32_e32 v15, 7, v2
	v_ffbh_u32_e32 v22, v15
	v_min_u32_e32 v33, 32, v22
	v_subrev_u32_e32 v22, 28, v33
	v_lshlrev_b64 v[22:23], v22, v[2:3]
	v_lshrrev_b32_e32 v32, 3, v40
	v_cmp_gt_u32_e32 vcc, 8, v40
	v_sub_u32_e32 v2, 29, v33
	v_and_b32_e32 v22, 7, v22
	v_cndmask_b32_e32 v2, v32, v2, vcc
	v_cndmask_b32_e32 v15, v15, v22, vcc
	v_lshlrev_b32_e32 v22, 24, v39
	v_lshlrev_b32_e32 v15, 20, v15
	v_and_b32_e32 v22, 0x80000000, v22
	v_lshl_add_u32 v2, v2, 23, v5
	v_or3_b32 v15, v22, v2, v15
.LBB4_5531:                             ;   in Loop: Header=BB4_5010 Depth=4
	s_or_b64 exec, exec, s[36:37]
.LBB4_5532:                             ;   in Loop: Header=BB4_5010 Depth=4
	s_or_b64 exec, exec, s[34:35]
.LBB4_5533:                             ;   in Loop: Header=BB4_5010 Depth=4
	s_or_b64 exec, exec, s[28:29]
	v_and_b32_e32 v2, 0xff, v46
	v_cmp_ne_u16_e32 vcc, 0, v2
	s_and_saveexec_b64 s[28:29], vcc
	s_cbranch_execz .LBB4_5539
; %bb.5534:                             ;   in Loop: Header=BB4_5010 Depth=4
	v_cmp_ne_u16_e32 vcc, s70, v2
	v_bfrev_b32_e32 v14, 1
	s_and_saveexec_b64 s[34:35], vcc
	s_cbranch_execz .LBB4_5538
; %bb.5535:                             ;   in Loop: Header=BB4_5010 Depth=4
	v_and_b32_e32 v39, 0x7f, v46
	v_cmp_ne_u32_e32 vcc, s68, v39
	v_mov_b32_e32 v14, 0x7f800001
	s_and_saveexec_b64 s[36:37], vcc
	s_cbranch_execz .LBB4_5537
; %bb.5536:                             ;   in Loop: Header=BB4_5010 Depth=4
	v_and_b32_e32 v14, 7, v2
	v_ffbh_u32_e32 v22, v14
	v_min_u32_e32 v33, 32, v22
	v_subrev_u32_e32 v22, 28, v33
	v_lshlrev_b64 v[22:23], v22, v[2:3]
	v_lshrrev_b32_e32 v32, 3, v39
	v_cmp_gt_u32_e32 vcc, 8, v39
	v_sub_u32_e32 v2, 29, v33
	v_and_b32_e32 v22, 7, v22
	v_cndmask_b32_e32 v2, v32, v2, vcc
	v_cndmask_b32_e32 v14, v14, v22, vcc
	v_lshlrev_b32_e32 v22, 24, v46
	v_lshlrev_b32_e32 v14, 20, v14
	v_and_b32_e32 v22, 0x80000000, v22
	v_lshl_add_u32 v2, v2, 23, v5
	v_or3_b32 v14, v22, v2, v14
.LBB4_5537:                             ;   in Loop: Header=BB4_5010 Depth=4
	s_or_b64 exec, exec, s[36:37]
.LBB4_5538:                             ;   in Loop: Header=BB4_5010 Depth=4
	s_or_b64 exec, exec, s[34:35]
.LBB4_5539:                             ;   in Loop: Header=BB4_5010 Depth=4
	s_or_b64 exec, exec, s[28:29]
	v_add_f32_e32 v14, v15, v14
	v_and_b32_e32 v2, 0x7f800000, v14
	v_cmp_ne_u64_e32 vcc, s[62:63], v[2:3]
                                        ; implicit-def: $vgpr39
	s_and_saveexec_b64 s[28:29], vcc
	s_xor_b64 s[34:35], exec, s[28:29]
	s_cbranch_execz .LBB4_5557
; %bb.5540:                             ;   in Loop: Header=BB4_5010 Depth=4
	v_and_b32_e32 v2, 0x7fffffff, v14
	v_cmp_gt_u64_e32 vcc, s[72:73], v[2:3]
	v_and_b32_sdwa v46, v14, s70 dst_sel:DWORD dst_unused:UNUSED_PAD src0_sel:BYTE_3 src1_sel:DWORD
                                        ; implicit-def: $vgpr39
	s_and_saveexec_b64 s[28:29], vcc
	s_xor_b64 s[36:37], exec, s[28:29]
	s_cbranch_execz .LBB4_5554
; %bb.5541:                             ;   in Loop: Header=BB4_5010 Depth=4
	v_cmp_ne_u32_e32 vcc, 0, v14
	v_mov_b32_e32 v39, 0
	s_and_saveexec_b64 s[38:39], vcc
	s_cbranch_execz .LBB4_5553
; %bb.5542:                             ;   in Loop: Header=BB4_5010 Depth=4
	v_bfe_u32 v39, v14, 23, 8
	v_and_b32_e32 v2, 0x7fffff, v14
	v_cmp_gt_u32_e64 s[28:29], s71, v39
	v_sub_u32_e32 v14, 0x79, v39
	v_cmp_eq_u32_e32 vcc, 0, v39
	v_cndmask_b32_e64 v14, 0, v14, s[28:29]
	v_mov_b32_e32 v22, 0x78
	v_cndmask_b32_e32 v47, v14, v22, vcc
	v_or_b32_e32 v15, 0x800000, v2
	v_add_u32_e32 v14, 20, v47
	v_cndmask_b32_e32 v2, v15, v2, vcc
	v_lshlrev_b64 v[14:15], v14, -1
	v_add_u32_e32 v22, 19, v47
	v_lshlrev_b64 v[22:23], v22, 1
	v_bfi_b32 v15, v15, 0, 0
	v_bfi_b32 v14, v14, 0, v2
	v_cmp_eq_u64_e64 s[28:29], v[14:15], v[22:23]
	v_lshrrev_b64 v[14:15], v47, v[2:3]
	v_mov_b32_e32 v41, v15
	v_mov_b32_e32 v40, v14
	s_and_saveexec_b64 s[48:49], s[28:29]
; %bb.5543:                             ;   in Loop: Header=BB4_5010 Depth=4
	v_bfe_u32 v2, v14, 20, 1
	v_add_co_u32_e64 v2, s[28:29], v14, v2
	v_add_co_u32_e64 v40, s[28:29], -1, v2
; %bb.5544:                             ;   in Loop: Header=BB4_5010 Depth=4
	s_or_b64 exec, exec, s[48:49]
	v_add_u32_e32 v2, 0xffffff81, v39
	v_mov_b32_e32 v15, 0xffffff82
	v_cndmask_b32_e32 v2, v2, v15, vcc
	v_lshrrev_b32_e32 v15, 23, v14
	v_add3_u32 v41, v47, v2, v15
	v_add_u32_e32 v39, 6, v41
	v_and_b32_e32 v2, 0xfffff, v40
	v_add_u32_e32 v2, v2, v14
	v_cmp_ne_u32_e32 vcc, 0, v39
                                        ; implicit-def: $vgpr14_vgpr15
                                        ; implicit-def: $vgpr40
	s_and_saveexec_b64 s[28:29], vcc
	s_xor_b64 s[28:29], exec, s[28:29]
; %bb.5545:                             ;   in Loop: Header=BB4_5010 Depth=4
	v_cmp_lt_u64_e32 vcc, s[74:75], v[2:3]
	v_add_u32_e32 v14, 7, v41
	v_cndmask_b32_e32 v40, v39, v14, vcc
	v_cndmask_b32_e64 v14, 0, 1, vcc
	v_lshrrev_b64 v[14:15], v14, v[2:3]
; %bb.5546:                             ;   in Loop: Header=BB4_5010 Depth=4
	s_andn2_saveexec_b64 s[28:29], s[28:29]
; %bb.5547:                             ;   in Loop: Header=BB4_5010 Depth=4
	v_mov_b32_e32 v15, v3
	v_bfe_u32 v40, v2, 23, 1
	v_mov_b32_e32 v14, v2
; %bb.5548:                             ;   in Loop: Header=BB4_5010 Depth=4
	s_or_b64 exec, exec, s[28:29]
	v_lshrrev_b64 v[14:15], 20, v[14:15]
	v_cmp_gt_i32_e32 vcc, 16, v40
	v_cndmask_b32_e32 v15, 0, v15, vcc
	v_cndmask_b32_e32 v14, 7, v14, vcc
	v_cmp_ne_u64_e32 vcc, 0, v[14:15]
	v_cmp_ne_u32_e64 s[28:29], 0, v40
	s_or_b64 s[28:29], s[28:29], vcc
                                        ; implicit-def: $vgpr39
	s_and_saveexec_b64 vcc, s[28:29]
	s_xor_b64 s[28:29], exec, vcc
; %bb.5549:                             ;   in Loop: Header=BB4_5010 Depth=4
	v_min_i32_e32 v2, 15, v40
	v_lshl_or_b32 v2, v2, 3, v46
	v_and_or_b32 v39, v14, 7, v2
                                        ; implicit-def: $vgpr46
; %bb.5550:                             ;   in Loop: Header=BB4_5010 Depth=4
	s_andn2_saveexec_b64 s[28:29], s[28:29]
; %bb.5551:                             ;   in Loop: Header=BB4_5010 Depth=4
	v_mov_b32_e32 v39, v46
; %bb.5552:                             ;   in Loop: Header=BB4_5010 Depth=4
	s_or_b64 exec, exec, s[28:29]
.LBB4_5553:                             ;   in Loop: Header=BB4_5010 Depth=4
	s_or_b64 exec, exec, s[38:39]
                                        ; implicit-def: $vgpr46
.LBB4_5554:                             ;   in Loop: Header=BB4_5010 Depth=4
	s_andn2_saveexec_b64 s[28:29], s[36:37]
; %bb.5555:                             ;   in Loop: Header=BB4_5010 Depth=4
	v_or_b32_e32 v39, 0x7e, v46
; %bb.5556:                             ;   in Loop: Header=BB4_5010 Depth=4
	s_or_b64 exec, exec, s[28:29]
                                        ; implicit-def: $vgpr14
.LBB4_5557:                             ;   in Loop: Header=BB4_5010 Depth=4
	s_andn2_saveexec_b64 s[28:29], s[34:35]
; %bb.5558:                             ;   in Loop: Header=BB4_5010 Depth=4
	v_or_b32_sdwa v39, v14, s68 dst_sel:DWORD dst_unused:UNUSED_PAD src0_sel:BYTE_3 src1_sel:DWORD
; %bb.5559:                             ;   in Loop: Header=BB4_5010 Depth=4
	s_or_b64 exec, exec, s[28:29]
	v_and_b32_e32 v2, 0xff, v38
	v_cmp_ne_u16_e32 vcc, 0, v2
	v_mov_b32_e32 v14, 0
	v_mov_b32_e32 v15, 0
	s_and_saveexec_b64 s[28:29], vcc
	s_cbranch_execz .LBB4_5565
; %bb.5560:                             ;   in Loop: Header=BB4_5010 Depth=4
	v_cmp_ne_u16_e32 vcc, s70, v2
	v_bfrev_b32_e32 v15, 1
	s_and_saveexec_b64 s[34:35], vcc
	s_cbranch_execz .LBB4_5564
; %bb.5561:                             ;   in Loop: Header=BB4_5010 Depth=4
	v_and_b32_e32 v40, 0x7f, v38
	v_cmp_ne_u32_e32 vcc, s68, v40
	v_mov_b32_e32 v15, 0x7f800001
	s_and_saveexec_b64 s[36:37], vcc
	s_cbranch_execz .LBB4_5563
; %bb.5562:                             ;   in Loop: Header=BB4_5010 Depth=4
	v_and_b32_e32 v15, 7, v2
	v_ffbh_u32_e32 v22, v15
	v_min_u32_e32 v33, 32, v22
	v_subrev_u32_e32 v22, 28, v33
	v_lshlrev_b64 v[22:23], v22, v[2:3]
	v_lshrrev_b32_e32 v32, 3, v40
	v_cmp_gt_u32_e32 vcc, 8, v40
	v_sub_u32_e32 v2, 29, v33
	v_and_b32_e32 v22, 7, v22
	v_cndmask_b32_e32 v2, v32, v2, vcc
	v_cndmask_b32_e32 v15, v15, v22, vcc
	v_lshlrev_b32_e32 v22, 24, v38
	v_lshlrev_b32_e32 v15, 20, v15
	v_and_b32_e32 v22, 0x80000000, v22
	v_lshl_add_u32 v2, v2, 23, v5
	v_or3_b32 v15, v22, v2, v15
.LBB4_5563:                             ;   in Loop: Header=BB4_5010 Depth=4
	s_or_b64 exec, exec, s[36:37]
.LBB4_5564:                             ;   in Loop: Header=BB4_5010 Depth=4
	s_or_b64 exec, exec, s[34:35]
.LBB4_5565:                             ;   in Loop: Header=BB4_5010 Depth=4
	s_or_b64 exec, exec, s[28:29]
	v_and_b32_e32 v2, 0xff, v45
	v_cmp_ne_u16_e32 vcc, 0, v2
	s_and_saveexec_b64 s[28:29], vcc
	s_cbranch_execz .LBB4_5571
; %bb.5566:                             ;   in Loop: Header=BB4_5010 Depth=4
	v_cmp_ne_u16_e32 vcc, s70, v2
	v_bfrev_b32_e32 v14, 1
	s_and_saveexec_b64 s[34:35], vcc
	s_cbranch_execz .LBB4_5570
; %bb.5567:                             ;   in Loop: Header=BB4_5010 Depth=4
	v_and_b32_e32 v38, 0x7f, v45
	v_cmp_ne_u32_e32 vcc, s68, v38
	v_mov_b32_e32 v14, 0x7f800001
	s_and_saveexec_b64 s[36:37], vcc
	s_cbranch_execz .LBB4_5569
; %bb.5568:                             ;   in Loop: Header=BB4_5010 Depth=4
	v_and_b32_e32 v14, 7, v2
	v_ffbh_u32_e32 v22, v14
	v_min_u32_e32 v33, 32, v22
	v_subrev_u32_e32 v22, 28, v33
	v_lshlrev_b64 v[22:23], v22, v[2:3]
	v_lshrrev_b32_e32 v32, 3, v38
	v_cmp_gt_u32_e32 vcc, 8, v38
	v_sub_u32_e32 v2, 29, v33
	v_and_b32_e32 v22, 7, v22
	v_cndmask_b32_e32 v2, v32, v2, vcc
	v_cndmask_b32_e32 v14, v14, v22, vcc
	v_lshlrev_b32_e32 v22, 24, v45
	v_lshlrev_b32_e32 v14, 20, v14
	v_and_b32_e32 v22, 0x80000000, v22
	v_lshl_add_u32 v2, v2, 23, v5
	v_or3_b32 v14, v22, v2, v14
.LBB4_5569:                             ;   in Loop: Header=BB4_5010 Depth=4
	s_or_b64 exec, exec, s[36:37]
.LBB4_5570:                             ;   in Loop: Header=BB4_5010 Depth=4
	s_or_b64 exec, exec, s[34:35]
.LBB4_5571:                             ;   in Loop: Header=BB4_5010 Depth=4
	s_or_b64 exec, exec, s[28:29]
	v_add_f32_e32 v14, v15, v14
	v_and_b32_e32 v2, 0x7f800000, v14
	v_cmp_ne_u64_e32 vcc, s[62:63], v[2:3]
                                        ; implicit-def: $vgpr38
	s_and_saveexec_b64 s[28:29], vcc
	s_xor_b64 s[34:35], exec, s[28:29]
	s_cbranch_execz .LBB4_5589
; %bb.5572:                             ;   in Loop: Header=BB4_5010 Depth=4
	v_and_b32_e32 v2, 0x7fffffff, v14
	v_cmp_gt_u64_e32 vcc, s[72:73], v[2:3]
	v_and_b32_sdwa v45, v14, s70 dst_sel:DWORD dst_unused:UNUSED_PAD src0_sel:BYTE_3 src1_sel:DWORD
                                        ; implicit-def: $vgpr38
	s_and_saveexec_b64 s[28:29], vcc
	s_xor_b64 s[36:37], exec, s[28:29]
	s_cbranch_execz .LBB4_5586
; %bb.5573:                             ;   in Loop: Header=BB4_5010 Depth=4
	v_cmp_ne_u32_e32 vcc, 0, v14
	v_mov_b32_e32 v38, 0
	s_and_saveexec_b64 s[38:39], vcc
	s_cbranch_execz .LBB4_5585
; %bb.5574:                             ;   in Loop: Header=BB4_5010 Depth=4
	v_bfe_u32 v38, v14, 23, 8
	v_and_b32_e32 v2, 0x7fffff, v14
	v_cmp_gt_u32_e64 s[28:29], s71, v38
	v_sub_u32_e32 v14, 0x79, v38
	v_cmp_eq_u32_e32 vcc, 0, v38
	v_cndmask_b32_e64 v14, 0, v14, s[28:29]
	v_mov_b32_e32 v22, 0x78
	v_cndmask_b32_e32 v46, v14, v22, vcc
	v_or_b32_e32 v15, 0x800000, v2
	v_add_u32_e32 v14, 20, v46
	v_cndmask_b32_e32 v2, v15, v2, vcc
	v_lshlrev_b64 v[14:15], v14, -1
	v_add_u32_e32 v22, 19, v46
	v_lshlrev_b64 v[22:23], v22, 1
	v_bfi_b32 v15, v15, 0, 0
	v_bfi_b32 v14, v14, 0, v2
	v_cmp_eq_u64_e64 s[28:29], v[14:15], v[22:23]
	v_lshrrev_b64 v[14:15], v46, v[2:3]
	v_mov_b32_e32 v41, v15
	v_mov_b32_e32 v40, v14
	s_and_saveexec_b64 s[48:49], s[28:29]
; %bb.5575:                             ;   in Loop: Header=BB4_5010 Depth=4
	v_bfe_u32 v2, v14, 20, 1
	v_add_co_u32_e64 v2, s[28:29], v14, v2
	v_add_co_u32_e64 v40, s[28:29], -1, v2
; %bb.5576:                             ;   in Loop: Header=BB4_5010 Depth=4
	s_or_b64 exec, exec, s[48:49]
	v_add_u32_e32 v2, 0xffffff81, v38
	v_mov_b32_e32 v15, 0xffffff82
	v_cndmask_b32_e32 v2, v2, v15, vcc
	v_lshrrev_b32_e32 v15, 23, v14
	v_add3_u32 v41, v46, v2, v15
	v_add_u32_e32 v38, 6, v41
	v_and_b32_e32 v2, 0xfffff, v40
	v_add_u32_e32 v2, v2, v14
	v_cmp_ne_u32_e32 vcc, 0, v38
                                        ; implicit-def: $vgpr14_vgpr15
                                        ; implicit-def: $vgpr40
	s_and_saveexec_b64 s[28:29], vcc
	s_xor_b64 s[28:29], exec, s[28:29]
; %bb.5577:                             ;   in Loop: Header=BB4_5010 Depth=4
	v_cmp_lt_u64_e32 vcc, s[74:75], v[2:3]
	v_add_u32_e32 v14, 7, v41
	v_cndmask_b32_e32 v40, v38, v14, vcc
	v_cndmask_b32_e64 v14, 0, 1, vcc
	v_lshrrev_b64 v[14:15], v14, v[2:3]
; %bb.5578:                             ;   in Loop: Header=BB4_5010 Depth=4
	s_andn2_saveexec_b64 s[28:29], s[28:29]
; %bb.5579:                             ;   in Loop: Header=BB4_5010 Depth=4
	v_mov_b32_e32 v15, v3
	v_bfe_u32 v40, v2, 23, 1
	v_mov_b32_e32 v14, v2
; %bb.5580:                             ;   in Loop: Header=BB4_5010 Depth=4
	s_or_b64 exec, exec, s[28:29]
	v_lshrrev_b64 v[14:15], 20, v[14:15]
	v_cmp_gt_i32_e32 vcc, 16, v40
	v_cndmask_b32_e32 v15, 0, v15, vcc
	v_cndmask_b32_e32 v14, 7, v14, vcc
	v_cmp_ne_u64_e32 vcc, 0, v[14:15]
	v_cmp_ne_u32_e64 s[28:29], 0, v40
	s_or_b64 s[28:29], s[28:29], vcc
                                        ; implicit-def: $vgpr38
	s_and_saveexec_b64 vcc, s[28:29]
	s_xor_b64 s[28:29], exec, vcc
; %bb.5581:                             ;   in Loop: Header=BB4_5010 Depth=4
	v_min_i32_e32 v2, 15, v40
	v_lshl_or_b32 v2, v2, 3, v45
	v_and_or_b32 v38, v14, 7, v2
                                        ; implicit-def: $vgpr45
; %bb.5582:                             ;   in Loop: Header=BB4_5010 Depth=4
	s_andn2_saveexec_b64 s[28:29], s[28:29]
; %bb.5583:                             ;   in Loop: Header=BB4_5010 Depth=4
	v_mov_b32_e32 v38, v45
; %bb.5584:                             ;   in Loop: Header=BB4_5010 Depth=4
	s_or_b64 exec, exec, s[28:29]
.LBB4_5585:                             ;   in Loop: Header=BB4_5010 Depth=4
	s_or_b64 exec, exec, s[38:39]
                                        ; implicit-def: $vgpr45
.LBB4_5586:                             ;   in Loop: Header=BB4_5010 Depth=4
	s_andn2_saveexec_b64 s[28:29], s[36:37]
; %bb.5587:                             ;   in Loop: Header=BB4_5010 Depth=4
	v_or_b32_e32 v38, 0x7e, v45
; %bb.5588:                             ;   in Loop: Header=BB4_5010 Depth=4
	s_or_b64 exec, exec, s[28:29]
                                        ; implicit-def: $vgpr14
.LBB4_5589:                             ;   in Loop: Header=BB4_5010 Depth=4
	s_andn2_saveexec_b64 s[28:29], s[34:35]
; %bb.5590:                             ;   in Loop: Header=BB4_5010 Depth=4
	v_or_b32_sdwa v38, v14, s68 dst_sel:DWORD dst_unused:UNUSED_PAD src0_sel:BYTE_3 src1_sel:DWORD
; %bb.5591:                             ;   in Loop: Header=BB4_5010 Depth=4
	s_or_b64 exec, exec, s[28:29]
	v_and_b32_e32 v2, 0xff, v37
	v_cmp_ne_u16_e32 vcc, 0, v2
	v_mov_b32_e32 v14, 0
	v_mov_b32_e32 v15, 0
	s_and_saveexec_b64 s[28:29], vcc
	s_cbranch_execz .LBB4_5597
; %bb.5592:                             ;   in Loop: Header=BB4_5010 Depth=4
	v_cmp_ne_u16_e32 vcc, s70, v2
	v_bfrev_b32_e32 v15, 1
	s_and_saveexec_b64 s[34:35], vcc
	s_cbranch_execz .LBB4_5596
; %bb.5593:                             ;   in Loop: Header=BB4_5010 Depth=4
	v_and_b32_e32 v40, 0x7f, v37
	v_cmp_ne_u32_e32 vcc, s68, v40
	v_mov_b32_e32 v15, 0x7f800001
	s_and_saveexec_b64 s[36:37], vcc
	s_cbranch_execz .LBB4_5595
; %bb.5594:                             ;   in Loop: Header=BB4_5010 Depth=4
	v_and_b32_e32 v15, 7, v2
	v_ffbh_u32_e32 v22, v15
	v_min_u32_e32 v33, 32, v22
	v_subrev_u32_e32 v22, 28, v33
	v_lshlrev_b64 v[22:23], v22, v[2:3]
	v_lshrrev_b32_e32 v32, 3, v40
	v_cmp_gt_u32_e32 vcc, 8, v40
	v_sub_u32_e32 v2, 29, v33
	v_and_b32_e32 v22, 7, v22
	v_cndmask_b32_e32 v2, v32, v2, vcc
	v_cndmask_b32_e32 v15, v15, v22, vcc
	v_lshlrev_b32_e32 v22, 24, v37
	v_lshlrev_b32_e32 v15, 20, v15
	v_and_b32_e32 v22, 0x80000000, v22
	v_lshl_add_u32 v2, v2, 23, v5
	v_or3_b32 v15, v22, v2, v15
.LBB4_5595:                             ;   in Loop: Header=BB4_5010 Depth=4
	s_or_b64 exec, exec, s[36:37]
.LBB4_5596:                             ;   in Loop: Header=BB4_5010 Depth=4
	s_or_b64 exec, exec, s[34:35]
.LBB4_5597:                             ;   in Loop: Header=BB4_5010 Depth=4
	s_or_b64 exec, exec, s[28:29]
	v_and_b32_e32 v2, 0xff, v44
	v_cmp_ne_u16_e32 vcc, 0, v2
	s_and_saveexec_b64 s[28:29], vcc
	s_cbranch_execz .LBB4_5603
; %bb.5598:                             ;   in Loop: Header=BB4_5010 Depth=4
	v_cmp_ne_u16_e32 vcc, s70, v2
	v_bfrev_b32_e32 v14, 1
	s_and_saveexec_b64 s[34:35], vcc
	s_cbranch_execz .LBB4_5602
; %bb.5599:                             ;   in Loop: Header=BB4_5010 Depth=4
	v_and_b32_e32 v37, 0x7f, v44
	v_cmp_ne_u32_e32 vcc, s68, v37
	v_mov_b32_e32 v14, 0x7f800001
	s_and_saveexec_b64 s[36:37], vcc
	s_cbranch_execz .LBB4_5601
; %bb.5600:                             ;   in Loop: Header=BB4_5010 Depth=4
	v_and_b32_e32 v14, 7, v2
	v_ffbh_u32_e32 v22, v14
	v_min_u32_e32 v33, 32, v22
	v_subrev_u32_e32 v22, 28, v33
	v_lshlrev_b64 v[22:23], v22, v[2:3]
	v_lshrrev_b32_e32 v32, 3, v37
	v_cmp_gt_u32_e32 vcc, 8, v37
	v_sub_u32_e32 v2, 29, v33
	v_and_b32_e32 v22, 7, v22
	v_cndmask_b32_e32 v2, v32, v2, vcc
	v_cndmask_b32_e32 v14, v14, v22, vcc
	v_lshlrev_b32_e32 v22, 24, v44
	v_lshlrev_b32_e32 v14, 20, v14
	v_and_b32_e32 v22, 0x80000000, v22
	v_lshl_add_u32 v2, v2, 23, v5
	v_or3_b32 v14, v22, v2, v14
.LBB4_5601:                             ;   in Loop: Header=BB4_5010 Depth=4
	s_or_b64 exec, exec, s[36:37]
.LBB4_5602:                             ;   in Loop: Header=BB4_5010 Depth=4
	s_or_b64 exec, exec, s[34:35]
.LBB4_5603:                             ;   in Loop: Header=BB4_5010 Depth=4
	s_or_b64 exec, exec, s[28:29]
	v_add_f32_e32 v14, v15, v14
	v_and_b32_e32 v2, 0x7f800000, v14
	v_cmp_ne_u64_e32 vcc, s[62:63], v[2:3]
                                        ; implicit-def: $vgpr37
	s_and_saveexec_b64 s[28:29], vcc
	s_xor_b64 s[34:35], exec, s[28:29]
	s_cbranch_execz .LBB4_5621
; %bb.5604:                             ;   in Loop: Header=BB4_5010 Depth=4
	v_and_b32_e32 v2, 0x7fffffff, v14
	v_cmp_gt_u64_e32 vcc, s[72:73], v[2:3]
	v_and_b32_sdwa v44, v14, s70 dst_sel:DWORD dst_unused:UNUSED_PAD src0_sel:BYTE_3 src1_sel:DWORD
                                        ; implicit-def: $vgpr37
	s_and_saveexec_b64 s[28:29], vcc
	s_xor_b64 s[36:37], exec, s[28:29]
	s_cbranch_execz .LBB4_5618
; %bb.5605:                             ;   in Loop: Header=BB4_5010 Depth=4
	v_cmp_ne_u32_e32 vcc, 0, v14
	v_mov_b32_e32 v37, 0
	s_and_saveexec_b64 s[38:39], vcc
	s_cbranch_execz .LBB4_5617
; %bb.5606:                             ;   in Loop: Header=BB4_5010 Depth=4
	v_bfe_u32 v37, v14, 23, 8
	v_and_b32_e32 v2, 0x7fffff, v14
	v_cmp_gt_u32_e64 s[28:29], s71, v37
	v_sub_u32_e32 v14, 0x79, v37
	v_cmp_eq_u32_e32 vcc, 0, v37
	v_cndmask_b32_e64 v14, 0, v14, s[28:29]
	v_mov_b32_e32 v22, 0x78
	v_cndmask_b32_e32 v45, v14, v22, vcc
	v_or_b32_e32 v15, 0x800000, v2
	v_add_u32_e32 v14, 20, v45
	v_cndmask_b32_e32 v2, v15, v2, vcc
	v_lshlrev_b64 v[14:15], v14, -1
	v_add_u32_e32 v22, 19, v45
	v_lshlrev_b64 v[22:23], v22, 1
	v_bfi_b32 v15, v15, 0, 0
	v_bfi_b32 v14, v14, 0, v2
	v_cmp_eq_u64_e64 s[28:29], v[14:15], v[22:23]
	v_lshrrev_b64 v[14:15], v45, v[2:3]
	v_mov_b32_e32 v41, v15
	v_mov_b32_e32 v40, v14
	s_and_saveexec_b64 s[48:49], s[28:29]
; %bb.5607:                             ;   in Loop: Header=BB4_5010 Depth=4
	v_bfe_u32 v2, v14, 20, 1
	v_add_co_u32_e64 v2, s[28:29], v14, v2
	v_add_co_u32_e64 v40, s[28:29], -1, v2
; %bb.5608:                             ;   in Loop: Header=BB4_5010 Depth=4
	s_or_b64 exec, exec, s[48:49]
	v_add_u32_e32 v2, 0xffffff81, v37
	v_mov_b32_e32 v15, 0xffffff82
	v_cndmask_b32_e32 v2, v2, v15, vcc
	v_lshrrev_b32_e32 v15, 23, v14
	v_add3_u32 v41, v45, v2, v15
	v_add_u32_e32 v37, 6, v41
	v_and_b32_e32 v2, 0xfffff, v40
	v_add_u32_e32 v2, v2, v14
	v_cmp_ne_u32_e32 vcc, 0, v37
                                        ; implicit-def: $vgpr14_vgpr15
                                        ; implicit-def: $vgpr40
	s_and_saveexec_b64 s[28:29], vcc
	s_xor_b64 s[28:29], exec, s[28:29]
; %bb.5609:                             ;   in Loop: Header=BB4_5010 Depth=4
	v_cmp_lt_u64_e32 vcc, s[74:75], v[2:3]
	v_add_u32_e32 v14, 7, v41
	v_cndmask_b32_e32 v40, v37, v14, vcc
	v_cndmask_b32_e64 v14, 0, 1, vcc
	v_lshrrev_b64 v[14:15], v14, v[2:3]
; %bb.5610:                             ;   in Loop: Header=BB4_5010 Depth=4
	s_andn2_saveexec_b64 s[28:29], s[28:29]
; %bb.5611:                             ;   in Loop: Header=BB4_5010 Depth=4
	v_mov_b32_e32 v15, v3
	v_bfe_u32 v40, v2, 23, 1
	v_mov_b32_e32 v14, v2
; %bb.5612:                             ;   in Loop: Header=BB4_5010 Depth=4
	s_or_b64 exec, exec, s[28:29]
	v_lshrrev_b64 v[14:15], 20, v[14:15]
	v_cmp_gt_i32_e32 vcc, 16, v40
	v_cndmask_b32_e32 v15, 0, v15, vcc
	v_cndmask_b32_e32 v14, 7, v14, vcc
	v_cmp_ne_u64_e32 vcc, 0, v[14:15]
	v_cmp_ne_u32_e64 s[28:29], 0, v40
	s_or_b64 s[28:29], s[28:29], vcc
                                        ; implicit-def: $vgpr37
	s_and_saveexec_b64 vcc, s[28:29]
	s_xor_b64 s[28:29], exec, vcc
; %bb.5613:                             ;   in Loop: Header=BB4_5010 Depth=4
	v_min_i32_e32 v2, 15, v40
	v_lshl_or_b32 v2, v2, 3, v44
	v_and_or_b32 v37, v14, 7, v2
                                        ; implicit-def: $vgpr44
; %bb.5614:                             ;   in Loop: Header=BB4_5010 Depth=4
	s_andn2_saveexec_b64 s[28:29], s[28:29]
; %bb.5615:                             ;   in Loop: Header=BB4_5010 Depth=4
	v_mov_b32_e32 v37, v44
; %bb.5616:                             ;   in Loop: Header=BB4_5010 Depth=4
	s_or_b64 exec, exec, s[28:29]
.LBB4_5617:                             ;   in Loop: Header=BB4_5010 Depth=4
	s_or_b64 exec, exec, s[38:39]
                                        ; implicit-def: $vgpr44
.LBB4_5618:                             ;   in Loop: Header=BB4_5010 Depth=4
	s_andn2_saveexec_b64 s[28:29], s[36:37]
; %bb.5619:                             ;   in Loop: Header=BB4_5010 Depth=4
	v_or_b32_e32 v37, 0x7e, v44
; %bb.5620:                             ;   in Loop: Header=BB4_5010 Depth=4
	s_or_b64 exec, exec, s[28:29]
                                        ; implicit-def: $vgpr14
.LBB4_5621:                             ;   in Loop: Header=BB4_5010 Depth=4
	s_andn2_saveexec_b64 s[28:29], s[34:35]
; %bb.5622:                             ;   in Loop: Header=BB4_5010 Depth=4
	v_or_b32_sdwa v37, v14, s68 dst_sel:DWORD dst_unused:UNUSED_PAD src0_sel:BYTE_3 src1_sel:DWORD
; %bb.5623:                             ;   in Loop: Header=BB4_5010 Depth=4
	s_or_b64 exec, exec, s[28:29]
	v_and_b32_e32 v2, 0xff, v36
	v_cmp_ne_u16_e32 vcc, 0, v2
	v_mov_b32_e32 v14, 0
	v_mov_b32_e32 v15, 0
	s_and_saveexec_b64 s[28:29], vcc
	s_cbranch_execz .LBB4_5629
; %bb.5624:                             ;   in Loop: Header=BB4_5010 Depth=4
	v_cmp_ne_u16_e32 vcc, s70, v2
	v_bfrev_b32_e32 v15, 1
	s_and_saveexec_b64 s[34:35], vcc
	s_cbranch_execz .LBB4_5628
; %bb.5625:                             ;   in Loop: Header=BB4_5010 Depth=4
	v_and_b32_e32 v40, 0x7f, v36
	v_cmp_ne_u32_e32 vcc, s68, v40
	v_mov_b32_e32 v15, 0x7f800001
	s_and_saveexec_b64 s[36:37], vcc
	s_cbranch_execz .LBB4_5627
; %bb.5626:                             ;   in Loop: Header=BB4_5010 Depth=4
	v_and_b32_e32 v15, 7, v2
	v_ffbh_u32_e32 v22, v15
	v_min_u32_e32 v33, 32, v22
	v_subrev_u32_e32 v22, 28, v33
	v_lshlrev_b64 v[22:23], v22, v[2:3]
	v_lshrrev_b32_e32 v32, 3, v40
	v_cmp_gt_u32_e32 vcc, 8, v40
	v_sub_u32_e32 v2, 29, v33
	v_and_b32_e32 v22, 7, v22
	v_cndmask_b32_e32 v2, v32, v2, vcc
	v_cndmask_b32_e32 v15, v15, v22, vcc
	v_lshlrev_b32_e32 v22, 24, v36
	v_lshlrev_b32_e32 v15, 20, v15
	v_and_b32_e32 v22, 0x80000000, v22
	v_lshl_add_u32 v2, v2, 23, v5
	v_or3_b32 v15, v22, v2, v15
.LBB4_5627:                             ;   in Loop: Header=BB4_5010 Depth=4
	s_or_b64 exec, exec, s[36:37]
.LBB4_5628:                             ;   in Loop: Header=BB4_5010 Depth=4
	s_or_b64 exec, exec, s[34:35]
.LBB4_5629:                             ;   in Loop: Header=BB4_5010 Depth=4
	s_or_b64 exec, exec, s[28:29]
	v_and_b32_e32 v2, 0xff, v43
	v_cmp_ne_u16_e32 vcc, 0, v2
	s_and_saveexec_b64 s[28:29], vcc
	s_cbranch_execz .LBB4_5635
; %bb.5630:                             ;   in Loop: Header=BB4_5010 Depth=4
	v_cmp_ne_u16_e32 vcc, s70, v2
	v_bfrev_b32_e32 v14, 1
	s_and_saveexec_b64 s[34:35], vcc
	s_cbranch_execz .LBB4_5634
; %bb.5631:                             ;   in Loop: Header=BB4_5010 Depth=4
	v_and_b32_e32 v36, 0x7f, v43
	v_cmp_ne_u32_e32 vcc, s68, v36
	v_mov_b32_e32 v14, 0x7f800001
	s_and_saveexec_b64 s[36:37], vcc
	s_cbranch_execz .LBB4_5633
; %bb.5632:                             ;   in Loop: Header=BB4_5010 Depth=4
	v_and_b32_e32 v14, 7, v2
	v_ffbh_u32_e32 v22, v14
	v_min_u32_e32 v33, 32, v22
	v_subrev_u32_e32 v22, 28, v33
	v_lshlrev_b64 v[22:23], v22, v[2:3]
	v_lshrrev_b32_e32 v32, 3, v36
	v_cmp_gt_u32_e32 vcc, 8, v36
	v_sub_u32_e32 v2, 29, v33
	v_and_b32_e32 v22, 7, v22
	v_cndmask_b32_e32 v2, v32, v2, vcc
	v_cndmask_b32_e32 v14, v14, v22, vcc
	v_lshlrev_b32_e32 v22, 24, v43
	v_lshlrev_b32_e32 v14, 20, v14
	v_and_b32_e32 v22, 0x80000000, v22
	v_lshl_add_u32 v2, v2, 23, v5
	v_or3_b32 v14, v22, v2, v14
.LBB4_5633:                             ;   in Loop: Header=BB4_5010 Depth=4
	s_or_b64 exec, exec, s[36:37]
.LBB4_5634:                             ;   in Loop: Header=BB4_5010 Depth=4
	s_or_b64 exec, exec, s[34:35]
.LBB4_5635:                             ;   in Loop: Header=BB4_5010 Depth=4
	s_or_b64 exec, exec, s[28:29]
	v_add_f32_e32 v14, v15, v14
	v_and_b32_e32 v2, 0x7f800000, v14
	v_cmp_ne_u64_e32 vcc, s[62:63], v[2:3]
                                        ; implicit-def: $vgpr36
	s_and_saveexec_b64 s[28:29], vcc
	s_xor_b64 s[34:35], exec, s[28:29]
	s_cbranch_execz .LBB4_5653
; %bb.5636:                             ;   in Loop: Header=BB4_5010 Depth=4
	v_and_b32_e32 v2, 0x7fffffff, v14
	v_cmp_gt_u64_e32 vcc, s[72:73], v[2:3]
	v_and_b32_sdwa v43, v14, s70 dst_sel:DWORD dst_unused:UNUSED_PAD src0_sel:BYTE_3 src1_sel:DWORD
                                        ; implicit-def: $vgpr36
	s_and_saveexec_b64 s[28:29], vcc
	s_xor_b64 s[36:37], exec, s[28:29]
	s_cbranch_execz .LBB4_5650
; %bb.5637:                             ;   in Loop: Header=BB4_5010 Depth=4
	v_cmp_ne_u32_e32 vcc, 0, v14
	v_mov_b32_e32 v36, 0
	s_and_saveexec_b64 s[38:39], vcc
	s_cbranch_execz .LBB4_5649
; %bb.5638:                             ;   in Loop: Header=BB4_5010 Depth=4
	v_bfe_u32 v36, v14, 23, 8
	v_and_b32_e32 v2, 0x7fffff, v14
	v_cmp_gt_u32_e64 s[28:29], s71, v36
	v_sub_u32_e32 v14, 0x79, v36
	v_cmp_eq_u32_e32 vcc, 0, v36
	v_cndmask_b32_e64 v14, 0, v14, s[28:29]
	v_mov_b32_e32 v22, 0x78
	v_cndmask_b32_e32 v44, v14, v22, vcc
	v_or_b32_e32 v15, 0x800000, v2
	v_add_u32_e32 v14, 20, v44
	v_cndmask_b32_e32 v2, v15, v2, vcc
	v_lshlrev_b64 v[14:15], v14, -1
	v_add_u32_e32 v22, 19, v44
	v_lshlrev_b64 v[22:23], v22, 1
	v_bfi_b32 v15, v15, 0, 0
	v_bfi_b32 v14, v14, 0, v2
	v_cmp_eq_u64_e64 s[28:29], v[14:15], v[22:23]
	v_lshrrev_b64 v[14:15], v44, v[2:3]
	v_mov_b32_e32 v41, v15
	v_mov_b32_e32 v40, v14
	s_and_saveexec_b64 s[48:49], s[28:29]
; %bb.5639:                             ;   in Loop: Header=BB4_5010 Depth=4
	v_bfe_u32 v2, v14, 20, 1
	v_add_co_u32_e64 v2, s[28:29], v14, v2
	v_add_co_u32_e64 v40, s[28:29], -1, v2
; %bb.5640:                             ;   in Loop: Header=BB4_5010 Depth=4
	s_or_b64 exec, exec, s[48:49]
	v_add_u32_e32 v2, 0xffffff81, v36
	v_mov_b32_e32 v15, 0xffffff82
	v_cndmask_b32_e32 v2, v2, v15, vcc
	v_lshrrev_b32_e32 v15, 23, v14
	v_add3_u32 v41, v44, v2, v15
	v_add_u32_e32 v36, 6, v41
	v_and_b32_e32 v2, 0xfffff, v40
	v_add_u32_e32 v2, v2, v14
	v_cmp_ne_u32_e32 vcc, 0, v36
                                        ; implicit-def: $vgpr14_vgpr15
                                        ; implicit-def: $vgpr40
	s_and_saveexec_b64 s[28:29], vcc
	s_xor_b64 s[28:29], exec, s[28:29]
; %bb.5641:                             ;   in Loop: Header=BB4_5010 Depth=4
	v_cmp_lt_u64_e32 vcc, s[74:75], v[2:3]
	v_add_u32_e32 v14, 7, v41
	v_cndmask_b32_e32 v40, v36, v14, vcc
	v_cndmask_b32_e64 v14, 0, 1, vcc
	v_lshrrev_b64 v[14:15], v14, v[2:3]
; %bb.5642:                             ;   in Loop: Header=BB4_5010 Depth=4
	s_andn2_saveexec_b64 s[28:29], s[28:29]
; %bb.5643:                             ;   in Loop: Header=BB4_5010 Depth=4
	v_mov_b32_e32 v15, v3
	v_bfe_u32 v40, v2, 23, 1
	v_mov_b32_e32 v14, v2
; %bb.5644:                             ;   in Loop: Header=BB4_5010 Depth=4
	s_or_b64 exec, exec, s[28:29]
	v_lshrrev_b64 v[14:15], 20, v[14:15]
	v_cmp_gt_i32_e32 vcc, 16, v40
	v_cndmask_b32_e32 v15, 0, v15, vcc
	v_cndmask_b32_e32 v14, 7, v14, vcc
	v_cmp_ne_u64_e32 vcc, 0, v[14:15]
	v_cmp_ne_u32_e64 s[28:29], 0, v40
	s_or_b64 s[28:29], s[28:29], vcc
                                        ; implicit-def: $vgpr36
	s_and_saveexec_b64 vcc, s[28:29]
	s_xor_b64 s[28:29], exec, vcc
; %bb.5645:                             ;   in Loop: Header=BB4_5010 Depth=4
	v_min_i32_e32 v2, 15, v40
	v_lshl_or_b32 v2, v2, 3, v43
	v_and_or_b32 v36, v14, 7, v2
                                        ; implicit-def: $vgpr43
; %bb.5646:                             ;   in Loop: Header=BB4_5010 Depth=4
	s_andn2_saveexec_b64 s[28:29], s[28:29]
; %bb.5647:                             ;   in Loop: Header=BB4_5010 Depth=4
	v_mov_b32_e32 v36, v43
; %bb.5648:                             ;   in Loop: Header=BB4_5010 Depth=4
	s_or_b64 exec, exec, s[28:29]
.LBB4_5649:                             ;   in Loop: Header=BB4_5010 Depth=4
	s_or_b64 exec, exec, s[38:39]
                                        ; implicit-def: $vgpr43
.LBB4_5650:                             ;   in Loop: Header=BB4_5010 Depth=4
	s_andn2_saveexec_b64 s[28:29], s[36:37]
; %bb.5651:                             ;   in Loop: Header=BB4_5010 Depth=4
	v_or_b32_e32 v36, 0x7e, v43
; %bb.5652:                             ;   in Loop: Header=BB4_5010 Depth=4
	s_or_b64 exec, exec, s[28:29]
                                        ; implicit-def: $vgpr14
.LBB4_5653:                             ;   in Loop: Header=BB4_5010 Depth=4
	s_andn2_saveexec_b64 s[28:29], s[34:35]
; %bb.5654:                             ;   in Loop: Header=BB4_5010 Depth=4
	v_or_b32_sdwa v36, v14, s68 dst_sel:DWORD dst_unused:UNUSED_PAD src0_sel:BYTE_3 src1_sel:DWORD
; %bb.5655:                             ;   in Loop: Header=BB4_5010 Depth=4
	s_or_b64 exec, exec, s[28:29]
	v_and_b32_e32 v2, 0xff, v35
	v_cmp_ne_u16_e32 vcc, 0, v2
	v_mov_b32_e32 v14, 0
	v_mov_b32_e32 v15, 0
	s_and_saveexec_b64 s[28:29], vcc
	s_cbranch_execz .LBB4_5661
; %bb.5656:                             ;   in Loop: Header=BB4_5010 Depth=4
	v_cmp_ne_u16_e32 vcc, s70, v2
	v_bfrev_b32_e32 v15, 1
	s_and_saveexec_b64 s[34:35], vcc
	s_cbranch_execz .LBB4_5660
; %bb.5657:                             ;   in Loop: Header=BB4_5010 Depth=4
	v_and_b32_e32 v40, 0x7f, v35
	v_cmp_ne_u32_e32 vcc, s68, v40
	v_mov_b32_e32 v15, 0x7f800001
	s_and_saveexec_b64 s[36:37], vcc
	s_cbranch_execz .LBB4_5659
; %bb.5658:                             ;   in Loop: Header=BB4_5010 Depth=4
	v_and_b32_e32 v15, 7, v2
	v_ffbh_u32_e32 v22, v15
	v_min_u32_e32 v33, 32, v22
	v_subrev_u32_e32 v22, 28, v33
	v_lshlrev_b64 v[22:23], v22, v[2:3]
	v_lshrrev_b32_e32 v32, 3, v40
	v_cmp_gt_u32_e32 vcc, 8, v40
	v_sub_u32_e32 v2, 29, v33
	v_and_b32_e32 v22, 7, v22
	v_cndmask_b32_e32 v2, v32, v2, vcc
	v_cndmask_b32_e32 v15, v15, v22, vcc
	v_lshlrev_b32_e32 v22, 24, v35
	v_lshlrev_b32_e32 v15, 20, v15
	v_and_b32_e32 v22, 0x80000000, v22
	v_lshl_add_u32 v2, v2, 23, v5
	v_or3_b32 v15, v22, v2, v15
.LBB4_5659:                             ;   in Loop: Header=BB4_5010 Depth=4
	s_or_b64 exec, exec, s[36:37]
.LBB4_5660:                             ;   in Loop: Header=BB4_5010 Depth=4
	s_or_b64 exec, exec, s[34:35]
.LBB4_5661:                             ;   in Loop: Header=BB4_5010 Depth=4
	s_or_b64 exec, exec, s[28:29]
	v_and_b32_e32 v2, 0xff, v42
	v_cmp_ne_u16_e32 vcc, 0, v2
	s_and_saveexec_b64 s[28:29], vcc
	s_cbranch_execz .LBB4_5667
; %bb.5662:                             ;   in Loop: Header=BB4_5010 Depth=4
	v_cmp_ne_u16_e32 vcc, s70, v2
	v_bfrev_b32_e32 v14, 1
	s_and_saveexec_b64 s[34:35], vcc
	s_cbranch_execz .LBB4_5666
; %bb.5663:                             ;   in Loop: Header=BB4_5010 Depth=4
	v_and_b32_e32 v35, 0x7f, v42
	v_cmp_ne_u32_e32 vcc, s68, v35
	v_mov_b32_e32 v14, 0x7f800001
	s_and_saveexec_b64 s[36:37], vcc
	s_cbranch_execz .LBB4_5665
; %bb.5664:                             ;   in Loop: Header=BB4_5010 Depth=4
	v_and_b32_e32 v14, 7, v2
	v_ffbh_u32_e32 v22, v14
	v_min_u32_e32 v33, 32, v22
	v_subrev_u32_e32 v22, 28, v33
	v_lshlrev_b64 v[22:23], v22, v[2:3]
	v_lshrrev_b32_e32 v32, 3, v35
	v_cmp_gt_u32_e32 vcc, 8, v35
	v_sub_u32_e32 v2, 29, v33
	v_and_b32_e32 v22, 7, v22
	v_cndmask_b32_e32 v2, v32, v2, vcc
	v_cndmask_b32_e32 v14, v14, v22, vcc
	v_lshlrev_b32_e32 v22, 24, v42
	v_lshlrev_b32_e32 v14, 20, v14
	v_and_b32_e32 v22, 0x80000000, v22
	v_lshl_add_u32 v2, v2, 23, v5
	v_or3_b32 v14, v22, v2, v14
.LBB4_5665:                             ;   in Loop: Header=BB4_5010 Depth=4
	s_or_b64 exec, exec, s[36:37]
.LBB4_5666:                             ;   in Loop: Header=BB4_5010 Depth=4
	s_or_b64 exec, exec, s[34:35]
.LBB4_5667:                             ;   in Loop: Header=BB4_5010 Depth=4
	s_or_b64 exec, exec, s[28:29]
	v_add_f32_e32 v14, v15, v14
	v_and_b32_e32 v2, 0x7f800000, v14
	v_cmp_ne_u64_e32 vcc, s[62:63], v[2:3]
                                        ; implicit-def: $vgpr35
	s_and_saveexec_b64 s[28:29], vcc
	s_xor_b64 s[34:35], exec, s[28:29]
	s_cbranch_execz .LBB4_5685
; %bb.5668:                             ;   in Loop: Header=BB4_5010 Depth=4
	v_and_b32_e32 v2, 0x7fffffff, v14
	v_cmp_gt_u64_e32 vcc, s[72:73], v[2:3]
	v_and_b32_sdwa v42, v14, s70 dst_sel:DWORD dst_unused:UNUSED_PAD src0_sel:BYTE_3 src1_sel:DWORD
                                        ; implicit-def: $vgpr35
	s_and_saveexec_b64 s[28:29], vcc
	s_xor_b64 s[36:37], exec, s[28:29]
	s_cbranch_execz .LBB4_5682
; %bb.5669:                             ;   in Loop: Header=BB4_5010 Depth=4
	v_cmp_ne_u32_e32 vcc, 0, v14
	v_mov_b32_e32 v35, 0
	s_and_saveexec_b64 s[38:39], vcc
	s_cbranch_execz .LBB4_5681
; %bb.5670:                             ;   in Loop: Header=BB4_5010 Depth=4
	v_bfe_u32 v35, v14, 23, 8
	v_and_b32_e32 v2, 0x7fffff, v14
	v_cmp_gt_u32_e64 s[28:29], s71, v35
	v_sub_u32_e32 v14, 0x79, v35
	v_cmp_eq_u32_e32 vcc, 0, v35
	v_cndmask_b32_e64 v14, 0, v14, s[28:29]
	v_mov_b32_e32 v22, 0x78
	v_cndmask_b32_e32 v43, v14, v22, vcc
	v_or_b32_e32 v15, 0x800000, v2
	v_add_u32_e32 v14, 20, v43
	v_cndmask_b32_e32 v2, v15, v2, vcc
	v_lshlrev_b64 v[14:15], v14, -1
	v_add_u32_e32 v22, 19, v43
	v_lshlrev_b64 v[22:23], v22, 1
	v_bfi_b32 v15, v15, 0, 0
	v_bfi_b32 v14, v14, 0, v2
	v_cmp_eq_u64_e64 s[28:29], v[14:15], v[22:23]
	v_lshrrev_b64 v[14:15], v43, v[2:3]
	v_mov_b32_e32 v41, v15
	v_mov_b32_e32 v40, v14
	s_and_saveexec_b64 s[48:49], s[28:29]
; %bb.5671:                             ;   in Loop: Header=BB4_5010 Depth=4
	v_bfe_u32 v2, v14, 20, 1
	v_add_co_u32_e64 v2, s[28:29], v14, v2
	v_add_co_u32_e64 v40, s[28:29], -1, v2
; %bb.5672:                             ;   in Loop: Header=BB4_5010 Depth=4
	s_or_b64 exec, exec, s[48:49]
	v_add_u32_e32 v2, 0xffffff81, v35
	v_mov_b32_e32 v15, 0xffffff82
	v_cndmask_b32_e32 v2, v2, v15, vcc
	v_lshrrev_b32_e32 v15, 23, v14
	v_add3_u32 v41, v43, v2, v15
	v_add_u32_e32 v35, 6, v41
	v_and_b32_e32 v2, 0xfffff, v40
	v_add_u32_e32 v2, v2, v14
	v_cmp_ne_u32_e32 vcc, 0, v35
                                        ; implicit-def: $vgpr14_vgpr15
                                        ; implicit-def: $vgpr40
	s_and_saveexec_b64 s[28:29], vcc
	s_xor_b64 s[28:29], exec, s[28:29]
; %bb.5673:                             ;   in Loop: Header=BB4_5010 Depth=4
	v_cmp_lt_u64_e32 vcc, s[74:75], v[2:3]
	v_add_u32_e32 v14, 7, v41
	v_cndmask_b32_e32 v40, v35, v14, vcc
	v_cndmask_b32_e64 v14, 0, 1, vcc
	v_lshrrev_b64 v[14:15], v14, v[2:3]
; %bb.5674:                             ;   in Loop: Header=BB4_5010 Depth=4
	s_andn2_saveexec_b64 s[28:29], s[28:29]
; %bb.5675:                             ;   in Loop: Header=BB4_5010 Depth=4
	v_mov_b32_e32 v15, v3
	v_bfe_u32 v40, v2, 23, 1
	v_mov_b32_e32 v14, v2
; %bb.5676:                             ;   in Loop: Header=BB4_5010 Depth=4
	s_or_b64 exec, exec, s[28:29]
	v_lshrrev_b64 v[14:15], 20, v[14:15]
	v_cmp_gt_i32_e32 vcc, 16, v40
	v_cndmask_b32_e32 v15, 0, v15, vcc
	v_cndmask_b32_e32 v14, 7, v14, vcc
	v_cmp_ne_u64_e32 vcc, 0, v[14:15]
	v_cmp_ne_u32_e64 s[28:29], 0, v40
	s_or_b64 s[28:29], s[28:29], vcc
                                        ; implicit-def: $vgpr35
	s_and_saveexec_b64 vcc, s[28:29]
	s_xor_b64 s[28:29], exec, vcc
; %bb.5677:                             ;   in Loop: Header=BB4_5010 Depth=4
	v_min_i32_e32 v2, 15, v40
	v_lshl_or_b32 v2, v2, 3, v42
	v_and_or_b32 v35, v14, 7, v2
                                        ; implicit-def: $vgpr42
; %bb.5678:                             ;   in Loop: Header=BB4_5010 Depth=4
	s_andn2_saveexec_b64 s[28:29], s[28:29]
; %bb.5679:                             ;   in Loop: Header=BB4_5010 Depth=4
	v_mov_b32_e32 v35, v42
; %bb.5680:                             ;   in Loop: Header=BB4_5010 Depth=4
	s_or_b64 exec, exec, s[28:29]
.LBB4_5681:                             ;   in Loop: Header=BB4_5010 Depth=4
	s_or_b64 exec, exec, s[38:39]
                                        ; implicit-def: $vgpr42
.LBB4_5682:                             ;   in Loop: Header=BB4_5010 Depth=4
	s_andn2_saveexec_b64 s[28:29], s[36:37]
; %bb.5683:                             ;   in Loop: Header=BB4_5010 Depth=4
	v_or_b32_e32 v35, 0x7e, v42
; %bb.5684:                             ;   in Loop: Header=BB4_5010 Depth=4
	s_or_b64 exec, exec, s[28:29]
                                        ; implicit-def: $vgpr14
.LBB4_5685:                             ;   in Loop: Header=BB4_5010 Depth=4
	s_andn2_saveexec_b64 s[28:29], s[34:35]
; %bb.5686:                             ;   in Loop: Header=BB4_5010 Depth=4
	v_or_b32_sdwa v35, v14, s68 dst_sel:DWORD dst_unused:UNUSED_PAD src0_sel:BYTE_3 src1_sel:DWORD
; %bb.5687:                             ;   in Loop: Header=BB4_5010 Depth=4
	s_or_b64 exec, exec, s[28:29]
	v_and_b32_e32 v2, 0xff, v34
	v_cmp_ne_u16_e32 vcc, 0, v2
	v_mov_b32_e32 v14, 0
	v_mov_b32_e32 v15, 0
	s_and_saveexec_b64 s[28:29], vcc
	s_cbranch_execz .LBB4_5693
; %bb.5688:                             ;   in Loop: Header=BB4_5010 Depth=4
	v_cmp_ne_u16_e32 vcc, s70, v2
	v_bfrev_b32_e32 v15, 1
	s_and_saveexec_b64 s[34:35], vcc
	s_cbranch_execz .LBB4_5692
; %bb.5689:                             ;   in Loop: Header=BB4_5010 Depth=4
	v_and_b32_e32 v40, 0x7f, v34
	v_cmp_ne_u32_e32 vcc, s68, v40
	v_mov_b32_e32 v15, 0x7f800001
	s_and_saveexec_b64 s[36:37], vcc
	s_cbranch_execz .LBB4_5691
; %bb.5690:                             ;   in Loop: Header=BB4_5010 Depth=4
	v_and_b32_e32 v15, 7, v2
	v_ffbh_u32_e32 v22, v15
	v_min_u32_e32 v33, 32, v22
	v_subrev_u32_e32 v22, 28, v33
	v_lshlrev_b64 v[22:23], v22, v[2:3]
	v_lshrrev_b32_e32 v32, 3, v40
	v_cmp_gt_u32_e32 vcc, 8, v40
	v_sub_u32_e32 v2, 29, v33
	v_and_b32_e32 v22, 7, v22
	v_cndmask_b32_e32 v2, v32, v2, vcc
	v_cndmask_b32_e32 v15, v15, v22, vcc
	v_lshlrev_b32_e32 v22, 24, v34
	v_lshlrev_b32_e32 v15, 20, v15
	v_and_b32_e32 v22, 0x80000000, v22
	v_lshl_add_u32 v2, v2, 23, v5
	v_or3_b32 v15, v22, v2, v15
.LBB4_5691:                             ;   in Loop: Header=BB4_5010 Depth=4
	s_or_b64 exec, exec, s[36:37]
.LBB4_5692:                             ;   in Loop: Header=BB4_5010 Depth=4
	s_or_b64 exec, exec, s[34:35]
.LBB4_5693:                             ;   in Loop: Header=BB4_5010 Depth=4
	s_or_b64 exec, exec, s[28:29]
	v_and_b32_e32 v2, 0xff, v55
	v_cmp_ne_u16_e32 vcc, 0, v2
	s_and_saveexec_b64 s[28:29], vcc
	s_cbranch_execz .LBB4_5699
; %bb.5694:                             ;   in Loop: Header=BB4_5010 Depth=4
	v_cmp_ne_u16_e32 vcc, s70, v2
	v_bfrev_b32_e32 v14, 1
	s_and_saveexec_b64 s[34:35], vcc
	s_cbranch_execz .LBB4_5698
; %bb.5695:                             ;   in Loop: Header=BB4_5010 Depth=4
	v_and_b32_e32 v34, 0x7f, v55
	v_cmp_ne_u32_e32 vcc, s68, v34
	v_mov_b32_e32 v14, 0x7f800001
	s_and_saveexec_b64 s[36:37], vcc
	s_cbranch_execz .LBB4_5697
; %bb.5696:                             ;   in Loop: Header=BB4_5010 Depth=4
	v_and_b32_e32 v14, 7, v2
	v_ffbh_u32_e32 v22, v14
	v_min_u32_e32 v33, 32, v22
	v_subrev_u32_e32 v22, 28, v33
	v_lshlrev_b64 v[22:23], v22, v[2:3]
	v_lshrrev_b32_e32 v32, 3, v34
	v_cmp_gt_u32_e32 vcc, 8, v34
	v_sub_u32_e32 v2, 29, v33
	v_and_b32_e32 v22, 7, v22
	v_cndmask_b32_e32 v2, v32, v2, vcc
	v_cndmask_b32_e32 v14, v14, v22, vcc
	v_lshlrev_b32_e32 v22, 24, v55
	v_lshlrev_b32_e32 v14, 20, v14
	v_and_b32_e32 v22, 0x80000000, v22
	v_lshl_add_u32 v2, v2, 23, v5
	v_or3_b32 v14, v22, v2, v14
.LBB4_5697:                             ;   in Loop: Header=BB4_5010 Depth=4
	s_or_b64 exec, exec, s[36:37]
.LBB4_5698:                             ;   in Loop: Header=BB4_5010 Depth=4
	s_or_b64 exec, exec, s[34:35]
.LBB4_5699:                             ;   in Loop: Header=BB4_5010 Depth=4
	s_or_b64 exec, exec, s[28:29]
	v_add_f32_e32 v14, v15, v14
	v_and_b32_e32 v2, 0x7f800000, v14
	v_cmp_ne_u64_e32 vcc, s[62:63], v[2:3]
                                        ; implicit-def: $vgpr34
	s_and_saveexec_b64 s[28:29], vcc
	s_xor_b64 s[34:35], exec, s[28:29]
	s_cbranch_execz .LBB4_5717
; %bb.5700:                             ;   in Loop: Header=BB4_5010 Depth=4
	v_and_b32_e32 v2, 0x7fffffff, v14
	v_cmp_gt_u64_e32 vcc, s[72:73], v[2:3]
	v_and_b32_sdwa v55, v14, s70 dst_sel:DWORD dst_unused:UNUSED_PAD src0_sel:BYTE_3 src1_sel:DWORD
                                        ; implicit-def: $vgpr34
	s_and_saveexec_b64 s[28:29], vcc
	s_xor_b64 s[36:37], exec, s[28:29]
	s_cbranch_execz .LBB4_5714
; %bb.5701:                             ;   in Loop: Header=BB4_5010 Depth=4
	v_cmp_ne_u32_e32 vcc, 0, v14
	v_mov_b32_e32 v34, 0
	s_and_saveexec_b64 s[38:39], vcc
	s_cbranch_execz .LBB4_5713
; %bb.5702:                             ;   in Loop: Header=BB4_5010 Depth=4
	v_bfe_u32 v34, v14, 23, 8
	v_and_b32_e32 v2, 0x7fffff, v14
	v_cmp_gt_u32_e64 s[28:29], s71, v34
	v_sub_u32_e32 v14, 0x79, v34
	v_cmp_eq_u32_e32 vcc, 0, v34
	v_cndmask_b32_e64 v14, 0, v14, s[28:29]
	v_mov_b32_e32 v22, 0x78
	v_cndmask_b32_e32 v42, v14, v22, vcc
	v_or_b32_e32 v15, 0x800000, v2
	v_add_u32_e32 v14, 20, v42
	v_cndmask_b32_e32 v2, v15, v2, vcc
	v_lshlrev_b64 v[14:15], v14, -1
	v_add_u32_e32 v22, 19, v42
	v_lshlrev_b64 v[22:23], v22, 1
	v_bfi_b32 v15, v15, 0, 0
	v_bfi_b32 v14, v14, 0, v2
	v_cmp_eq_u64_e64 s[28:29], v[14:15], v[22:23]
	v_lshrrev_b64 v[14:15], v42, v[2:3]
	v_mov_b32_e32 v41, v15
	v_mov_b32_e32 v40, v14
	s_and_saveexec_b64 s[48:49], s[28:29]
; %bb.5703:                             ;   in Loop: Header=BB4_5010 Depth=4
	v_bfe_u32 v2, v14, 20, 1
	v_add_co_u32_e64 v2, s[28:29], v14, v2
	v_add_co_u32_e64 v40, s[28:29], -1, v2
; %bb.5704:                             ;   in Loop: Header=BB4_5010 Depth=4
	s_or_b64 exec, exec, s[48:49]
	v_add_u32_e32 v2, 0xffffff81, v34
	v_mov_b32_e32 v15, 0xffffff82
	v_cndmask_b32_e32 v2, v2, v15, vcc
	v_lshrrev_b32_e32 v15, 23, v14
	v_add3_u32 v41, v42, v2, v15
	v_add_u32_e32 v34, 6, v41
	v_and_b32_e32 v2, 0xfffff, v40
	v_add_u32_e32 v2, v2, v14
	v_cmp_ne_u32_e32 vcc, 0, v34
                                        ; implicit-def: $vgpr14_vgpr15
                                        ; implicit-def: $vgpr40
	s_and_saveexec_b64 s[28:29], vcc
	s_xor_b64 s[28:29], exec, s[28:29]
; %bb.5705:                             ;   in Loop: Header=BB4_5010 Depth=4
	v_cmp_lt_u64_e32 vcc, s[74:75], v[2:3]
	v_add_u32_e32 v14, 7, v41
	v_cndmask_b32_e32 v40, v34, v14, vcc
	v_cndmask_b32_e64 v14, 0, 1, vcc
	v_lshrrev_b64 v[14:15], v14, v[2:3]
; %bb.5706:                             ;   in Loop: Header=BB4_5010 Depth=4
	s_andn2_saveexec_b64 s[28:29], s[28:29]
; %bb.5707:                             ;   in Loop: Header=BB4_5010 Depth=4
	v_mov_b32_e32 v15, v3
	v_bfe_u32 v40, v2, 23, 1
	v_mov_b32_e32 v14, v2
; %bb.5708:                             ;   in Loop: Header=BB4_5010 Depth=4
	s_or_b64 exec, exec, s[28:29]
	v_lshrrev_b64 v[14:15], 20, v[14:15]
	v_cmp_gt_i32_e32 vcc, 16, v40
	v_cndmask_b32_e32 v15, 0, v15, vcc
	v_cndmask_b32_e32 v14, 7, v14, vcc
	v_cmp_ne_u64_e32 vcc, 0, v[14:15]
	v_cmp_ne_u32_e64 s[28:29], 0, v40
	s_or_b64 s[28:29], s[28:29], vcc
                                        ; implicit-def: $vgpr34
	s_and_saveexec_b64 vcc, s[28:29]
	s_xor_b64 s[28:29], exec, vcc
; %bb.5709:                             ;   in Loop: Header=BB4_5010 Depth=4
	v_min_i32_e32 v2, 15, v40
	v_lshl_or_b32 v2, v2, 3, v55
	v_and_or_b32 v34, v14, 7, v2
                                        ; implicit-def: $vgpr55
; %bb.5710:                             ;   in Loop: Header=BB4_5010 Depth=4
	s_andn2_saveexec_b64 s[28:29], s[28:29]
; %bb.5711:                             ;   in Loop: Header=BB4_5010 Depth=4
	v_mov_b32_e32 v34, v55
; %bb.5712:                             ;   in Loop: Header=BB4_5010 Depth=4
	s_or_b64 exec, exec, s[28:29]
.LBB4_5713:                             ;   in Loop: Header=BB4_5010 Depth=4
	s_or_b64 exec, exec, s[38:39]
                                        ; implicit-def: $vgpr55
.LBB4_5714:                             ;   in Loop: Header=BB4_5010 Depth=4
	s_andn2_saveexec_b64 s[28:29], s[36:37]
; %bb.5715:                             ;   in Loop: Header=BB4_5010 Depth=4
	v_or_b32_e32 v34, 0x7e, v55
; %bb.5716:                             ;   in Loop: Header=BB4_5010 Depth=4
	s_or_b64 exec, exec, s[28:29]
                                        ; implicit-def: $vgpr14
.LBB4_5717:                             ;   in Loop: Header=BB4_5010 Depth=4
	s_andn2_saveexec_b64 s[28:29], s[34:35]
; %bb.5718:                             ;   in Loop: Header=BB4_5010 Depth=4
	v_or_b32_sdwa v34, v14, s68 dst_sel:DWORD dst_unused:UNUSED_PAD src0_sel:BYTE_3 src1_sel:DWORD
; %bb.5719:                             ;   in Loop: Header=BB4_5010 Depth=4
	s_or_b64 exec, exec, s[28:29]
	v_and_b32_e32 v2, 0xff, v29
	v_cmp_ne_u16_e32 vcc, 0, v2
	v_mov_b32_e32 v14, 0
	v_mov_b32_e32 v15, 0
	s_and_saveexec_b64 s[28:29], vcc
	s_cbranch_execz .LBB4_5725
; %bb.5720:                             ;   in Loop: Header=BB4_5010 Depth=4
	v_cmp_ne_u16_e32 vcc, s70, v2
	v_bfrev_b32_e32 v15, 1
	s_and_saveexec_b64 s[34:35], vcc
	s_cbranch_execz .LBB4_5724
; %bb.5721:                             ;   in Loop: Header=BB4_5010 Depth=4
	v_and_b32_e32 v55, 0x7f, v29
	v_cmp_ne_u32_e32 vcc, s68, v55
	v_mov_b32_e32 v15, 0x7f800001
	s_and_saveexec_b64 s[36:37], vcc
	s_cbranch_execz .LBB4_5723
; %bb.5722:                             ;   in Loop: Header=BB4_5010 Depth=4
	v_and_b32_e32 v15, 7, v2
	v_ffbh_u32_e32 v22, v15
	v_min_u32_e32 v33, 32, v22
	v_subrev_u32_e32 v22, 28, v33
	v_lshlrev_b64 v[22:23], v22, v[2:3]
	v_lshrrev_b32_e32 v32, 3, v55
	v_cmp_gt_u32_e32 vcc, 8, v55
	v_sub_u32_e32 v2, 29, v33
	v_and_b32_e32 v22, 7, v22
	v_cndmask_b32_e32 v2, v32, v2, vcc
	v_cndmask_b32_e32 v15, v15, v22, vcc
	v_lshlrev_b32_e32 v22, 24, v29
	v_lshlrev_b32_e32 v15, 20, v15
	v_and_b32_e32 v22, 0x80000000, v22
	v_lshl_add_u32 v2, v2, 23, v5
	v_or3_b32 v15, v22, v2, v15
.LBB4_5723:                             ;   in Loop: Header=BB4_5010 Depth=4
	s_or_b64 exec, exec, s[36:37]
.LBB4_5724:                             ;   in Loop: Header=BB4_5010 Depth=4
	s_or_b64 exec, exec, s[34:35]
.LBB4_5725:                             ;   in Loop: Header=BB4_5010 Depth=4
	s_or_b64 exec, exec, s[28:29]
	v_and_b32_e32 v2, 0xff, v54
	v_cmp_ne_u16_e32 vcc, 0, v2
	s_and_saveexec_b64 s[28:29], vcc
	s_cbranch_execz .LBB4_5731
; %bb.5726:                             ;   in Loop: Header=BB4_5010 Depth=4
	v_cmp_ne_u16_e32 vcc, s70, v2
	v_bfrev_b32_e32 v14, 1
	s_and_saveexec_b64 s[34:35], vcc
	s_cbranch_execz .LBB4_5730
; %bb.5727:                             ;   in Loop: Header=BB4_5010 Depth=4
	v_and_b32_e32 v29, 0x7f, v54
	v_cmp_ne_u32_e32 vcc, s68, v29
	v_mov_b32_e32 v14, 0x7f800001
	s_and_saveexec_b64 s[36:37], vcc
	s_cbranch_execz .LBB4_5729
; %bb.5728:                             ;   in Loop: Header=BB4_5010 Depth=4
	v_and_b32_e32 v14, 7, v2
	v_ffbh_u32_e32 v22, v14
	v_lshrrev_b32_e32 v32, 3, v29
	v_cmp_gt_u32_e32 vcc, 8, v29
	v_min_u32_e32 v29, 32, v22
	v_subrev_u32_e32 v22, 28, v29
	v_lshlrev_b64 v[22:23], v22, v[2:3]
	v_sub_u32_e32 v2, 29, v29
	v_and_b32_e32 v22, 7, v22
	v_cndmask_b32_e32 v2, v32, v2, vcc
	v_cndmask_b32_e32 v14, v14, v22, vcc
	v_lshlrev_b32_e32 v22, 24, v54
	v_lshlrev_b32_e32 v14, 20, v14
	v_and_b32_e32 v22, 0x80000000, v22
	v_lshl_add_u32 v2, v2, 23, v5
	v_or3_b32 v14, v22, v2, v14
.LBB4_5729:                             ;   in Loop: Header=BB4_5010 Depth=4
	s_or_b64 exec, exec, s[36:37]
.LBB4_5730:                             ;   in Loop: Header=BB4_5010 Depth=4
	s_or_b64 exec, exec, s[34:35]
.LBB4_5731:                             ;   in Loop: Header=BB4_5010 Depth=4
	s_or_b64 exec, exec, s[28:29]
	v_add_f32_e32 v14, v15, v14
	v_and_b32_e32 v2, 0x7f800000, v14
	v_cmp_ne_u64_e32 vcc, s[62:63], v[2:3]
                                        ; implicit-def: $vgpr29
	s_and_saveexec_b64 s[28:29], vcc
	s_xor_b64 s[34:35], exec, s[28:29]
	s_cbranch_execz .LBB4_5749
; %bb.5732:                             ;   in Loop: Header=BB4_5010 Depth=4
	v_and_b32_e32 v2, 0x7fffffff, v14
	v_cmp_gt_u64_e32 vcc, s[72:73], v[2:3]
	v_and_b32_sdwa v54, v14, s70 dst_sel:DWORD dst_unused:UNUSED_PAD src0_sel:BYTE_3 src1_sel:DWORD
                                        ; implicit-def: $vgpr29
	s_and_saveexec_b64 s[28:29], vcc
	s_xor_b64 s[36:37], exec, s[28:29]
	s_cbranch_execz .LBB4_5746
; %bb.5733:                             ;   in Loop: Header=BB4_5010 Depth=4
	v_cmp_ne_u32_e32 vcc, 0, v14
	v_mov_b32_e32 v29, 0
	s_and_saveexec_b64 s[38:39], vcc
	s_cbranch_execz .LBB4_5745
; %bb.5734:                             ;   in Loop: Header=BB4_5010 Depth=4
	v_bfe_u32 v29, v14, 23, 8
	v_and_b32_e32 v2, 0x7fffff, v14
	v_cmp_gt_u32_e64 s[28:29], s71, v29
	v_sub_u32_e32 v14, 0x79, v29
	v_cmp_eq_u32_e32 vcc, 0, v29
	v_cndmask_b32_e64 v14, 0, v14, s[28:29]
	v_mov_b32_e32 v22, 0x78
	v_cndmask_b32_e32 v55, v14, v22, vcc
	v_or_b32_e32 v15, 0x800000, v2
	v_add_u32_e32 v14, 20, v55
	v_cndmask_b32_e32 v2, v15, v2, vcc
	v_lshlrev_b64 v[14:15], v14, -1
	v_add_u32_e32 v22, 19, v55
	v_lshlrev_b64 v[22:23], v22, 1
	v_bfi_b32 v15, v15, 0, 0
	v_bfi_b32 v14, v14, 0, v2
	v_cmp_eq_u64_e64 s[28:29], v[14:15], v[22:23]
	v_lshrrev_b64 v[14:15], v55, v[2:3]
	v_mov_b32_e32 v41, v15
	v_mov_b32_e32 v40, v14
	s_and_saveexec_b64 s[48:49], s[28:29]
; %bb.5735:                             ;   in Loop: Header=BB4_5010 Depth=4
	v_bfe_u32 v2, v14, 20, 1
	v_add_co_u32_e64 v2, s[28:29], v14, v2
	v_add_co_u32_e64 v40, s[28:29], -1, v2
; %bb.5736:                             ;   in Loop: Header=BB4_5010 Depth=4
	s_or_b64 exec, exec, s[48:49]
	v_add_u32_e32 v2, 0xffffff81, v29
	v_mov_b32_e32 v15, 0xffffff82
	v_cndmask_b32_e32 v2, v2, v15, vcc
	v_lshrrev_b32_e32 v15, 23, v14
	v_add3_u32 v41, v55, v2, v15
	v_add_u32_e32 v29, 6, v41
	v_and_b32_e32 v2, 0xfffff, v40
	v_add_u32_e32 v2, v2, v14
	v_cmp_ne_u32_e32 vcc, 0, v29
                                        ; implicit-def: $vgpr14_vgpr15
                                        ; implicit-def: $vgpr55
	s_and_saveexec_b64 s[28:29], vcc
	s_xor_b64 s[28:29], exec, s[28:29]
; %bb.5737:                             ;   in Loop: Header=BB4_5010 Depth=4
	v_cmp_lt_u64_e32 vcc, s[74:75], v[2:3]
	v_add_u32_e32 v14, 7, v41
	v_cndmask_b32_e32 v55, v29, v14, vcc
	v_cndmask_b32_e64 v14, 0, 1, vcc
	v_lshrrev_b64 v[14:15], v14, v[2:3]
; %bb.5738:                             ;   in Loop: Header=BB4_5010 Depth=4
	s_andn2_saveexec_b64 s[28:29], s[28:29]
; %bb.5739:                             ;   in Loop: Header=BB4_5010 Depth=4
	v_mov_b32_e32 v15, v3
	v_bfe_u32 v55, v2, 23, 1
	v_mov_b32_e32 v14, v2
; %bb.5740:                             ;   in Loop: Header=BB4_5010 Depth=4
	s_or_b64 exec, exec, s[28:29]
	v_lshrrev_b64 v[14:15], 20, v[14:15]
	v_cmp_gt_i32_e32 vcc, 16, v55
	v_cndmask_b32_e32 v15, 0, v15, vcc
	v_cndmask_b32_e32 v14, 7, v14, vcc
	v_cmp_ne_u64_e32 vcc, 0, v[14:15]
	v_cmp_ne_u32_e64 s[28:29], 0, v55
	s_or_b64 s[28:29], s[28:29], vcc
                                        ; implicit-def: $vgpr29
	s_and_saveexec_b64 vcc, s[28:29]
	s_xor_b64 s[28:29], exec, vcc
; %bb.5741:                             ;   in Loop: Header=BB4_5010 Depth=4
	v_min_i32_e32 v2, 15, v55
	v_lshl_or_b32 v2, v2, 3, v54
	v_and_or_b32 v29, v14, 7, v2
                                        ; implicit-def: $vgpr54
; %bb.5742:                             ;   in Loop: Header=BB4_5010 Depth=4
	s_andn2_saveexec_b64 s[28:29], s[28:29]
; %bb.5743:                             ;   in Loop: Header=BB4_5010 Depth=4
	v_mov_b32_e32 v29, v54
; %bb.5744:                             ;   in Loop: Header=BB4_5010 Depth=4
	s_or_b64 exec, exec, s[28:29]
.LBB4_5745:                             ;   in Loop: Header=BB4_5010 Depth=4
	s_or_b64 exec, exec, s[38:39]
                                        ; implicit-def: $vgpr54
.LBB4_5746:                             ;   in Loop: Header=BB4_5010 Depth=4
	s_andn2_saveexec_b64 s[28:29], s[36:37]
; %bb.5747:                             ;   in Loop: Header=BB4_5010 Depth=4
	v_or_b32_e32 v29, 0x7e, v54
; %bb.5748:                             ;   in Loop: Header=BB4_5010 Depth=4
	s_or_b64 exec, exec, s[28:29]
                                        ; implicit-def: $vgpr14
.LBB4_5749:                             ;   in Loop: Header=BB4_5010 Depth=4
	s_andn2_saveexec_b64 s[28:29], s[34:35]
; %bb.5750:                             ;   in Loop: Header=BB4_5010 Depth=4
	v_or_b32_sdwa v29, v14, s68 dst_sel:DWORD dst_unused:UNUSED_PAD src0_sel:BYTE_3 src1_sel:DWORD
; %bb.5751:                             ;   in Loop: Header=BB4_5010 Depth=4
	s_or_b64 exec, exec, s[28:29]
	v_and_b32_e32 v2, 0xff, v28
	v_cmp_ne_u16_e32 vcc, 0, v2
	v_mov_b32_e32 v14, 0
	v_mov_b32_e32 v15, 0
	s_and_saveexec_b64 s[28:29], vcc
	s_cbranch_execz .LBB4_5757
; %bb.5752:                             ;   in Loop: Header=BB4_5010 Depth=4
	v_cmp_ne_u16_e32 vcc, s70, v2
	v_bfrev_b32_e32 v15, 1
	s_and_saveexec_b64 s[34:35], vcc
	s_cbranch_execz .LBB4_5756
; %bb.5753:                             ;   in Loop: Header=BB4_5010 Depth=4
	v_and_b32_e32 v54, 0x7f, v28
	v_cmp_ne_u32_e32 vcc, s68, v54
	v_mov_b32_e32 v15, 0x7f800001
	s_and_saveexec_b64 s[36:37], vcc
	s_cbranch_execz .LBB4_5755
; %bb.5754:                             ;   in Loop: Header=BB4_5010 Depth=4
	v_and_b32_e32 v15, 7, v2
	v_ffbh_u32_e32 v22, v15
	v_min_u32_e32 v33, 32, v22
	v_subrev_u32_e32 v22, 28, v33
	v_lshlrev_b64 v[22:23], v22, v[2:3]
	v_lshrrev_b32_e32 v32, 3, v54
	v_cmp_gt_u32_e32 vcc, 8, v54
	v_sub_u32_e32 v2, 29, v33
	v_and_b32_e32 v22, 7, v22
	v_cndmask_b32_e32 v2, v32, v2, vcc
	v_cndmask_b32_e32 v15, v15, v22, vcc
	v_lshlrev_b32_e32 v22, 24, v28
	v_lshlrev_b32_e32 v15, 20, v15
	v_and_b32_e32 v22, 0x80000000, v22
	v_lshl_add_u32 v2, v2, 23, v5
	v_or3_b32 v15, v22, v2, v15
.LBB4_5755:                             ;   in Loop: Header=BB4_5010 Depth=4
	s_or_b64 exec, exec, s[36:37]
.LBB4_5756:                             ;   in Loop: Header=BB4_5010 Depth=4
	s_or_b64 exec, exec, s[34:35]
.LBB4_5757:                             ;   in Loop: Header=BB4_5010 Depth=4
	s_or_b64 exec, exec, s[28:29]
	v_and_b32_e32 v2, 0xff, v53
	v_cmp_ne_u16_e32 vcc, 0, v2
	s_and_saveexec_b64 s[28:29], vcc
	s_cbranch_execz .LBB4_5763
; %bb.5758:                             ;   in Loop: Header=BB4_5010 Depth=4
	v_cmp_ne_u16_e32 vcc, s70, v2
	v_bfrev_b32_e32 v14, 1
	s_and_saveexec_b64 s[34:35], vcc
	s_cbranch_execz .LBB4_5762
; %bb.5759:                             ;   in Loop: Header=BB4_5010 Depth=4
	v_and_b32_e32 v28, 0x7f, v53
	v_cmp_ne_u32_e32 vcc, s68, v28
	v_mov_b32_e32 v14, 0x7f800001
	s_and_saveexec_b64 s[36:37], vcc
	s_cbranch_execz .LBB4_5761
; %bb.5760:                             ;   in Loop: Header=BB4_5010 Depth=4
	v_and_b32_e32 v14, 7, v2
	v_ffbh_u32_e32 v22, v14
	v_lshrrev_b32_e32 v32, 3, v28
	v_cmp_gt_u32_e32 vcc, 8, v28
	v_min_u32_e32 v28, 32, v22
	v_subrev_u32_e32 v22, 28, v28
	v_lshlrev_b64 v[22:23], v22, v[2:3]
	v_sub_u32_e32 v2, 29, v28
	v_and_b32_e32 v22, 7, v22
	v_cndmask_b32_e32 v2, v32, v2, vcc
	v_cndmask_b32_e32 v14, v14, v22, vcc
	v_lshlrev_b32_e32 v22, 24, v53
	v_lshlrev_b32_e32 v14, 20, v14
	v_and_b32_e32 v22, 0x80000000, v22
	v_lshl_add_u32 v2, v2, 23, v5
	v_or3_b32 v14, v22, v2, v14
.LBB4_5761:                             ;   in Loop: Header=BB4_5010 Depth=4
	s_or_b64 exec, exec, s[36:37]
.LBB4_5762:                             ;   in Loop: Header=BB4_5010 Depth=4
	s_or_b64 exec, exec, s[34:35]
.LBB4_5763:                             ;   in Loop: Header=BB4_5010 Depth=4
	s_or_b64 exec, exec, s[28:29]
	v_add_f32_e32 v14, v15, v14
	v_and_b32_e32 v2, 0x7f800000, v14
	v_cmp_ne_u64_e32 vcc, s[62:63], v[2:3]
                                        ; implicit-def: $vgpr28
	s_and_saveexec_b64 s[28:29], vcc
	s_xor_b64 s[34:35], exec, s[28:29]
	s_cbranch_execz .LBB4_5781
; %bb.5764:                             ;   in Loop: Header=BB4_5010 Depth=4
	v_and_b32_e32 v2, 0x7fffffff, v14
	v_cmp_gt_u64_e32 vcc, s[72:73], v[2:3]
	v_and_b32_sdwa v53, v14, s70 dst_sel:DWORD dst_unused:UNUSED_PAD src0_sel:BYTE_3 src1_sel:DWORD
                                        ; implicit-def: $vgpr28
	s_and_saveexec_b64 s[28:29], vcc
	s_xor_b64 s[36:37], exec, s[28:29]
	s_cbranch_execz .LBB4_5778
; %bb.5765:                             ;   in Loop: Header=BB4_5010 Depth=4
	v_cmp_ne_u32_e32 vcc, 0, v14
	v_mov_b32_e32 v28, 0
	s_and_saveexec_b64 s[38:39], vcc
	s_cbranch_execz .LBB4_5777
; %bb.5766:                             ;   in Loop: Header=BB4_5010 Depth=4
	v_bfe_u32 v28, v14, 23, 8
	v_and_b32_e32 v2, 0x7fffff, v14
	v_cmp_gt_u32_e64 s[28:29], s71, v28
	v_sub_u32_e32 v14, 0x79, v28
	v_cmp_eq_u32_e32 vcc, 0, v28
	v_cndmask_b32_e64 v14, 0, v14, s[28:29]
	v_mov_b32_e32 v22, 0x78
	v_cndmask_b32_e32 v54, v14, v22, vcc
	v_or_b32_e32 v15, 0x800000, v2
	v_add_u32_e32 v14, 20, v54
	v_cndmask_b32_e32 v2, v15, v2, vcc
	v_lshlrev_b64 v[14:15], v14, -1
	v_add_u32_e32 v22, 19, v54
	v_lshlrev_b64 v[22:23], v22, 1
	v_bfi_b32 v15, v15, 0, 0
	v_bfi_b32 v14, v14, 0, v2
	v_cmp_eq_u64_e64 s[28:29], v[14:15], v[22:23]
	v_lshrrev_b64 v[14:15], v54, v[2:3]
	v_mov_b32_e32 v41, v15
	v_mov_b32_e32 v40, v14
	s_and_saveexec_b64 s[48:49], s[28:29]
; %bb.5767:                             ;   in Loop: Header=BB4_5010 Depth=4
	v_bfe_u32 v2, v14, 20, 1
	v_add_co_u32_e64 v2, s[28:29], v14, v2
	v_add_co_u32_e64 v40, s[28:29], -1, v2
; %bb.5768:                             ;   in Loop: Header=BB4_5010 Depth=4
	s_or_b64 exec, exec, s[48:49]
	v_add_u32_e32 v2, 0xffffff81, v28
	v_mov_b32_e32 v15, 0xffffff82
	v_cndmask_b32_e32 v2, v2, v15, vcc
	v_lshrrev_b32_e32 v15, 23, v14
	v_add3_u32 v55, v54, v2, v15
	v_add_u32_e32 v28, 6, v55
	v_and_b32_e32 v2, 0xfffff, v40
	v_add_u32_e32 v2, v2, v14
	v_cmp_ne_u32_e32 vcc, 0, v28
                                        ; implicit-def: $vgpr14_vgpr15
                                        ; implicit-def: $vgpr54
	s_and_saveexec_b64 s[28:29], vcc
	s_xor_b64 s[28:29], exec, s[28:29]
; %bb.5769:                             ;   in Loop: Header=BB4_5010 Depth=4
	v_cmp_lt_u64_e32 vcc, s[74:75], v[2:3]
	v_add_u32_e32 v14, 7, v55
	v_cndmask_b32_e32 v54, v28, v14, vcc
	v_cndmask_b32_e64 v14, 0, 1, vcc
	v_lshrrev_b64 v[14:15], v14, v[2:3]
; %bb.5770:                             ;   in Loop: Header=BB4_5010 Depth=4
	s_andn2_saveexec_b64 s[28:29], s[28:29]
; %bb.5771:                             ;   in Loop: Header=BB4_5010 Depth=4
	v_mov_b32_e32 v15, v3
	v_bfe_u32 v54, v2, 23, 1
	v_mov_b32_e32 v14, v2
; %bb.5772:                             ;   in Loop: Header=BB4_5010 Depth=4
	s_or_b64 exec, exec, s[28:29]
	v_lshrrev_b64 v[14:15], 20, v[14:15]
	v_cmp_gt_i32_e32 vcc, 16, v54
	v_cndmask_b32_e32 v15, 0, v15, vcc
	v_cndmask_b32_e32 v14, 7, v14, vcc
	v_cmp_ne_u64_e32 vcc, 0, v[14:15]
	v_cmp_ne_u32_e64 s[28:29], 0, v54
	s_or_b64 s[28:29], s[28:29], vcc
                                        ; implicit-def: $vgpr28
	s_and_saveexec_b64 vcc, s[28:29]
	s_xor_b64 s[28:29], exec, vcc
; %bb.5773:                             ;   in Loop: Header=BB4_5010 Depth=4
	v_min_i32_e32 v2, 15, v54
	v_lshl_or_b32 v2, v2, 3, v53
	v_and_or_b32 v28, v14, 7, v2
                                        ; implicit-def: $vgpr53
; %bb.5774:                             ;   in Loop: Header=BB4_5010 Depth=4
	s_andn2_saveexec_b64 s[28:29], s[28:29]
; %bb.5775:                             ;   in Loop: Header=BB4_5010 Depth=4
	v_mov_b32_e32 v28, v53
; %bb.5776:                             ;   in Loop: Header=BB4_5010 Depth=4
	s_or_b64 exec, exec, s[28:29]
.LBB4_5777:                             ;   in Loop: Header=BB4_5010 Depth=4
	s_or_b64 exec, exec, s[38:39]
                                        ; implicit-def: $vgpr53
.LBB4_5778:                             ;   in Loop: Header=BB4_5010 Depth=4
	s_andn2_saveexec_b64 s[28:29], s[36:37]
; %bb.5779:                             ;   in Loop: Header=BB4_5010 Depth=4
	v_or_b32_e32 v28, 0x7e, v53
; %bb.5780:                             ;   in Loop: Header=BB4_5010 Depth=4
	s_or_b64 exec, exec, s[28:29]
                                        ; implicit-def: $vgpr14
.LBB4_5781:                             ;   in Loop: Header=BB4_5010 Depth=4
	s_andn2_saveexec_b64 s[28:29], s[34:35]
; %bb.5782:                             ;   in Loop: Header=BB4_5010 Depth=4
	v_or_b32_sdwa v28, v14, s68 dst_sel:DWORD dst_unused:UNUSED_PAD src0_sel:BYTE_3 src1_sel:DWORD
; %bb.5783:                             ;   in Loop: Header=BB4_5010 Depth=4
	s_or_b64 exec, exec, s[28:29]
	v_and_b32_e32 v2, 0xff, v27
	v_cmp_ne_u16_e32 vcc, 0, v2
	v_mov_b32_e32 v14, 0
	v_mov_b32_e32 v15, 0
	s_and_saveexec_b64 s[28:29], vcc
	s_cbranch_execz .LBB4_5789
; %bb.5784:                             ;   in Loop: Header=BB4_5010 Depth=4
	v_cmp_ne_u16_e32 vcc, s70, v2
	v_bfrev_b32_e32 v15, 1
	s_and_saveexec_b64 s[34:35], vcc
	s_cbranch_execz .LBB4_5788
; %bb.5785:                             ;   in Loop: Header=BB4_5010 Depth=4
	v_and_b32_e32 v53, 0x7f, v27
	v_cmp_ne_u32_e32 vcc, s68, v53
	v_mov_b32_e32 v15, 0x7f800001
	s_and_saveexec_b64 s[36:37], vcc
	s_cbranch_execz .LBB4_5787
; %bb.5786:                             ;   in Loop: Header=BB4_5010 Depth=4
	v_and_b32_e32 v15, 7, v2
	v_ffbh_u32_e32 v22, v15
	v_min_u32_e32 v33, 32, v22
	v_subrev_u32_e32 v22, 28, v33
	v_lshlrev_b64 v[22:23], v22, v[2:3]
	v_lshrrev_b32_e32 v32, 3, v53
	v_cmp_gt_u32_e32 vcc, 8, v53
	v_sub_u32_e32 v2, 29, v33
	v_and_b32_e32 v22, 7, v22
	v_cndmask_b32_e32 v2, v32, v2, vcc
	v_cndmask_b32_e32 v15, v15, v22, vcc
	v_lshlrev_b32_e32 v22, 24, v27
	v_lshlrev_b32_e32 v15, 20, v15
	v_and_b32_e32 v22, 0x80000000, v22
	v_lshl_add_u32 v2, v2, 23, v5
	v_or3_b32 v15, v22, v2, v15
.LBB4_5787:                             ;   in Loop: Header=BB4_5010 Depth=4
	s_or_b64 exec, exec, s[36:37]
.LBB4_5788:                             ;   in Loop: Header=BB4_5010 Depth=4
	s_or_b64 exec, exec, s[34:35]
.LBB4_5789:                             ;   in Loop: Header=BB4_5010 Depth=4
	s_or_b64 exec, exec, s[28:29]
	v_and_b32_e32 v2, 0xff, v51
	v_cmp_ne_u16_e32 vcc, 0, v2
	s_and_saveexec_b64 s[28:29], vcc
	s_cbranch_execz .LBB4_5795
; %bb.5790:                             ;   in Loop: Header=BB4_5010 Depth=4
	v_cmp_ne_u16_e32 vcc, s70, v2
	v_bfrev_b32_e32 v14, 1
	s_and_saveexec_b64 s[34:35], vcc
	s_cbranch_execz .LBB4_5794
; %bb.5791:                             ;   in Loop: Header=BB4_5010 Depth=4
	v_and_b32_e32 v27, 0x7f, v51
	v_cmp_ne_u32_e32 vcc, s68, v27
	v_mov_b32_e32 v14, 0x7f800001
	s_and_saveexec_b64 s[36:37], vcc
	s_cbranch_execz .LBB4_5793
; %bb.5792:                             ;   in Loop: Header=BB4_5010 Depth=4
	v_and_b32_e32 v14, 7, v2
	v_ffbh_u32_e32 v22, v14
	v_lshrrev_b32_e32 v32, 3, v27
	v_cmp_gt_u32_e32 vcc, 8, v27
	v_min_u32_e32 v27, 32, v22
	v_subrev_u32_e32 v22, 28, v27
	v_lshlrev_b64 v[22:23], v22, v[2:3]
	v_sub_u32_e32 v2, 29, v27
	v_and_b32_e32 v22, 7, v22
	v_cndmask_b32_e32 v2, v32, v2, vcc
	v_cndmask_b32_e32 v14, v14, v22, vcc
	v_lshlrev_b32_e32 v22, 24, v51
	v_lshlrev_b32_e32 v14, 20, v14
	v_and_b32_e32 v22, 0x80000000, v22
	v_lshl_add_u32 v2, v2, 23, v5
	v_or3_b32 v14, v22, v2, v14
.LBB4_5793:                             ;   in Loop: Header=BB4_5010 Depth=4
	s_or_b64 exec, exec, s[36:37]
.LBB4_5794:                             ;   in Loop: Header=BB4_5010 Depth=4
	s_or_b64 exec, exec, s[34:35]
.LBB4_5795:                             ;   in Loop: Header=BB4_5010 Depth=4
	s_or_b64 exec, exec, s[28:29]
	v_add_f32_e32 v14, v15, v14
	v_and_b32_e32 v2, 0x7f800000, v14
	v_cmp_ne_u64_e32 vcc, s[62:63], v[2:3]
                                        ; implicit-def: $vgpr27
	s_and_saveexec_b64 s[28:29], vcc
	s_xor_b64 s[34:35], exec, s[28:29]
	s_cbranch_execz .LBB4_5813
; %bb.5796:                             ;   in Loop: Header=BB4_5010 Depth=4
	v_and_b32_e32 v2, 0x7fffffff, v14
	v_cmp_gt_u64_e32 vcc, s[72:73], v[2:3]
	v_and_b32_sdwa v51, v14, s70 dst_sel:DWORD dst_unused:UNUSED_PAD src0_sel:BYTE_3 src1_sel:DWORD
                                        ; implicit-def: $vgpr27
	s_and_saveexec_b64 s[28:29], vcc
	s_xor_b64 s[36:37], exec, s[28:29]
	s_cbranch_execz .LBB4_5810
; %bb.5797:                             ;   in Loop: Header=BB4_5010 Depth=4
	v_cmp_ne_u32_e32 vcc, 0, v14
	v_mov_b32_e32 v27, 0
	s_and_saveexec_b64 s[38:39], vcc
	s_cbranch_execz .LBB4_5809
; %bb.5798:                             ;   in Loop: Header=BB4_5010 Depth=4
	v_bfe_u32 v27, v14, 23, 8
	v_and_b32_e32 v2, 0x7fffff, v14
	v_cmp_gt_u32_e64 s[28:29], s71, v27
	v_sub_u32_e32 v14, 0x79, v27
	v_cmp_eq_u32_e32 vcc, 0, v27
	v_cndmask_b32_e64 v14, 0, v14, s[28:29]
	v_mov_b32_e32 v22, 0x78
	v_cndmask_b32_e32 v53, v14, v22, vcc
	v_or_b32_e32 v15, 0x800000, v2
	v_add_u32_e32 v14, 20, v53
	v_cndmask_b32_e32 v2, v15, v2, vcc
	v_lshlrev_b64 v[14:15], v14, -1
	v_add_u32_e32 v22, 19, v53
	v_lshlrev_b64 v[22:23], v22, 1
	v_bfi_b32 v15, v15, 0, 0
	v_bfi_b32 v14, v14, 0, v2
	v_cmp_eq_u64_e64 s[28:29], v[14:15], v[22:23]
	v_lshrrev_b64 v[14:15], v53, v[2:3]
	v_mov_b32_e32 v41, v15
	v_mov_b32_e32 v40, v14
	s_and_saveexec_b64 s[48:49], s[28:29]
; %bb.5799:                             ;   in Loop: Header=BB4_5010 Depth=4
	v_bfe_u32 v2, v14, 20, 1
	v_add_co_u32_e64 v2, s[28:29], v14, v2
	v_add_co_u32_e64 v40, s[28:29], -1, v2
; %bb.5800:                             ;   in Loop: Header=BB4_5010 Depth=4
	s_or_b64 exec, exec, s[48:49]
	v_add_u32_e32 v2, 0xffffff81, v27
	v_mov_b32_e32 v15, 0xffffff82
	v_cndmask_b32_e32 v2, v2, v15, vcc
	v_lshrrev_b32_e32 v15, 23, v14
	v_add3_u32 v54, v53, v2, v15
	v_add_u32_e32 v27, 6, v54
	v_and_b32_e32 v2, 0xfffff, v40
	v_add_u32_e32 v2, v2, v14
	v_cmp_ne_u32_e32 vcc, 0, v27
                                        ; implicit-def: $vgpr14_vgpr15
                                        ; implicit-def: $vgpr53
	s_and_saveexec_b64 s[28:29], vcc
	s_xor_b64 s[28:29], exec, s[28:29]
; %bb.5801:                             ;   in Loop: Header=BB4_5010 Depth=4
	v_cmp_lt_u64_e32 vcc, s[74:75], v[2:3]
	v_add_u32_e32 v14, 7, v54
	v_cndmask_b32_e32 v53, v27, v14, vcc
	v_cndmask_b32_e64 v14, 0, 1, vcc
	v_lshrrev_b64 v[14:15], v14, v[2:3]
; %bb.5802:                             ;   in Loop: Header=BB4_5010 Depth=4
	s_andn2_saveexec_b64 s[28:29], s[28:29]
; %bb.5803:                             ;   in Loop: Header=BB4_5010 Depth=4
	v_mov_b32_e32 v15, v3
	v_bfe_u32 v53, v2, 23, 1
	v_mov_b32_e32 v14, v2
; %bb.5804:                             ;   in Loop: Header=BB4_5010 Depth=4
	s_or_b64 exec, exec, s[28:29]
	v_lshrrev_b64 v[14:15], 20, v[14:15]
	v_cmp_gt_i32_e32 vcc, 16, v53
	v_cndmask_b32_e32 v15, 0, v15, vcc
	v_cndmask_b32_e32 v14, 7, v14, vcc
	v_cmp_ne_u64_e32 vcc, 0, v[14:15]
	v_cmp_ne_u32_e64 s[28:29], 0, v53
	s_or_b64 s[28:29], s[28:29], vcc
                                        ; implicit-def: $vgpr27
	s_and_saveexec_b64 vcc, s[28:29]
	s_xor_b64 s[28:29], exec, vcc
; %bb.5805:                             ;   in Loop: Header=BB4_5010 Depth=4
	v_min_i32_e32 v2, 15, v53
	v_lshl_or_b32 v2, v2, 3, v51
	v_and_or_b32 v27, v14, 7, v2
                                        ; implicit-def: $vgpr51
; %bb.5806:                             ;   in Loop: Header=BB4_5010 Depth=4
	s_andn2_saveexec_b64 s[28:29], s[28:29]
; %bb.5807:                             ;   in Loop: Header=BB4_5010 Depth=4
	v_mov_b32_e32 v27, v51
; %bb.5808:                             ;   in Loop: Header=BB4_5010 Depth=4
	s_or_b64 exec, exec, s[28:29]
.LBB4_5809:                             ;   in Loop: Header=BB4_5010 Depth=4
	s_or_b64 exec, exec, s[38:39]
                                        ; implicit-def: $vgpr51
.LBB4_5810:                             ;   in Loop: Header=BB4_5010 Depth=4
	s_andn2_saveexec_b64 s[28:29], s[36:37]
; %bb.5811:                             ;   in Loop: Header=BB4_5010 Depth=4
	v_or_b32_e32 v27, 0x7e, v51
; %bb.5812:                             ;   in Loop: Header=BB4_5010 Depth=4
	s_or_b64 exec, exec, s[28:29]
                                        ; implicit-def: $vgpr14
.LBB4_5813:                             ;   in Loop: Header=BB4_5010 Depth=4
	s_andn2_saveexec_b64 s[28:29], s[34:35]
; %bb.5814:                             ;   in Loop: Header=BB4_5010 Depth=4
	v_or_b32_sdwa v27, v14, s68 dst_sel:DWORD dst_unused:UNUSED_PAD src0_sel:BYTE_3 src1_sel:DWORD
; %bb.5815:                             ;   in Loop: Header=BB4_5010 Depth=4
	s_or_b64 exec, exec, s[28:29]
	v_and_b32_e32 v2, 0xff, v26
	v_cmp_ne_u16_e32 vcc, 0, v2
	v_mov_b32_e32 v14, 0
	v_mov_b32_e32 v15, 0
	s_and_saveexec_b64 s[28:29], vcc
	s_cbranch_execz .LBB4_5821
; %bb.5816:                             ;   in Loop: Header=BB4_5010 Depth=4
	v_cmp_ne_u16_e32 vcc, s70, v2
	v_bfrev_b32_e32 v15, 1
	s_and_saveexec_b64 s[34:35], vcc
	s_cbranch_execz .LBB4_5820
; %bb.5817:                             ;   in Loop: Header=BB4_5010 Depth=4
	v_and_b32_e32 v51, 0x7f, v26
	v_cmp_ne_u32_e32 vcc, s68, v51
	v_mov_b32_e32 v15, 0x7f800001
	s_and_saveexec_b64 s[36:37], vcc
	s_cbranch_execz .LBB4_5819
; %bb.5818:                             ;   in Loop: Header=BB4_5010 Depth=4
	v_and_b32_e32 v15, 7, v2
	v_ffbh_u32_e32 v22, v15
	v_min_u32_e32 v33, 32, v22
	v_subrev_u32_e32 v22, 28, v33
	v_lshlrev_b64 v[22:23], v22, v[2:3]
	v_lshrrev_b32_e32 v32, 3, v51
	v_cmp_gt_u32_e32 vcc, 8, v51
	v_sub_u32_e32 v2, 29, v33
	v_and_b32_e32 v22, 7, v22
	v_cndmask_b32_e32 v2, v32, v2, vcc
	v_cndmask_b32_e32 v15, v15, v22, vcc
	v_lshlrev_b32_e32 v22, 24, v26
	v_lshlrev_b32_e32 v15, 20, v15
	v_and_b32_e32 v22, 0x80000000, v22
	v_lshl_add_u32 v2, v2, 23, v5
	v_or3_b32 v15, v22, v2, v15
.LBB4_5819:                             ;   in Loop: Header=BB4_5010 Depth=4
	s_or_b64 exec, exec, s[36:37]
.LBB4_5820:                             ;   in Loop: Header=BB4_5010 Depth=4
	s_or_b64 exec, exec, s[34:35]
.LBB4_5821:                             ;   in Loop: Header=BB4_5010 Depth=4
	s_or_b64 exec, exec, s[28:29]
	v_and_b32_e32 v2, 0xff, v50
	v_cmp_ne_u16_e32 vcc, 0, v2
	s_and_saveexec_b64 s[28:29], vcc
	s_cbranch_execz .LBB4_5827
; %bb.5822:                             ;   in Loop: Header=BB4_5010 Depth=4
	v_cmp_ne_u16_e32 vcc, s70, v2
	v_bfrev_b32_e32 v14, 1
	s_and_saveexec_b64 s[34:35], vcc
	s_cbranch_execz .LBB4_5826
; %bb.5823:                             ;   in Loop: Header=BB4_5010 Depth=4
	v_and_b32_e32 v26, 0x7f, v50
	v_cmp_ne_u32_e32 vcc, s68, v26
	v_mov_b32_e32 v14, 0x7f800001
	s_and_saveexec_b64 s[36:37], vcc
	s_cbranch_execz .LBB4_5825
; %bb.5824:                             ;   in Loop: Header=BB4_5010 Depth=4
	v_and_b32_e32 v14, 7, v2
	v_ffbh_u32_e32 v22, v14
	v_lshrrev_b32_e32 v32, 3, v26
	v_cmp_gt_u32_e32 vcc, 8, v26
	v_min_u32_e32 v26, 32, v22
	v_subrev_u32_e32 v22, 28, v26
	v_lshlrev_b64 v[22:23], v22, v[2:3]
	v_sub_u32_e32 v2, 29, v26
	v_and_b32_e32 v22, 7, v22
	v_cndmask_b32_e32 v2, v32, v2, vcc
	v_cndmask_b32_e32 v14, v14, v22, vcc
	v_lshlrev_b32_e32 v22, 24, v50
	v_lshlrev_b32_e32 v14, 20, v14
	v_and_b32_e32 v22, 0x80000000, v22
	v_lshl_add_u32 v2, v2, 23, v5
	v_or3_b32 v14, v22, v2, v14
.LBB4_5825:                             ;   in Loop: Header=BB4_5010 Depth=4
	s_or_b64 exec, exec, s[36:37]
.LBB4_5826:                             ;   in Loop: Header=BB4_5010 Depth=4
	s_or_b64 exec, exec, s[34:35]
.LBB4_5827:                             ;   in Loop: Header=BB4_5010 Depth=4
	s_or_b64 exec, exec, s[28:29]
	v_add_f32_e32 v14, v15, v14
	v_and_b32_e32 v2, 0x7f800000, v14
	v_cmp_ne_u64_e32 vcc, s[62:63], v[2:3]
                                        ; implicit-def: $vgpr26
	s_and_saveexec_b64 s[28:29], vcc
	s_xor_b64 s[34:35], exec, s[28:29]
	s_cbranch_execz .LBB4_5845
; %bb.5828:                             ;   in Loop: Header=BB4_5010 Depth=4
	v_and_b32_e32 v2, 0x7fffffff, v14
	v_cmp_gt_u64_e32 vcc, s[72:73], v[2:3]
	v_and_b32_sdwa v50, v14, s70 dst_sel:DWORD dst_unused:UNUSED_PAD src0_sel:BYTE_3 src1_sel:DWORD
                                        ; implicit-def: $vgpr26
	s_and_saveexec_b64 s[28:29], vcc
	s_xor_b64 s[36:37], exec, s[28:29]
	s_cbranch_execz .LBB4_5842
; %bb.5829:                             ;   in Loop: Header=BB4_5010 Depth=4
	v_cmp_ne_u32_e32 vcc, 0, v14
	v_mov_b32_e32 v26, 0
	s_and_saveexec_b64 s[38:39], vcc
	s_cbranch_execz .LBB4_5841
; %bb.5830:                             ;   in Loop: Header=BB4_5010 Depth=4
	v_bfe_u32 v26, v14, 23, 8
	v_and_b32_e32 v2, 0x7fffff, v14
	v_cmp_gt_u32_e64 s[28:29], s71, v26
	v_sub_u32_e32 v14, 0x79, v26
	v_cmp_eq_u32_e32 vcc, 0, v26
	v_cndmask_b32_e64 v14, 0, v14, s[28:29]
	v_mov_b32_e32 v22, 0x78
	v_cndmask_b32_e32 v51, v14, v22, vcc
	v_or_b32_e32 v15, 0x800000, v2
	v_add_u32_e32 v14, 20, v51
	v_cndmask_b32_e32 v2, v15, v2, vcc
	v_lshlrev_b64 v[14:15], v14, -1
	v_add_u32_e32 v22, 19, v51
	v_lshlrev_b64 v[22:23], v22, 1
	v_bfi_b32 v15, v15, 0, 0
	v_bfi_b32 v14, v14, 0, v2
	v_cmp_eq_u64_e64 s[28:29], v[14:15], v[22:23]
	v_lshrrev_b64 v[14:15], v51, v[2:3]
	v_mov_b32_e32 v41, v15
	v_mov_b32_e32 v40, v14
	s_and_saveexec_b64 s[48:49], s[28:29]
; %bb.5831:                             ;   in Loop: Header=BB4_5010 Depth=4
	v_bfe_u32 v2, v14, 20, 1
	v_add_co_u32_e64 v2, s[28:29], v14, v2
	v_add_co_u32_e64 v40, s[28:29], -1, v2
; %bb.5832:                             ;   in Loop: Header=BB4_5010 Depth=4
	s_or_b64 exec, exec, s[48:49]
	v_add_u32_e32 v2, 0xffffff81, v26
	v_mov_b32_e32 v15, 0xffffff82
	v_cndmask_b32_e32 v2, v2, v15, vcc
	v_lshrrev_b32_e32 v15, 23, v14
	v_add3_u32 v53, v51, v2, v15
	v_add_u32_e32 v26, 6, v53
	v_and_b32_e32 v2, 0xfffff, v40
	v_add_u32_e32 v2, v2, v14
	v_cmp_ne_u32_e32 vcc, 0, v26
                                        ; implicit-def: $vgpr14_vgpr15
                                        ; implicit-def: $vgpr51
	s_and_saveexec_b64 s[28:29], vcc
	s_xor_b64 s[28:29], exec, s[28:29]
; %bb.5833:                             ;   in Loop: Header=BB4_5010 Depth=4
	v_cmp_lt_u64_e32 vcc, s[74:75], v[2:3]
	v_add_u32_e32 v14, 7, v53
	v_cndmask_b32_e32 v51, v26, v14, vcc
	v_cndmask_b32_e64 v14, 0, 1, vcc
	v_lshrrev_b64 v[14:15], v14, v[2:3]
; %bb.5834:                             ;   in Loop: Header=BB4_5010 Depth=4
	s_andn2_saveexec_b64 s[28:29], s[28:29]
; %bb.5835:                             ;   in Loop: Header=BB4_5010 Depth=4
	v_mov_b32_e32 v15, v3
	v_bfe_u32 v51, v2, 23, 1
	v_mov_b32_e32 v14, v2
; %bb.5836:                             ;   in Loop: Header=BB4_5010 Depth=4
	s_or_b64 exec, exec, s[28:29]
	v_lshrrev_b64 v[14:15], 20, v[14:15]
	v_cmp_gt_i32_e32 vcc, 16, v51
	v_cndmask_b32_e32 v15, 0, v15, vcc
	v_cndmask_b32_e32 v14, 7, v14, vcc
	v_cmp_ne_u64_e32 vcc, 0, v[14:15]
	v_cmp_ne_u32_e64 s[28:29], 0, v51
	s_or_b64 s[28:29], s[28:29], vcc
                                        ; implicit-def: $vgpr26
	s_and_saveexec_b64 vcc, s[28:29]
	s_xor_b64 s[28:29], exec, vcc
; %bb.5837:                             ;   in Loop: Header=BB4_5010 Depth=4
	v_min_i32_e32 v2, 15, v51
	v_lshl_or_b32 v2, v2, 3, v50
	v_and_or_b32 v26, v14, 7, v2
                                        ; implicit-def: $vgpr50
; %bb.5838:                             ;   in Loop: Header=BB4_5010 Depth=4
	s_andn2_saveexec_b64 s[28:29], s[28:29]
; %bb.5839:                             ;   in Loop: Header=BB4_5010 Depth=4
	v_mov_b32_e32 v26, v50
; %bb.5840:                             ;   in Loop: Header=BB4_5010 Depth=4
	s_or_b64 exec, exec, s[28:29]
.LBB4_5841:                             ;   in Loop: Header=BB4_5010 Depth=4
	s_or_b64 exec, exec, s[38:39]
                                        ; implicit-def: $vgpr50
.LBB4_5842:                             ;   in Loop: Header=BB4_5010 Depth=4
	s_andn2_saveexec_b64 s[28:29], s[36:37]
; %bb.5843:                             ;   in Loop: Header=BB4_5010 Depth=4
	v_or_b32_e32 v26, 0x7e, v50
; %bb.5844:                             ;   in Loop: Header=BB4_5010 Depth=4
	s_or_b64 exec, exec, s[28:29]
                                        ; implicit-def: $vgpr14
.LBB4_5845:                             ;   in Loop: Header=BB4_5010 Depth=4
	s_andn2_saveexec_b64 s[28:29], s[34:35]
; %bb.5846:                             ;   in Loop: Header=BB4_5010 Depth=4
	v_or_b32_sdwa v26, v14, s68 dst_sel:DWORD dst_unused:UNUSED_PAD src0_sel:BYTE_3 src1_sel:DWORD
; %bb.5847:                             ;   in Loop: Header=BB4_5010 Depth=4
	s_or_b64 exec, exec, s[28:29]
	v_and_b32_e32 v2, 0xff, v25
	v_cmp_ne_u16_e32 vcc, 0, v2
	v_mov_b32_e32 v14, 0
	v_mov_b32_e32 v15, 0
	s_and_saveexec_b64 s[28:29], vcc
	s_cbranch_execz .LBB4_5853
; %bb.5848:                             ;   in Loop: Header=BB4_5010 Depth=4
	v_cmp_ne_u16_e32 vcc, s70, v2
	v_bfrev_b32_e32 v15, 1
	s_and_saveexec_b64 s[34:35], vcc
	s_cbranch_execz .LBB4_5852
; %bb.5849:                             ;   in Loop: Header=BB4_5010 Depth=4
	v_and_b32_e32 v50, 0x7f, v25
	v_cmp_ne_u32_e32 vcc, s68, v50
	v_mov_b32_e32 v15, 0x7f800001
	s_and_saveexec_b64 s[36:37], vcc
	s_cbranch_execz .LBB4_5851
; %bb.5850:                             ;   in Loop: Header=BB4_5010 Depth=4
	v_and_b32_e32 v15, 7, v2
	v_ffbh_u32_e32 v22, v15
	v_min_u32_e32 v33, 32, v22
	v_subrev_u32_e32 v22, 28, v33
	v_lshlrev_b64 v[22:23], v22, v[2:3]
	v_lshrrev_b32_e32 v32, 3, v50
	v_cmp_gt_u32_e32 vcc, 8, v50
	v_sub_u32_e32 v2, 29, v33
	v_and_b32_e32 v22, 7, v22
	v_cndmask_b32_e32 v2, v32, v2, vcc
	v_cndmask_b32_e32 v15, v15, v22, vcc
	v_lshlrev_b32_e32 v22, 24, v25
	v_lshlrev_b32_e32 v15, 20, v15
	v_and_b32_e32 v22, 0x80000000, v22
	v_lshl_add_u32 v2, v2, 23, v5
	v_or3_b32 v15, v22, v2, v15
.LBB4_5851:                             ;   in Loop: Header=BB4_5010 Depth=4
	s_or_b64 exec, exec, s[36:37]
.LBB4_5852:                             ;   in Loop: Header=BB4_5010 Depth=4
	s_or_b64 exec, exec, s[34:35]
.LBB4_5853:                             ;   in Loop: Header=BB4_5010 Depth=4
	s_or_b64 exec, exec, s[28:29]
	v_and_b32_e32 v2, 0xff, v48
	v_cmp_ne_u16_e32 vcc, 0, v2
	s_and_saveexec_b64 s[28:29], vcc
	s_cbranch_execz .LBB4_5859
; %bb.5854:                             ;   in Loop: Header=BB4_5010 Depth=4
	v_cmp_ne_u16_e32 vcc, s70, v2
	v_bfrev_b32_e32 v14, 1
	s_and_saveexec_b64 s[34:35], vcc
	s_cbranch_execz .LBB4_5858
; %bb.5855:                             ;   in Loop: Header=BB4_5010 Depth=4
	v_and_b32_e32 v25, 0x7f, v48
	v_cmp_ne_u32_e32 vcc, s68, v25
	v_mov_b32_e32 v14, 0x7f800001
	s_and_saveexec_b64 s[36:37], vcc
	s_cbranch_execz .LBB4_5857
; %bb.5856:                             ;   in Loop: Header=BB4_5010 Depth=4
	v_and_b32_e32 v14, 7, v2
	v_ffbh_u32_e32 v22, v14
	v_lshrrev_b32_e32 v32, 3, v25
	v_cmp_gt_u32_e32 vcc, 8, v25
	v_min_u32_e32 v25, 32, v22
	v_subrev_u32_e32 v22, 28, v25
	v_lshlrev_b64 v[22:23], v22, v[2:3]
	v_sub_u32_e32 v2, 29, v25
	v_and_b32_e32 v22, 7, v22
	v_cndmask_b32_e32 v2, v32, v2, vcc
	v_cndmask_b32_e32 v14, v14, v22, vcc
	v_lshlrev_b32_e32 v22, 24, v48
	v_lshlrev_b32_e32 v14, 20, v14
	v_and_b32_e32 v22, 0x80000000, v22
	v_lshl_add_u32 v2, v2, 23, v5
	v_or3_b32 v14, v22, v2, v14
.LBB4_5857:                             ;   in Loop: Header=BB4_5010 Depth=4
	s_or_b64 exec, exec, s[36:37]
.LBB4_5858:                             ;   in Loop: Header=BB4_5010 Depth=4
	s_or_b64 exec, exec, s[34:35]
.LBB4_5859:                             ;   in Loop: Header=BB4_5010 Depth=4
	s_or_b64 exec, exec, s[28:29]
	v_add_f32_e32 v14, v15, v14
	v_and_b32_e32 v2, 0x7f800000, v14
	v_cmp_ne_u64_e32 vcc, s[62:63], v[2:3]
                                        ; implicit-def: $vgpr25
	s_and_saveexec_b64 s[28:29], vcc
	s_xor_b64 s[34:35], exec, s[28:29]
	s_cbranch_execz .LBB4_5877
; %bb.5860:                             ;   in Loop: Header=BB4_5010 Depth=4
	v_and_b32_e32 v2, 0x7fffffff, v14
	v_cmp_gt_u64_e32 vcc, s[72:73], v[2:3]
	v_and_b32_sdwa v48, v14, s70 dst_sel:DWORD dst_unused:UNUSED_PAD src0_sel:BYTE_3 src1_sel:DWORD
                                        ; implicit-def: $vgpr25
	s_and_saveexec_b64 s[28:29], vcc
	s_xor_b64 s[36:37], exec, s[28:29]
	s_cbranch_execz .LBB4_5874
; %bb.5861:                             ;   in Loop: Header=BB4_5010 Depth=4
	v_cmp_ne_u32_e32 vcc, 0, v14
	v_mov_b32_e32 v25, 0
	s_and_saveexec_b64 s[38:39], vcc
	s_cbranch_execz .LBB4_5873
; %bb.5862:                             ;   in Loop: Header=BB4_5010 Depth=4
	v_bfe_u32 v25, v14, 23, 8
	v_and_b32_e32 v2, 0x7fffff, v14
	v_cmp_gt_u32_e64 s[28:29], s71, v25
	v_sub_u32_e32 v14, 0x79, v25
	v_cmp_eq_u32_e32 vcc, 0, v25
	v_cndmask_b32_e64 v14, 0, v14, s[28:29]
	v_mov_b32_e32 v22, 0x78
	v_cndmask_b32_e32 v50, v14, v22, vcc
	v_or_b32_e32 v15, 0x800000, v2
	v_add_u32_e32 v14, 20, v50
	v_cndmask_b32_e32 v2, v15, v2, vcc
	v_lshlrev_b64 v[14:15], v14, -1
	v_add_u32_e32 v22, 19, v50
	v_lshlrev_b64 v[22:23], v22, 1
	v_bfi_b32 v15, v15, 0, 0
	v_bfi_b32 v14, v14, 0, v2
	v_cmp_eq_u64_e64 s[28:29], v[14:15], v[22:23]
	v_lshrrev_b64 v[14:15], v50, v[2:3]
	v_mov_b32_e32 v41, v15
	v_mov_b32_e32 v40, v14
	s_and_saveexec_b64 s[48:49], s[28:29]
; %bb.5863:                             ;   in Loop: Header=BB4_5010 Depth=4
	v_bfe_u32 v2, v14, 20, 1
	v_add_co_u32_e64 v2, s[28:29], v14, v2
	v_add_co_u32_e64 v40, s[28:29], -1, v2
; %bb.5864:                             ;   in Loop: Header=BB4_5010 Depth=4
	s_or_b64 exec, exec, s[48:49]
	v_add_u32_e32 v2, 0xffffff81, v25
	v_mov_b32_e32 v15, 0xffffff82
	v_cndmask_b32_e32 v2, v2, v15, vcc
	v_lshrrev_b32_e32 v15, 23, v14
	v_add3_u32 v51, v50, v2, v15
	v_add_u32_e32 v25, 6, v51
	v_and_b32_e32 v2, 0xfffff, v40
	v_add_u32_e32 v2, v2, v14
	v_cmp_ne_u32_e32 vcc, 0, v25
                                        ; implicit-def: $vgpr14_vgpr15
                                        ; implicit-def: $vgpr50
	s_and_saveexec_b64 s[28:29], vcc
	s_xor_b64 s[28:29], exec, s[28:29]
; %bb.5865:                             ;   in Loop: Header=BB4_5010 Depth=4
	v_cmp_lt_u64_e32 vcc, s[74:75], v[2:3]
	v_add_u32_e32 v14, 7, v51
	v_cndmask_b32_e32 v50, v25, v14, vcc
	v_cndmask_b32_e64 v14, 0, 1, vcc
	v_lshrrev_b64 v[14:15], v14, v[2:3]
; %bb.5866:                             ;   in Loop: Header=BB4_5010 Depth=4
	s_andn2_saveexec_b64 s[28:29], s[28:29]
; %bb.5867:                             ;   in Loop: Header=BB4_5010 Depth=4
	v_mov_b32_e32 v15, v3
	v_bfe_u32 v50, v2, 23, 1
	v_mov_b32_e32 v14, v2
; %bb.5868:                             ;   in Loop: Header=BB4_5010 Depth=4
	s_or_b64 exec, exec, s[28:29]
	v_lshrrev_b64 v[14:15], 20, v[14:15]
	v_cmp_gt_i32_e32 vcc, 16, v50
	v_cndmask_b32_e32 v15, 0, v15, vcc
	v_cndmask_b32_e32 v14, 7, v14, vcc
	v_cmp_ne_u64_e32 vcc, 0, v[14:15]
	v_cmp_ne_u32_e64 s[28:29], 0, v50
	s_or_b64 s[28:29], s[28:29], vcc
                                        ; implicit-def: $vgpr25
	s_and_saveexec_b64 vcc, s[28:29]
	s_xor_b64 s[28:29], exec, vcc
; %bb.5869:                             ;   in Loop: Header=BB4_5010 Depth=4
	v_min_i32_e32 v2, 15, v50
	v_lshl_or_b32 v2, v2, 3, v48
	v_and_or_b32 v25, v14, 7, v2
                                        ; implicit-def: $vgpr48
; %bb.5870:                             ;   in Loop: Header=BB4_5010 Depth=4
	s_andn2_saveexec_b64 s[28:29], s[28:29]
; %bb.5871:                             ;   in Loop: Header=BB4_5010 Depth=4
	v_mov_b32_e32 v25, v48
; %bb.5872:                             ;   in Loop: Header=BB4_5010 Depth=4
	s_or_b64 exec, exec, s[28:29]
.LBB4_5873:                             ;   in Loop: Header=BB4_5010 Depth=4
	s_or_b64 exec, exec, s[38:39]
                                        ; implicit-def: $vgpr48
.LBB4_5874:                             ;   in Loop: Header=BB4_5010 Depth=4
	s_andn2_saveexec_b64 s[28:29], s[36:37]
; %bb.5875:                             ;   in Loop: Header=BB4_5010 Depth=4
	v_or_b32_e32 v25, 0x7e, v48
; %bb.5876:                             ;   in Loop: Header=BB4_5010 Depth=4
	s_or_b64 exec, exec, s[28:29]
                                        ; implicit-def: $vgpr14
.LBB4_5877:                             ;   in Loop: Header=BB4_5010 Depth=4
	s_andn2_saveexec_b64 s[28:29], s[34:35]
; %bb.5878:                             ;   in Loop: Header=BB4_5010 Depth=4
	v_or_b32_sdwa v25, v14, s68 dst_sel:DWORD dst_unused:UNUSED_PAD src0_sel:BYTE_3 src1_sel:DWORD
; %bb.5879:                             ;   in Loop: Header=BB4_5010 Depth=4
	s_or_b64 exec, exec, s[28:29]
	v_and_b32_e32 v2, 0xff, v24
	v_cmp_ne_u16_e32 vcc, 0, v2
	v_mov_b32_e32 v14, 0
	v_mov_b32_e32 v15, 0
	s_and_saveexec_b64 s[28:29], vcc
	s_cbranch_execz .LBB4_5885
; %bb.5880:                             ;   in Loop: Header=BB4_5010 Depth=4
	v_cmp_ne_u16_e32 vcc, s70, v2
	v_bfrev_b32_e32 v15, 1
	s_and_saveexec_b64 s[34:35], vcc
	s_cbranch_execz .LBB4_5884
; %bb.5881:                             ;   in Loop: Header=BB4_5010 Depth=4
	v_and_b32_e32 v48, 0x7f, v24
	v_cmp_ne_u32_e32 vcc, s68, v48
	v_mov_b32_e32 v15, 0x7f800001
	s_and_saveexec_b64 s[36:37], vcc
	s_cbranch_execz .LBB4_5883
; %bb.5882:                             ;   in Loop: Header=BB4_5010 Depth=4
	v_and_b32_e32 v15, 7, v2
	v_ffbh_u32_e32 v22, v15
	v_min_u32_e32 v33, 32, v22
	v_subrev_u32_e32 v22, 28, v33
	v_lshlrev_b64 v[22:23], v22, v[2:3]
	v_lshrrev_b32_e32 v32, 3, v48
	v_cmp_gt_u32_e32 vcc, 8, v48
	v_sub_u32_e32 v2, 29, v33
	v_and_b32_e32 v22, 7, v22
	v_cndmask_b32_e32 v2, v32, v2, vcc
	v_cndmask_b32_e32 v15, v15, v22, vcc
	v_lshlrev_b32_e32 v22, 24, v24
	v_lshlrev_b32_e32 v15, 20, v15
	v_and_b32_e32 v22, 0x80000000, v22
	v_lshl_add_u32 v2, v2, 23, v5
	v_or3_b32 v15, v22, v2, v15
.LBB4_5883:                             ;   in Loop: Header=BB4_5010 Depth=4
	s_or_b64 exec, exec, s[36:37]
.LBB4_5884:                             ;   in Loop: Header=BB4_5010 Depth=4
	s_or_b64 exec, exec, s[34:35]
.LBB4_5885:                             ;   in Loop: Header=BB4_5010 Depth=4
	s_or_b64 exec, exec, s[28:29]
	v_and_b32_e32 v2, 0xff, v30
	v_cmp_ne_u16_e32 vcc, 0, v2
	s_and_saveexec_b64 s[28:29], vcc
	s_cbranch_execz .LBB4_5891
; %bb.5886:                             ;   in Loop: Header=BB4_5010 Depth=4
	v_cmp_ne_u16_e32 vcc, s70, v2
	v_bfrev_b32_e32 v14, 1
	s_and_saveexec_b64 s[34:35], vcc
	s_cbranch_execz .LBB4_5890
; %bb.5887:                             ;   in Loop: Header=BB4_5010 Depth=4
	v_and_b32_e32 v24, 0x7f, v30
	v_cmp_ne_u32_e32 vcc, s68, v24
	v_mov_b32_e32 v14, 0x7f800001
	s_and_saveexec_b64 s[36:37], vcc
	s_cbranch_execz .LBB4_5889
; %bb.5888:                             ;   in Loop: Header=BB4_5010 Depth=4
	v_and_b32_e32 v14, 7, v2
	v_ffbh_u32_e32 v22, v14
	v_lshrrev_b32_e32 v32, 3, v24
	v_cmp_gt_u32_e32 vcc, 8, v24
	v_min_u32_e32 v24, 32, v22
	v_subrev_u32_e32 v22, 28, v24
	v_lshlrev_b64 v[22:23], v22, v[2:3]
	v_sub_u32_e32 v2, 29, v24
	v_and_b32_e32 v22, 7, v22
	v_cndmask_b32_e32 v2, v32, v2, vcc
	v_cndmask_b32_e32 v14, v14, v22, vcc
	v_lshlrev_b32_e32 v22, 24, v30
	v_lshlrev_b32_e32 v14, 20, v14
	v_and_b32_e32 v22, 0x80000000, v22
	v_lshl_add_u32 v2, v2, 23, v5
	v_or3_b32 v14, v22, v2, v14
.LBB4_5889:                             ;   in Loop: Header=BB4_5010 Depth=4
	s_or_b64 exec, exec, s[36:37]
.LBB4_5890:                             ;   in Loop: Header=BB4_5010 Depth=4
	s_or_b64 exec, exec, s[34:35]
.LBB4_5891:                             ;   in Loop: Header=BB4_5010 Depth=4
	s_or_b64 exec, exec, s[28:29]
	v_add_f32_e32 v14, v15, v14
	v_and_b32_e32 v2, 0x7f800000, v14
	v_cmp_ne_u64_e32 vcc, s[62:63], v[2:3]
                                        ; implicit-def: $vgpr24
	s_and_saveexec_b64 s[28:29], vcc
	s_xor_b64 s[34:35], exec, s[28:29]
	s_cbranch_execz .LBB4_5909
; %bb.5892:                             ;   in Loop: Header=BB4_5010 Depth=4
	v_and_b32_e32 v2, 0x7fffffff, v14
	v_cmp_gt_u64_e32 vcc, s[72:73], v[2:3]
	v_and_b32_sdwa v30, v14, s70 dst_sel:DWORD dst_unused:UNUSED_PAD src0_sel:BYTE_3 src1_sel:DWORD
                                        ; implicit-def: $vgpr24
	s_and_saveexec_b64 s[28:29], vcc
	s_xor_b64 s[36:37], exec, s[28:29]
	s_cbranch_execz .LBB4_5906
; %bb.5893:                             ;   in Loop: Header=BB4_5010 Depth=4
	v_cmp_ne_u32_e32 vcc, 0, v14
	v_mov_b32_e32 v24, 0
	s_and_saveexec_b64 s[38:39], vcc
	s_cbranch_execz .LBB4_5905
; %bb.5894:                             ;   in Loop: Header=BB4_5010 Depth=4
	v_bfe_u32 v24, v14, 23, 8
	v_and_b32_e32 v2, 0x7fffff, v14
	v_cmp_gt_u32_e64 s[28:29], s71, v24
	v_sub_u32_e32 v14, 0x79, v24
	v_cmp_eq_u32_e32 vcc, 0, v24
	v_cndmask_b32_e64 v14, 0, v14, s[28:29]
	v_mov_b32_e32 v22, 0x78
	v_cndmask_b32_e32 v48, v14, v22, vcc
	v_or_b32_e32 v15, 0x800000, v2
	v_add_u32_e32 v14, 20, v48
	v_cndmask_b32_e32 v2, v15, v2, vcc
	v_lshlrev_b64 v[14:15], v14, -1
	v_add_u32_e32 v22, 19, v48
	v_lshlrev_b64 v[22:23], v22, 1
	v_bfi_b32 v15, v15, 0, 0
	v_bfi_b32 v14, v14, 0, v2
	v_cmp_eq_u64_e64 s[28:29], v[14:15], v[22:23]
	v_lshrrev_b64 v[14:15], v48, v[2:3]
	v_mov_b32_e32 v41, v15
	v_mov_b32_e32 v40, v14
	s_and_saveexec_b64 s[48:49], s[28:29]
; %bb.5895:                             ;   in Loop: Header=BB4_5010 Depth=4
	v_bfe_u32 v2, v14, 20, 1
	v_add_co_u32_e64 v2, s[28:29], v14, v2
	v_add_co_u32_e64 v40, s[28:29], -1, v2
; %bb.5896:                             ;   in Loop: Header=BB4_5010 Depth=4
	s_or_b64 exec, exec, s[48:49]
	v_add_u32_e32 v2, 0xffffff81, v24
	v_mov_b32_e32 v15, 0xffffff82
	v_cndmask_b32_e32 v2, v2, v15, vcc
	v_lshrrev_b32_e32 v15, 23, v14
	v_add3_u32 v50, v48, v2, v15
	v_add_u32_e32 v24, 6, v50
	v_and_b32_e32 v2, 0xfffff, v40
	v_add_u32_e32 v2, v2, v14
	v_cmp_ne_u32_e32 vcc, 0, v24
                                        ; implicit-def: $vgpr14_vgpr15
                                        ; implicit-def: $vgpr48
	s_and_saveexec_b64 s[28:29], vcc
	s_xor_b64 s[28:29], exec, s[28:29]
; %bb.5897:                             ;   in Loop: Header=BB4_5010 Depth=4
	v_cmp_lt_u64_e32 vcc, s[74:75], v[2:3]
	v_add_u32_e32 v14, 7, v50
	v_cndmask_b32_e32 v48, v24, v14, vcc
	v_cndmask_b32_e64 v14, 0, 1, vcc
	v_lshrrev_b64 v[14:15], v14, v[2:3]
; %bb.5898:                             ;   in Loop: Header=BB4_5010 Depth=4
	s_andn2_saveexec_b64 s[28:29], s[28:29]
; %bb.5899:                             ;   in Loop: Header=BB4_5010 Depth=4
	v_mov_b32_e32 v15, v3
	v_bfe_u32 v48, v2, 23, 1
	v_mov_b32_e32 v14, v2
; %bb.5900:                             ;   in Loop: Header=BB4_5010 Depth=4
	s_or_b64 exec, exec, s[28:29]
	v_lshrrev_b64 v[14:15], 20, v[14:15]
	v_cmp_gt_i32_e32 vcc, 16, v48
	v_cndmask_b32_e32 v15, 0, v15, vcc
	v_cndmask_b32_e32 v14, 7, v14, vcc
	v_cmp_ne_u64_e32 vcc, 0, v[14:15]
	v_cmp_ne_u32_e64 s[28:29], 0, v48
	s_or_b64 s[28:29], s[28:29], vcc
                                        ; implicit-def: $vgpr24
	s_and_saveexec_b64 vcc, s[28:29]
	s_xor_b64 s[28:29], exec, vcc
; %bb.5901:                             ;   in Loop: Header=BB4_5010 Depth=4
	v_min_i32_e32 v2, 15, v48
	v_lshl_or_b32 v2, v2, 3, v30
	v_and_or_b32 v24, v14, 7, v2
                                        ; implicit-def: $vgpr30
; %bb.5902:                             ;   in Loop: Header=BB4_5010 Depth=4
	s_andn2_saveexec_b64 s[28:29], s[28:29]
; %bb.5903:                             ;   in Loop: Header=BB4_5010 Depth=4
	v_mov_b32_e32 v24, v30
; %bb.5904:                             ;   in Loop: Header=BB4_5010 Depth=4
	s_or_b64 exec, exec, s[28:29]
.LBB4_5905:                             ;   in Loop: Header=BB4_5010 Depth=4
	s_or_b64 exec, exec, s[38:39]
                                        ; implicit-def: $vgpr30
.LBB4_5906:                             ;   in Loop: Header=BB4_5010 Depth=4
	s_andn2_saveexec_b64 s[28:29], s[36:37]
; %bb.5907:                             ;   in Loop: Header=BB4_5010 Depth=4
	v_or_b32_e32 v24, 0x7e, v30
; %bb.5908:                             ;   in Loop: Header=BB4_5010 Depth=4
	s_or_b64 exec, exec, s[28:29]
                                        ; implicit-def: $vgpr14
.LBB4_5909:                             ;   in Loop: Header=BB4_5010 Depth=4
	s_andn2_saveexec_b64 s[28:29], s[34:35]
; %bb.5910:                             ;   in Loop: Header=BB4_5010 Depth=4
	v_or_b32_sdwa v24, v14, s68 dst_sel:DWORD dst_unused:UNUSED_PAD src0_sel:BYTE_3 src1_sel:DWORD
; %bb.5911:                             ;   in Loop: Header=BB4_5010 Depth=4
	s_or_b64 exec, exec, s[28:29]
	v_and_b32_e32 v2, 0xff, v4
	v_cmp_ne_u16_e32 vcc, 0, v2
	v_mov_b32_e32 v14, 0
	v_mov_b32_e32 v15, 0
	s_and_saveexec_b64 s[28:29], vcc
	s_cbranch_execz .LBB4_5917
; %bb.5912:                             ;   in Loop: Header=BB4_5010 Depth=4
	v_cmp_ne_u16_e32 vcc, s70, v2
	v_bfrev_b32_e32 v15, 1
	s_and_saveexec_b64 s[34:35], vcc
	s_cbranch_execz .LBB4_5916
; %bb.5913:                             ;   in Loop: Header=BB4_5010 Depth=4
	v_and_b32_e32 v30, 0x7f, v4
	v_cmp_ne_u32_e32 vcc, s68, v30
	v_mov_b32_e32 v15, 0x7f800001
	s_and_saveexec_b64 s[36:37], vcc
	s_cbranch_execz .LBB4_5915
; %bb.5914:                             ;   in Loop: Header=BB4_5010 Depth=4
	v_and_b32_e32 v15, 7, v2
	v_ffbh_u32_e32 v22, v15
	v_lshrrev_b32_e32 v32, 3, v30
	v_cmp_gt_u32_e32 vcc, 8, v30
	v_min_u32_e32 v30, 32, v22
	v_subrev_u32_e32 v22, 28, v30
	v_lshlrev_b64 v[22:23], v22, v[2:3]
	v_sub_u32_e32 v2, 29, v30
	v_and_b32_e32 v22, 7, v22
	v_cndmask_b32_e32 v2, v32, v2, vcc
	v_cndmask_b32_e32 v15, v15, v22, vcc
	v_lshlrev_b32_e32 v4, 24, v4
	v_lshlrev_b32_e32 v15, 20, v15
	v_and_b32_e32 v4, 0x80000000, v4
	v_lshl_add_u32 v2, v2, 23, v5
	v_or3_b32 v15, v4, v2, v15
.LBB4_5915:                             ;   in Loop: Header=BB4_5010 Depth=4
	s_or_b64 exec, exec, s[36:37]
.LBB4_5916:                             ;   in Loop: Header=BB4_5010 Depth=4
	s_or_b64 exec, exec, s[34:35]
.LBB4_5917:                             ;   in Loop: Header=BB4_5010 Depth=4
	s_or_b64 exec, exec, s[28:29]
	v_and_b32_e32 v2, 0xff, v17
	v_cmp_ne_u16_e32 vcc, 0, v2
	s_and_saveexec_b64 s[28:29], vcc
	s_cbranch_execz .LBB4_5923
; %bb.5918:                             ;   in Loop: Header=BB4_5010 Depth=4
	v_cmp_ne_u16_e32 vcc, s70, v2
	v_bfrev_b32_e32 v14, 1
	s_and_saveexec_b64 s[34:35], vcc
	s_cbranch_execz .LBB4_5922
; %bb.5919:                             ;   in Loop: Header=BB4_5010 Depth=4
	v_and_b32_e32 v4, 0x7f, v17
	v_cmp_ne_u32_e32 vcc, s68, v4
	v_mov_b32_e32 v14, 0x7f800001
	s_and_saveexec_b64 s[36:37], vcc
	s_cbranch_execz .LBB4_5921
; %bb.5920:                             ;   in Loop: Header=BB4_5010 Depth=4
	v_and_b32_e32 v14, 7, v2
	v_lshrrev_b32_e32 v30, 3, v4
	v_cmp_gt_u32_e32 vcc, 8, v4
	v_ffbh_u32_e32 v4, v14
	v_min_u32_e32 v4, 32, v4
	v_subrev_u32_e32 v22, 28, v4
	v_lshlrev_b64 v[22:23], v22, v[2:3]
	v_sub_u32_e32 v2, 29, v4
	v_and_b32_e32 v4, 7, v22
	v_cndmask_b32_e32 v2, v30, v2, vcc
	v_cndmask_b32_e32 v4, v14, v4, vcc
	v_lshlrev_b32_e32 v14, 24, v17
	v_lshlrev_b32_e32 v4, 20, v4
	v_and_b32_e32 v14, 0x80000000, v14
	v_lshl_add_u32 v2, v2, 23, v5
	v_or3_b32 v14, v14, v2, v4
.LBB4_5921:                             ;   in Loop: Header=BB4_5010 Depth=4
	s_or_b64 exec, exec, s[36:37]
.LBB4_5922:                             ;   in Loop: Header=BB4_5010 Depth=4
	s_or_b64 exec, exec, s[34:35]
.LBB4_5923:                             ;   in Loop: Header=BB4_5010 Depth=4
	s_or_b64 exec, exec, s[28:29]
	v_add_f32_e32 v14, v15, v14
	v_and_b32_e32 v2, 0x7f800000, v14
	v_cmp_ne_u64_e32 vcc, s[62:63], v[2:3]
                                        ; implicit-def: $vgpr2
	s_and_saveexec_b64 s[28:29], vcc
	s_xor_b64 s[34:35], exec, s[28:29]
	s_cbranch_execz .LBB4_5941
; %bb.5924:                             ;   in Loop: Header=BB4_5010 Depth=4
	v_and_b32_e32 v2, 0x7fffffff, v14
	v_cmp_gt_u64_e32 vcc, s[72:73], v[2:3]
	v_and_b32_sdwa v4, v14, s70 dst_sel:DWORD dst_unused:UNUSED_PAD src0_sel:BYTE_3 src1_sel:DWORD
                                        ; implicit-def: $vgpr2
	s_and_saveexec_b64 s[28:29], vcc
	s_xor_b64 s[36:37], exec, s[28:29]
	s_cbranch_execz .LBB4_5938
; %bb.5925:                             ;   in Loop: Header=BB4_5010 Depth=4
	v_cmp_ne_u32_e32 vcc, 0, v14
	v_mov_b32_e32 v2, 0
	s_and_saveexec_b64 s[38:39], vcc
	s_cbranch_execz .LBB4_5937
; %bb.5926:                             ;   in Loop: Header=BB4_5010 Depth=4
	v_bfe_u32 v17, v14, 23, 8
	v_and_b32_e32 v2, 0x7fffff, v14
	v_cmp_gt_u32_e64 s[28:29], s71, v17
	v_sub_u32_e32 v14, 0x79, v17
	v_cmp_eq_u32_e32 vcc, 0, v17
	v_cndmask_b32_e64 v14, 0, v14, s[28:29]
	v_mov_b32_e32 v22, 0x78
	v_cndmask_b32_e32 v30, v14, v22, vcc
	v_or_b32_e32 v15, 0x800000, v2
	v_add_u32_e32 v14, 20, v30
	v_cndmask_b32_e32 v2, v15, v2, vcc
	v_lshlrev_b64 v[14:15], v14, -1
	v_add_u32_e32 v22, 19, v30
	v_lshlrev_b64 v[22:23], v22, 1
	v_bfi_b32 v15, v15, 0, 0
	v_bfi_b32 v14, v14, 0, v2
	v_cmp_eq_u64_e64 s[28:29], v[14:15], v[22:23]
	v_lshrrev_b64 v[14:15], v30, v[2:3]
	v_mov_b32_e32 v41, v15
	v_mov_b32_e32 v40, v14
	s_and_saveexec_b64 s[48:49], s[28:29]
; %bb.5927:                             ;   in Loop: Header=BB4_5010 Depth=4
	v_bfe_u32 v2, v14, 20, 1
	v_add_co_u32_e64 v2, s[28:29], v14, v2
	v_add_co_u32_e64 v40, s[28:29], -1, v2
; %bb.5928:                             ;   in Loop: Header=BB4_5010 Depth=4
	s_or_b64 exec, exec, s[48:49]
	v_add_u32_e32 v2, 0xffffff81, v17
	v_mov_b32_e32 v15, 0xffffff82
	v_cndmask_b32_e32 v2, v2, v15, vcc
	v_lshrrev_b32_e32 v15, 23, v14
	v_add3_u32 v48, v30, v2, v15
	v_add_u32_e32 v30, 6, v48
	v_and_b32_e32 v2, 0xfffff, v40
	v_add_u32_e32 v2, v2, v14
	v_cmp_ne_u32_e32 vcc, 0, v30
                                        ; implicit-def: $vgpr14_vgpr15
                                        ; implicit-def: $vgpr17
	s_and_saveexec_b64 s[28:29], vcc
	s_xor_b64 s[28:29], exec, s[28:29]
; %bb.5929:                             ;   in Loop: Header=BB4_5010 Depth=4
	v_cmp_lt_u64_e32 vcc, s[74:75], v[2:3]
	v_add_u32_e32 v14, 7, v48
	v_cndmask_b32_e32 v17, v30, v14, vcc
	v_cndmask_b32_e64 v14, 0, 1, vcc
	v_lshrrev_b64 v[14:15], v14, v[2:3]
; %bb.5930:                             ;   in Loop: Header=BB4_5010 Depth=4
	s_andn2_saveexec_b64 s[28:29], s[28:29]
; %bb.5931:                             ;   in Loop: Header=BB4_5010 Depth=4
	v_mov_b32_e32 v15, v3
	v_bfe_u32 v17, v2, 23, 1
	v_mov_b32_e32 v14, v2
; %bb.5932:                             ;   in Loop: Header=BB4_5010 Depth=4
	s_or_b64 exec, exec, s[28:29]
	v_lshrrev_b64 v[14:15], 20, v[14:15]
	v_cmp_gt_i32_e32 vcc, 16, v17
	v_cndmask_b32_e32 v15, 0, v15, vcc
	v_cndmask_b32_e32 v14, 7, v14, vcc
	v_cmp_ne_u64_e32 vcc, 0, v[14:15]
	v_cmp_ne_u32_e64 s[28:29], 0, v17
	s_or_b64 s[28:29], s[28:29], vcc
                                        ; implicit-def: $vgpr2
	s_and_saveexec_b64 vcc, s[28:29]
	s_xor_b64 s[28:29], exec, vcc
; %bb.5933:                             ;   in Loop: Header=BB4_5010 Depth=4
	v_min_i32_e32 v2, 15, v17
	v_lshl_or_b32 v2, v2, 3, v4
	v_and_or_b32 v2, v14, 7, v2
                                        ; implicit-def: $vgpr4
; %bb.5934:                             ;   in Loop: Header=BB4_5010 Depth=4
	s_andn2_saveexec_b64 s[28:29], s[28:29]
; %bb.5935:                             ;   in Loop: Header=BB4_5010 Depth=4
	v_mov_b32_e32 v2, v4
; %bb.5936:                             ;   in Loop: Header=BB4_5010 Depth=4
	s_or_b64 exec, exec, s[28:29]
.LBB4_5937:                             ;   in Loop: Header=BB4_5010 Depth=4
	s_or_b64 exec, exec, s[38:39]
                                        ; implicit-def: $vgpr4
.LBB4_5938:                             ;   in Loop: Header=BB4_5010 Depth=4
	s_andn2_saveexec_b64 s[28:29], s[36:37]
; %bb.5939:                             ;   in Loop: Header=BB4_5010 Depth=4
	v_or_b32_e32 v2, 0x7e, v4
; %bb.5940:                             ;   in Loop: Header=BB4_5010 Depth=4
	s_or_b64 exec, exec, s[28:29]
                                        ; implicit-def: $vgpr14
.LBB4_5941:                             ;   in Loop: Header=BB4_5010 Depth=4
	s_andn2_saveexec_b64 s[28:29], s[34:35]
	s_cbranch_execz .LBB4_5009
; %bb.5942:                             ;   in Loop: Header=BB4_5010 Depth=4
	v_or_b32_sdwa v2, v14, s68 dst_sel:DWORD dst_unused:UNUSED_PAD src0_sel:BYTE_3 src1_sel:DWORD
	s_branch .LBB4_5009
.LBB4_5943:                             ;   in Loop: Header=BB4_2501 Depth=3
	s_or_b64 exec, exec, s[30:31]
.LBB4_5944:                             ;   in Loop: Header=BB4_2501 Depth=3
	s_or_b64 exec, exec, s[94:95]
	v_lshlrev_b32_e32 v2, 10, v20
	v_cmp_ne_u32_e32 vcc, v6, v2
	s_and_b64 exec, exec, vcc
	s_cbranch_execz .LBB4_6011
; %bb.5945:                             ;   in Loop: Header=BB4_2501 Depth=3
	v_lshlrev_b32_e32 v4, 6, v16
	v_sub_u32_e32 v4, v7, v4
	v_lshlrev_b32_e32 v7, 6, v18
	v_sub_u32_e32 v4, v4, v7
	v_add_u32_e32 v2, v2, v4
	v_sub_u32_e32 v4, v6, v2
	v_cmp_lt_i32_e32 vcc, 0, v4
	s_and_b64 exec, exec, vcc
	s_cbranch_execz .LBB4_6011
; %bb.5946:                             ;   in Loop: Header=BB4_2501 Depth=3
	s_trap 2
	ds_read_b128 v[8:11], v0
	v_add_u32_e32 v6, v2, v1
	ds_read_b64 v[1:2], v0
	v_ashrrev_i32_e32 v7, 31, v6
	s_mov_b64 s[94:95], 0
	s_waitcnt lgkmcnt(0)
	v_add_co_u32_e32 v8, vcc, v8, v6
	v_addc_co_u32_e32 v9, vcc, v9, v7, vcc
	v_add_co_u32_e32 v10, vcc, v10, v6
	v_addc_co_u32_e32 v11, vcc, v11, v7, vcc
	;; [unrolled: 2-line block ×3, first 2 shown]
	s_branch .LBB4_5948
.LBB4_5947:                             ;   in Loop: Header=BB4_5948 Depth=4
	s_or_b64 exec, exec, s[28:29]
	buffer_load_dword v1, off, s[0:3], s33 offset:104 ; 4-byte Folded Reload
	s_waitcnt vmcnt(0)
	v_add_co_u32_e32 v8, vcc, v8, v1
	v_addc_co_u32_e32 v9, vcc, 0, v9, vcc
	v_add_co_u32_e32 v10, vcc, v10, v1
	v_addc_co_u32_e32 v11, vcc, 0, v11, vcc
	v_sub_u32_e32 v4, v4, v1
	v_cmp_gt_i32_e32 vcc, 1, v4
	flat_store_byte v[12:13], v2 glc slc
	s_or_b64 s[94:95], vcc, s[94:95]
	v_add_co_u32_e32 v12, vcc, v12, v1
	v_addc_co_u32_e32 v13, vcc, 0, v13, vcc
	s_andn2_b64 exec, exec, s[94:95]
	s_cbranch_execz .LBB4_6011
.LBB4_5948:                             ;   Parent Loop BB4_47 Depth=1
                                        ;     Parent Loop BB4_2498 Depth=2
                                        ;       Parent Loop BB4_2501 Depth=3
                                        ; =>      This Inner Loop Header: Depth=4
	s_trap 2
	ds_read_b64 v[14:15], v0
	s_waitcnt lgkmcnt(0)
	v_cmp_eq_u32_sdwa vcc, v14, v3 src0_sel:BYTE_0 src1_sel:DWORD
	v_readfirstlane_b32 s28, v14
	v_readfirstlane_b32 s29, v15
	s_and_b64 vcc, exec, vcc
	s_cbranch_vccnz .LBB4_5952
; %bb.5949:                             ;   in Loop: Header=BB4_5948 Depth=4
	v_cmp_eq_u32_sdwa vcc, v14, s70 src0_sel:BYTE_0 src1_sel:DWORD
	s_brev_b32 s45, 1
	s_and_b64 vcc, exec, vcc
	s_cbranch_vccnz .LBB4_5953
; %bb.5950:                             ;   in Loop: Header=BB4_5948 Depth=4
	s_and_b32 vcc_lo, s28, 0x7f
	s_cmpk_eq_i32 vcc_lo, 0x7f
	s_mov_b32 s45, 0x7f800001
	s_cbranch_scc1 .LBB4_5953
; %bb.5951:                             ;   in Loop: Header=BB4_5948 Depth=4
	s_and_b32 s45, s28, 7
	s_flbit_i32_b32 s45, s45
	s_min_u32 s45, s45, 32
	s_lshr_b32 vcc_hi, vcc_lo, 3
	s_sub_i32 s30, s45, 28
	s_sub_i32 s45, 29, s45
	s_cmp_lt_u32 vcc_lo, 8
	s_cselect_b32 s45, s45, vcc_hi
	s_cselect_b32 vcc_lo, s30, 0
	s_lshl_b64 vcc, s[28:29], vcc_lo
	s_lshl_b32 s28, s28, 24
	s_lshl_b32 s45, s45, 23
	s_lshl_b32 s29, vcc_lo, 20
	s_and_b32 s28, s28, 0x80000000
	s_add_i32 s45, s45, 0x3c000000
	s_and_b32 s29, s29, 0x700000
	s_or_b32 s28, s28, s45
	s_or_b32 s45, s28, s29
	s_branch .LBB4_5953
.LBB4_5952:                             ;   in Loop: Header=BB4_5948 Depth=4
	s_mov_b32 s45, 0
.LBB4_5953:                             ;   in Loop: Header=BB4_5948 Depth=4
	flat_load_ubyte v1, v[8:9] glc slc
	v_mov_b32_e32 v6, 0
	s_waitcnt vmcnt(0) lgkmcnt(0)
	v_cmp_ne_u16_e32 vcc, 0, v1
	s_and_saveexec_b64 s[28:29], vcc
	s_cbranch_execz .LBB4_5959
; %bb.5954:                             ;   in Loop: Header=BB4_5948 Depth=4
	v_cmp_ne_u16_e32 vcc, s70, v1
	v_bfrev_b32_e32 v6, 1
	s_and_saveexec_b64 s[30:31], vcc
	s_cbranch_execz .LBB4_5958
; %bb.5955:                             ;   in Loop: Header=BB4_5948 Depth=4
	v_and_b32_e32 v2, 0xffff, v1
	v_and_b32_e32 v7, 0x7f, v2
	v_cmp_ne_u32_e32 vcc, s68, v7
	v_mov_b32_e32 v6, 0x7f800001
	s_and_saveexec_b64 s[34:35], vcc
	s_cbranch_execz .LBB4_5957
; %bb.5956:                             ;   in Loop: Header=BB4_5948 Depth=4
	v_and_b32_e32 v14, 7, v2
	v_ffbh_u32_e32 v6, v14
	v_min_u32_e32 v16, 32, v6
	v_subrev_u32_e32 v6, 28, v16
	v_lshrrev_b32_e32 v15, 3, v7
	v_cmp_gt_u32_e32 vcc, 8, v7
	v_lshlrev_b64 v[6:7], v6, v[2:3]
	v_sub_u32_e32 v2, 29, v16
	v_and_b32_e32 v6, 7, v6
	v_cndmask_b32_e32 v2, v15, v2, vcc
	v_cndmask_b32_e32 v6, v14, v6, vcc
	v_lshlrev_b32_e32 v1, 24, v1
	v_lshlrev_b32_e32 v6, 20, v6
	v_and_b32_e32 v1, 0x80000000, v1
	v_lshl_add_u32 v2, v2, 23, v5
	v_or3_b32 v6, v1, v2, v6
.LBB4_5957:                             ;   in Loop: Header=BB4_5948 Depth=4
	s_or_b64 exec, exec, s[34:35]
.LBB4_5958:                             ;   in Loop: Header=BB4_5948 Depth=4
	s_or_b64 exec, exec, s[30:31]
.LBB4_5959:                             ;   in Loop: Header=BB4_5948 Depth=4
	s_or_b64 exec, exec, s[28:29]
	v_mul_f32_e32 v7, s45, v6
	v_and_b32_e32 v2, 0x7f800000, v7
	v_cmp_ne_u64_e32 vcc, s[62:63], v[2:3]
                                        ; implicit-def: $vgpr6
	s_and_saveexec_b64 s[28:29], vcc
	s_xor_b64 s[30:31], exec, s[28:29]
	s_cbranch_execz .LBB4_5977
; %bb.5960:                             ;   in Loop: Header=BB4_5948 Depth=4
	v_and_b32_e32 v2, 0x7fffffff, v7
	v_cmp_gt_u64_e32 vcc, s[72:73], v[2:3]
	v_and_b32_sdwa v1, v7, s70 dst_sel:DWORD dst_unused:UNUSED_PAD src0_sel:BYTE_3 src1_sel:DWORD
                                        ; implicit-def: $vgpr6
	s_and_saveexec_b64 s[28:29], vcc
	s_xor_b64 s[34:35], exec, s[28:29]
	s_cbranch_execz .LBB4_5974
; %bb.5961:                             ;   in Loop: Header=BB4_5948 Depth=4
	v_cmp_ne_u32_e32 vcc, 0, v7
	v_mov_b32_e32 v6, 0
	s_and_saveexec_b64 s[36:37], vcc
	s_cbranch_execz .LBB4_5973
; %bb.5962:                             ;   in Loop: Header=BB4_5948 Depth=4
	v_bfe_u32 v6, v7, 23, 8
	v_and_b32_e32 v2, 0x7fffff, v7
	v_cmp_gt_u32_e64 s[28:29], s71, v6
	v_sub_u32_e32 v7, 0x79, v6
	v_cmp_eq_u32_e32 vcc, 0, v6
	v_cndmask_b32_e64 v7, 0, v7, s[28:29]
	v_mov_b32_e32 v15, 0x78
	v_or_b32_e32 v14, 0x800000, v2
	v_cndmask_b32_e32 v7, v7, v15, vcc
	v_cndmask_b32_e32 v2, v14, v2, vcc
	v_add_u32_e32 v14, 20, v7
	v_lshlrev_b64 v[14:15], v14, -1
	v_add_u32_e32 v16, 19, v7
	v_lshlrev_b64 v[16:17], v16, 1
	v_bfi_b32 v15, v15, 0, 0
	v_bfi_b32 v14, v14, 0, v2
	v_cmp_eq_u64_e64 s[28:29], v[14:15], v[16:17]
	v_lshrrev_b64 v[14:15], v7, v[2:3]
	v_mov_b32_e32 v41, v15
	v_mov_b32_e32 v40, v14
	s_and_saveexec_b64 s[38:39], s[28:29]
; %bb.5963:                             ;   in Loop: Header=BB4_5948 Depth=4
	v_bfe_u32 v2, v14, 20, 1
	v_add_co_u32_e64 v2, s[28:29], v14, v2
	v_add_co_u32_e64 v40, s[28:29], -1, v2
; %bb.5964:                             ;   in Loop: Header=BB4_5948 Depth=4
	s_or_b64 exec, exec, s[38:39]
	v_add_u32_e32 v2, 0xffffff81, v6
	v_mov_b32_e32 v6, 0xffffff82
	v_cndmask_b32_e32 v2, v2, v6, vcc
	v_lshrrev_b32_e32 v6, 23, v14
	v_add3_u32 v16, v7, v2, v6
	v_add_u32_e32 v6, 6, v16
	v_and_b32_e32 v2, 0xfffff, v40
	v_add_u32_e32 v2, v2, v14
	v_cmp_ne_u32_e32 vcc, 0, v6
                                        ; implicit-def: $vgpr14_vgpr15
                                        ; implicit-def: $vgpr7
	s_and_saveexec_b64 s[28:29], vcc
	s_xor_b64 s[28:29], exec, s[28:29]
; %bb.5965:                             ;   in Loop: Header=BB4_5948 Depth=4
	v_cmp_lt_u64_e32 vcc, s[74:75], v[2:3]
	v_add_u32_e32 v7, 7, v16
	v_cndmask_b32_e32 v7, v6, v7, vcc
	v_cndmask_b32_e64 v6, 0, 1, vcc
	v_lshrrev_b64 v[14:15], v6, v[2:3]
; %bb.5966:                             ;   in Loop: Header=BB4_5948 Depth=4
	s_andn2_saveexec_b64 s[28:29], s[28:29]
; %bb.5967:                             ;   in Loop: Header=BB4_5948 Depth=4
	v_mov_b32_e32 v15, v3
	v_bfe_u32 v7, v2, 23, 1
	v_mov_b32_e32 v14, v2
; %bb.5968:                             ;   in Loop: Header=BB4_5948 Depth=4
	s_or_b64 exec, exec, s[28:29]
	v_lshrrev_b64 v[14:15], 20, v[14:15]
	v_cmp_gt_i32_e32 vcc, 16, v7
	v_cndmask_b32_e32 v15, 0, v15, vcc
	v_cndmask_b32_e32 v14, 7, v14, vcc
	v_cmp_ne_u64_e32 vcc, 0, v[14:15]
	v_cmp_ne_u32_e64 s[28:29], 0, v7
	s_or_b64 s[28:29], s[28:29], vcc
                                        ; implicit-def: $vgpr6
	s_and_saveexec_b64 vcc, s[28:29]
	s_xor_b64 s[28:29], exec, vcc
; %bb.5969:                             ;   in Loop: Header=BB4_5948 Depth=4
	v_min_i32_e32 v2, 15, v7
	v_lshl_or_b32 v1, v2, 3, v1
	v_and_or_b32 v6, v14, 7, v1
                                        ; implicit-def: $vgpr1
; %bb.5970:                             ;   in Loop: Header=BB4_5948 Depth=4
	s_andn2_saveexec_b64 s[28:29], s[28:29]
; %bb.5971:                             ;   in Loop: Header=BB4_5948 Depth=4
	v_mov_b32_e32 v6, v1
; %bb.5972:                             ;   in Loop: Header=BB4_5948 Depth=4
	s_or_b64 exec, exec, s[28:29]
.LBB4_5973:                             ;   in Loop: Header=BB4_5948 Depth=4
	s_or_b64 exec, exec, s[36:37]
                                        ; implicit-def: $vgpr1
.LBB4_5974:                             ;   in Loop: Header=BB4_5948 Depth=4
	s_andn2_saveexec_b64 s[28:29], s[34:35]
; %bb.5975:                             ;   in Loop: Header=BB4_5948 Depth=4
	v_or_b32_e32 v6, 0x7e, v1
; %bb.5976:                             ;   in Loop: Header=BB4_5948 Depth=4
	s_or_b64 exec, exec, s[28:29]
                                        ; implicit-def: $vgpr7
.LBB4_5977:                             ;   in Loop: Header=BB4_5948 Depth=4
	s_andn2_saveexec_b64 s[28:29], s[30:31]
; %bb.5978:                             ;   in Loop: Header=BB4_5948 Depth=4
	v_or_b32_sdwa v6, v7, s68 dst_sel:DWORD dst_unused:UNUSED_PAD src0_sel:BYTE_3 src1_sel:DWORD
; %bb.5979:                             ;   in Loop: Header=BB4_5948 Depth=4
	s_or_b64 exec, exec, s[28:29]
	flat_load_ubyte v7, v[10:11] glc slc
	v_and_b32_e32 v2, 0xff, v6
	v_cmp_ne_u16_e32 vcc, 0, v2
	v_mov_b32_e32 v1, 0
	v_mov_b32_e32 v14, 0
	s_and_saveexec_b64 s[28:29], vcc
	s_cbranch_execz .LBB4_5985
; %bb.5980:                             ;   in Loop: Header=BB4_5948 Depth=4
	v_cmp_ne_u16_e32 vcc, s70, v2
	v_bfrev_b32_e32 v14, 1
	s_and_saveexec_b64 s[30:31], vcc
	s_cbranch_execz .LBB4_5984
; %bb.5981:                             ;   in Loop: Header=BB4_5948 Depth=4
	v_and_b32_e32 v15, 0x7f, v6
	v_cmp_ne_u32_e32 vcc, s68, v15
	v_mov_b32_e32 v14, 0x7f800001
	s_and_saveexec_b64 s[34:35], vcc
	s_cbranch_execz .LBB4_5983
; %bb.5982:                             ;   in Loop: Header=BB4_5948 Depth=4
	v_and_b32_e32 v16, 7, v2
	v_ffbh_u32_e32 v14, v16
	v_min_u32_e32 v18, 32, v14
	v_subrev_u32_e32 v14, 28, v18
	v_lshrrev_b32_e32 v17, 3, v15
	v_cmp_gt_u32_e32 vcc, 8, v15
	v_lshlrev_b64 v[14:15], v14, v[2:3]
	v_sub_u32_e32 v2, 29, v18
	v_and_b32_e32 v14, 7, v14
	v_cndmask_b32_e32 v2, v17, v2, vcc
	v_cndmask_b32_e32 v14, v16, v14, vcc
	v_lshlrev_b32_e32 v6, 24, v6
	v_lshlrev_b32_e32 v14, 20, v14
	v_and_b32_e32 v6, 0x80000000, v6
	v_lshl_add_u32 v2, v2, 23, v5
	v_or3_b32 v14, v6, v2, v14
.LBB4_5983:                             ;   in Loop: Header=BB4_5948 Depth=4
	s_or_b64 exec, exec, s[34:35]
.LBB4_5984:                             ;   in Loop: Header=BB4_5948 Depth=4
	s_or_b64 exec, exec, s[30:31]
.LBB4_5985:                             ;   in Loop: Header=BB4_5948 Depth=4
	s_or_b64 exec, exec, s[28:29]
	s_waitcnt vmcnt(0) lgkmcnt(0)
	v_and_b32_e32 v2, 0xff, v7
	v_cmp_ne_u16_e32 vcc, 0, v2
	s_and_saveexec_b64 s[28:29], vcc
	s_cbranch_execz .LBB4_5991
; %bb.5986:                             ;   in Loop: Header=BB4_5948 Depth=4
	v_cmp_ne_u16_e32 vcc, s70, v2
	v_bfrev_b32_e32 v1, 1
	s_and_saveexec_b64 s[30:31], vcc
	s_cbranch_execz .LBB4_5990
; %bb.5987:                             ;   in Loop: Header=BB4_5948 Depth=4
	v_and_b32_e32 v6, 0x7f, v7
	v_cmp_ne_u32_e32 vcc, s68, v6
	v_mov_b32_e32 v1, 0x7f800001
	s_and_saveexec_b64 s[34:35], vcc
	s_cbranch_execz .LBB4_5989
; %bb.5988:                             ;   in Loop: Header=BB4_5948 Depth=4
	v_and_b32_e32 v15, 7, v2
	v_lshlrev_b32_e32 v1, 24, v7
	v_and_b32_e32 v7, 0x80000000, v1
	v_ffbh_u32_e32 v1, v15
	v_lshrrev_b32_e32 v16, 3, v6
	v_cmp_gt_u32_e32 vcc, 8, v6
	v_min_u32_e32 v6, 32, v1
	v_subrev_u32_e32 v1, 28, v6
	v_lshlrev_b64 v[1:2], v1, v[2:3]
	v_sub_u32_e32 v2, 29, v6
	v_and_b32_e32 v1, 7, v1
	v_cndmask_b32_e32 v2, v16, v2, vcc
	v_cndmask_b32_e32 v1, v15, v1, vcc
	v_lshlrev_b32_e32 v1, 20, v1
	v_lshl_add_u32 v2, v2, 23, v5
	v_or3_b32 v1, v7, v2, v1
.LBB4_5989:                             ;   in Loop: Header=BB4_5948 Depth=4
	s_or_b64 exec, exec, s[34:35]
.LBB4_5990:                             ;   in Loop: Header=BB4_5948 Depth=4
	s_or_b64 exec, exec, s[30:31]
.LBB4_5991:                             ;   in Loop: Header=BB4_5948 Depth=4
	s_or_b64 exec, exec, s[28:29]
	v_add_f32_e32 v6, v14, v1
	v_and_b32_e32 v2, 0x7f800000, v6
	v_cmp_ne_u64_e32 vcc, s[62:63], v[2:3]
                                        ; implicit-def: $vgpr2
	s_and_saveexec_b64 s[28:29], vcc
	s_xor_b64 s[30:31], exec, s[28:29]
	s_cbranch_execz .LBB4_6009
; %bb.5992:                             ;   in Loop: Header=BB4_5948 Depth=4
	v_and_b32_e32 v2, 0x7fffffff, v6
	v_cmp_gt_u64_e32 vcc, s[72:73], v[2:3]
	v_and_b32_sdwa v1, v6, s70 dst_sel:DWORD dst_unused:UNUSED_PAD src0_sel:BYTE_3 src1_sel:DWORD
                                        ; implicit-def: $vgpr2
	s_and_saveexec_b64 s[28:29], vcc
	s_xor_b64 s[34:35], exec, s[28:29]
	s_cbranch_execz .LBB4_6006
; %bb.5993:                             ;   in Loop: Header=BB4_5948 Depth=4
	v_cmp_ne_u32_e32 vcc, 0, v6
	v_mov_b32_e32 v2, 0
	s_and_saveexec_b64 s[36:37], vcc
	s_cbranch_execz .LBB4_6005
; %bb.5994:                             ;   in Loop: Header=BB4_5948 Depth=4
	v_and_b32_e32 v2, 0x7fffff, v6
	v_bfe_u32 v6, v6, 23, 8
	v_cmp_gt_u32_e64 s[28:29], s71, v6
	v_sub_u32_e32 v7, 0x79, v6
	v_cmp_eq_u32_e32 vcc, 0, v6
	v_cndmask_b32_e64 v7, 0, v7, s[28:29]
	v_mov_b32_e32 v15, 0x78
	v_or_b32_e32 v14, 0x800000, v2
	v_cndmask_b32_e32 v7, v7, v15, vcc
	v_cndmask_b32_e32 v2, v14, v2, vcc
	v_add_u32_e32 v14, 20, v7
	v_lshlrev_b64 v[14:15], v14, -1
	v_add_u32_e32 v16, 19, v7
	v_lshlrev_b64 v[16:17], v16, 1
	v_bfi_b32 v15, v15, 0, 0
	v_bfi_b32 v14, v14, 0, v2
	v_cmp_eq_u64_e64 s[28:29], v[14:15], v[16:17]
	v_lshrrev_b64 v[14:15], v7, v[2:3]
	v_mov_b32_e32 v41, v15
	v_mov_b32_e32 v40, v14
	s_and_saveexec_b64 s[38:39], s[28:29]
; %bb.5995:                             ;   in Loop: Header=BB4_5948 Depth=4
	v_bfe_u32 v2, v14, 20, 1
	v_add_co_u32_e64 v2, s[28:29], v14, v2
	v_add_co_u32_e64 v40, s[28:29], -1, v2
; %bb.5996:                             ;   in Loop: Header=BB4_5948 Depth=4
	s_or_b64 exec, exec, s[38:39]
	v_add_u32_e32 v2, 0xffffff81, v6
	v_mov_b32_e32 v6, 0xffffff82
	v_cndmask_b32_e32 v2, v2, v6, vcc
	v_lshrrev_b32_e32 v6, 23, v14
	v_add3_u32 v16, v7, v2, v6
	v_add_u32_e32 v7, 6, v16
	v_and_b32_e32 v2, 0xfffff, v40
	v_add_u32_e32 v2, v2, v14
	v_cmp_ne_u32_e32 vcc, 0, v7
                                        ; implicit-def: $vgpr14_vgpr15
                                        ; implicit-def: $vgpr6
	s_and_saveexec_b64 s[28:29], vcc
	s_xor_b64 s[28:29], exec, s[28:29]
; %bb.5997:                             ;   in Loop: Header=BB4_5948 Depth=4
	v_cmp_lt_u64_e32 vcc, s[74:75], v[2:3]
	v_add_u32_e32 v6, 7, v16
	v_cndmask_b32_e32 v6, v7, v6, vcc
	v_cndmask_b32_e64 v7, 0, 1, vcc
	v_lshrrev_b64 v[14:15], v7, v[2:3]
; %bb.5998:                             ;   in Loop: Header=BB4_5948 Depth=4
	s_andn2_saveexec_b64 s[28:29], s[28:29]
; %bb.5999:                             ;   in Loop: Header=BB4_5948 Depth=4
	v_mov_b32_e32 v15, v3
	v_bfe_u32 v6, v2, 23, 1
	v_mov_b32_e32 v14, v2
; %bb.6000:                             ;   in Loop: Header=BB4_5948 Depth=4
	s_or_b64 exec, exec, s[28:29]
	v_lshrrev_b64 v[14:15], 20, v[14:15]
	v_cmp_gt_i32_e32 vcc, 16, v6
	v_cndmask_b32_e32 v15, 0, v15, vcc
	v_cndmask_b32_e32 v14, 7, v14, vcc
	v_cmp_ne_u64_e32 vcc, 0, v[14:15]
	v_cmp_ne_u32_e64 s[28:29], 0, v6
	s_or_b64 s[28:29], s[28:29], vcc
                                        ; implicit-def: $vgpr2
	s_and_saveexec_b64 vcc, s[28:29]
	s_xor_b64 s[28:29], exec, vcc
; %bb.6001:                             ;   in Loop: Header=BB4_5948 Depth=4
	v_min_i32_e32 v2, 15, v6
	v_lshl_or_b32 v1, v2, 3, v1
	v_and_or_b32 v2, v14, 7, v1
                                        ; implicit-def: $vgpr1
; %bb.6002:                             ;   in Loop: Header=BB4_5948 Depth=4
	s_andn2_saveexec_b64 s[28:29], s[28:29]
; %bb.6003:                             ;   in Loop: Header=BB4_5948 Depth=4
	v_mov_b32_e32 v2, v1
; %bb.6004:                             ;   in Loop: Header=BB4_5948 Depth=4
	s_or_b64 exec, exec, s[28:29]
.LBB4_6005:                             ;   in Loop: Header=BB4_5948 Depth=4
	s_or_b64 exec, exec, s[36:37]
                                        ; implicit-def: $vgpr1
.LBB4_6006:                             ;   in Loop: Header=BB4_5948 Depth=4
	s_andn2_saveexec_b64 s[28:29], s[34:35]
; %bb.6007:                             ;   in Loop: Header=BB4_5948 Depth=4
	v_or_b32_e32 v2, 0x7e, v1
; %bb.6008:                             ;   in Loop: Header=BB4_5948 Depth=4
	s_or_b64 exec, exec, s[28:29]
                                        ; implicit-def: $vgpr6
.LBB4_6009:                             ;   in Loop: Header=BB4_5948 Depth=4
	s_andn2_saveexec_b64 s[28:29], s[30:31]
	s_cbranch_execz .LBB4_5947
; %bb.6010:                             ;   in Loop: Header=BB4_5948 Depth=4
	v_or_b32_sdwa v2, v6, s68 dst_sel:DWORD dst_unused:UNUSED_PAD src0_sel:BYTE_3 src1_sel:DWORD
	s_branch .LBB4_5947
.LBB4_6011:                             ;   in Loop: Header=BB4_2501 Depth=3
	s_or_b64 exec, exec, s[40:41]
	buffer_load_dword v1, off, s[0:3], s33 offset:148 ; 4-byte Folded Reload
	s_waitcnt vmcnt(0)
	v_cmp_lt_i32_e64 s[28:29], 0, v1
	s_and_saveexec_b64 s[40:41], s[10:11]
	s_cbranch_execz .LBB4_2576
.LBB4_6012:                             ;   in Loop: Header=BB4_2501 Depth=3
	s_and_saveexec_b64 s[94:95], s[58:59]
	s_xor_b64 s[94:95], exec, s[94:95]
	s_cbranch_execz .LBB4_6027
; %bb.6013:                             ;   in Loop: Header=BB4_2501 Depth=3
	s_and_saveexec_b64 s[30:31], s[16:17]
	s_cbranch_execz .LBB4_6026
; %bb.6014:                             ;   in Loop: Header=BB4_2501 Depth=3
	s_mov_b64 s[36:37], exec
	v_mbcnt_lo_u32_b32 v1, s36, 0
	v_mbcnt_hi_u32_b32 v1, s37, v1
	v_cmp_eq_u32_e32 vcc, 0, v1
	s_waitcnt vmcnt(0) lgkmcnt(0)
	buffer_wbinvl1_vol
	s_and_saveexec_b64 s[34:35], vcc
	s_cbranch_execz .LBB4_6016
; %bb.6015:                             ;   in Loop: Header=BB4_2501 Depth=3
	s_bcnt1_i32_b64 s45, s[36:37]
	v_mov_b32_e32 v1, s45
	v_mov_b32_e32 v2, v3
	ds_add_u64 v0, v[1:2]
	s_trap 2
.LBB4_6016:                             ;   in Loop: Header=BB4_2501 Depth=3
	s_or_b64 exec, exec, s[34:35]
	s_trap 2
	ds_read_b64 v[1:2], v0
	s_waitcnt lgkmcnt(0)
	buffer_load_dword v6, off, s[0:3], s33 offset:72 ; 4-byte Folded Reload
	buffer_load_dword v7, off, s[0:3], s33 offset:76 ; 4-byte Folded Reload
	;; [unrolled: 1-line block ×3, first 2 shown]
	s_waitcnt vmcnt(0)
	v_add_co_u32_e32 v6, vcc, v6, v4
	v_addc_co_u32_e32 v7, vcc, 0, v7, vcc
	buffer_store_dword v6, off, s[0:3], s33 offset:72 ; 4-byte Folded Spill
	s_nop 0
	buffer_store_dword v7, off, s[0:3], s33 offset:76 ; 4-byte Folded Spill
	v_cmp_lt_u64_e32 vcc, v[1:2], v[6:7]
	s_and_saveexec_b64 s[34:35], vcc
	s_cbranch_execz .LBB4_6025
; %bb.6017:                             ;   in Loop: Header=BB4_2501 Depth=3
	s_mov_b32 s45, 0
	s_mov_b64 s[36:37], 0
                                        ; implicit-def: $sgpr38_sgpr39
                                        ; implicit-def: $sgpr48_sgpr49
	s_branch .LBB4_6019
.LBB4_6018:                             ;   in Loop: Header=BB4_6019 Depth=4
	s_or_b64 exec, exec, s[52:53]
	s_and_b64 vcc, exec, vcc
	s_or_b64 s[36:37], vcc, s[36:37]
	s_andn2_b64 vcc, s[38:39], exec
	s_and_b64 s[38:39], s[48:49], exec
	s_or_b64 s[38:39], vcc, s[38:39]
	s_andn2_b64 exec, exec, s[36:37]
	s_cbranch_execz .LBB4_6023
.LBB4_6019:                             ;   Parent Loop BB4_47 Depth=1
                                        ;     Parent Loop BB4_2498 Depth=2
                                        ;       Parent Loop BB4_2501 Depth=3
                                        ; =>      This Inner Loop Header: Depth=4
	s_add_i32 s45, s45, 1
	s_cmpk_lg_i32 s45, 0x2710
	s_cselect_b64 s[50:51], -1, 0
	s_and_b64 vcc, exec, s[50:51]
	s_cbranch_vccz .LBB4_6021
; %bb.6020:                             ;   in Loop: Header=BB4_6019 Depth=4
	s_mov_b64 vcc, -1
	s_or_b64 s[48:49], s[48:49], exec
	s_and_saveexec_b64 s[52:53], s[50:51]
	s_cbranch_execz .LBB4_6018
	s_branch .LBB4_6022
.LBB4_6021:                             ;   in Loop: Header=BB4_6019 Depth=4
	s_trap 2
	ds_read_b64 v[1:2], v0
	s_andn2_b64 s[50:51], s[50:51], exec
	s_mov_b32 s45, 0
	s_waitcnt vmcnt(0) lgkmcnt(0)
	flat_load_dword v1, v[1:2] glc
	s_waitcnt vmcnt(0) lgkmcnt(0)
	buffer_wbinvl1_vol
	v_cmp_eq_u32_e32 vcc, 0, v1
	s_and_b64 vcc, vcc, exec
	s_or_b64 s[50:51], s[50:51], vcc
	s_mov_b64 vcc, -1
	s_or_b64 s[48:49], s[48:49], exec
	s_and_saveexec_b64 s[52:53], s[50:51]
	s_cbranch_execz .LBB4_6018
.LBB4_6022:                             ;   in Loop: Header=BB4_6019 Depth=4
	s_sleep 1
	s_trap 2
	ds_read_b64 v[1:2], v0
	s_waitcnt lgkmcnt(0)
	buffer_load_dword v6, off, s[0:3], s33 offset:72 ; 4-byte Folded Reload
	buffer_load_dword v7, off, s[0:3], s33 offset:76 ; 4-byte Folded Reload
	s_andn2_b64 s[48:49], s[48:49], exec
	s_waitcnt vmcnt(0)
	v_cmp_ge_u64_e32 vcc, v[1:2], v[6:7]
	s_orn2_b64 vcc, vcc, exec
	s_branch .LBB4_6018
.LBB4_6023:                             ;   in Loop: Header=BB4_2501 Depth=3
	s_or_b64 exec, exec, s[36:37]
	s_and_saveexec_b64 vcc, s[38:39]
	s_xor_b64 vcc, exec, vcc
	s_cbranch_execz .LBB4_6025
; %bb.6024:                             ;   in Loop: Header=BB4_2501 Depth=3
	v_mov_b32_e32 v1, 1
	ds_write_b32 v0, v1
	s_trap 2
.LBB4_6025:                             ;   in Loop: Header=BB4_2501 Depth=3
	s_or_b64 exec, exec, s[34:35]
	;;#ASMSTART
	s_wakeup
	;;#ASMEND
.LBB4_6026:                             ;   in Loop: Header=BB4_2501 Depth=3
	s_or_b64 exec, exec, s[30:31]
.LBB4_6027:                             ;   in Loop: Header=BB4_2501 Depth=3
	s_andn2_saveexec_b64 s[94:95], s[94:95]
	s_cbranch_execz .LBB4_6029
; %bb.6028:                             ;   in Loop: Header=BB4_2501 Depth=3
	s_waitcnt vmcnt(0) lgkmcnt(0)
	buffer_wbinvl1_vol
	s_barrier
.LBB4_6029:                             ;   in Loop: Header=BB4_2501 Depth=3
	s_or_b64 exec, exec, s[94:95]
	s_or_b64 exec, exec, s[40:41]
                                        ; implicit-def: $vgpr1
	s_and_saveexec_b64 s[40:41], s[24:25]
	s_xor_b64 s[40:41], exec, s[40:41]
	s_cbranch_execnz .LBB4_2577
.LBB4_6030:                             ;   in Loop: Header=BB4_2501 Depth=3
	s_andn2_saveexec_b64 s[28:29], s[40:41]
	s_cbranch_execz .LBB4_6049
.LBB4_6031:                             ;   in Loop: Header=BB4_2501 Depth=3
	s_and_saveexec_b64 s[40:41], s[58:59]
	s_xor_b64 s[40:41], exec, s[40:41]
	s_cbranch_execz .LBB4_6046
; %bb.6032:                             ;   in Loop: Header=BB4_2501 Depth=3
	s_and_saveexec_b64 s[94:95], s[16:17]
	s_cbranch_execz .LBB4_6045
; %bb.6033:                             ;   in Loop: Header=BB4_2501 Depth=3
	s_mov_b64 s[34:35], exec
	v_mbcnt_lo_u32_b32 v1, s34, 0
	v_mbcnt_hi_u32_b32 v1, s35, v1
	v_cmp_eq_u32_e32 vcc, 0, v1
	;;#ASMSTART
	s_waitcnt lgkmcnt(0) vmcnt(0)
	;;#ASMEND
	s_and_saveexec_b64 s[30:31], vcc
	s_cbranch_execz .LBB4_6035
; %bb.6034:                             ;   in Loop: Header=BB4_2501 Depth=3
	s_bcnt1_i32_b64 s45, s[34:35]
	v_mov_b32_e32 v1, s45
	v_mov_b32_e32 v2, v3
	s_waitcnt lgkmcnt(0)
	ds_add_u64 v0, v[1:2]
	s_trap 2
.LBB4_6035:                             ;   in Loop: Header=BB4_2501 Depth=3
	s_or_b64 exec, exec, s[30:31]
	s_trap 2
	ds_read_b64 v[1:2], v0
	s_waitcnt lgkmcnt(0)
	buffer_load_dword v6, off, s[0:3], s33 offset:72 ; 4-byte Folded Reload
	buffer_load_dword v7, off, s[0:3], s33 offset:76 ; 4-byte Folded Reload
	;; [unrolled: 1-line block ×3, first 2 shown]
	s_waitcnt vmcnt(0)
	v_add_co_u32_e32 v6, vcc, v6, v4
	v_addc_co_u32_e32 v7, vcc, 0, v7, vcc
	buffer_store_dword v6, off, s[0:3], s33 offset:72 ; 4-byte Folded Spill
	s_nop 0
	buffer_store_dword v7, off, s[0:3], s33 offset:76 ; 4-byte Folded Spill
	v_cmp_lt_u64_e32 vcc, v[1:2], v[6:7]
	s_and_saveexec_b64 s[30:31], vcc
	s_cbranch_execz .LBB4_6044
; %bb.6036:                             ;   in Loop: Header=BB4_2501 Depth=3
	s_mov_b32 s45, 0
	s_mov_b64 s[34:35], 0
                                        ; implicit-def: $sgpr36_sgpr37
                                        ; implicit-def: $sgpr38_sgpr39
	s_branch .LBB4_6038
.LBB4_6037:                             ;   in Loop: Header=BB4_6038 Depth=4
	s_or_b64 exec, exec, s[50:51]
	s_and_b64 vcc, exec, vcc
	s_or_b64 s[34:35], vcc, s[34:35]
	s_andn2_b64 vcc, s[36:37], exec
	s_and_b64 s[36:37], s[38:39], exec
	s_or_b64 s[36:37], vcc, s[36:37]
	s_andn2_b64 exec, exec, s[34:35]
	s_cbranch_execz .LBB4_6042
.LBB4_6038:                             ;   Parent Loop BB4_47 Depth=1
                                        ;     Parent Loop BB4_2498 Depth=2
                                        ;       Parent Loop BB4_2501 Depth=3
                                        ; =>      This Inner Loop Header: Depth=4
	s_add_i32 s45, s45, 1
	s_cmpk_lg_i32 s45, 0x2710
	s_cselect_b64 s[48:49], -1, 0
	s_and_b64 vcc, exec, s[48:49]
	s_cbranch_vccz .LBB4_6040
; %bb.6039:                             ;   in Loop: Header=BB4_6038 Depth=4
	s_mov_b64 vcc, -1
	s_or_b64 s[38:39], s[38:39], exec
	s_and_saveexec_b64 s[50:51], s[48:49]
	s_cbranch_execz .LBB4_6037
	s_branch .LBB4_6041
.LBB4_6040:                             ;   in Loop: Header=BB4_6038 Depth=4
	s_trap 2
	ds_read_b64 v[1:2], v0
	s_andn2_b64 s[48:49], s[48:49], exec
	s_mov_b32 s45, 0
	s_waitcnt vmcnt(0) lgkmcnt(0)
	flat_load_dword v1, v[1:2] glc
	s_waitcnt vmcnt(0) lgkmcnt(0)
	buffer_wbinvl1_vol
	v_cmp_eq_u32_e32 vcc, 0, v1
	s_and_b64 vcc, vcc, exec
	s_or_b64 s[48:49], s[48:49], vcc
	s_mov_b64 vcc, -1
	s_or_b64 s[38:39], s[38:39], exec
	s_and_saveexec_b64 s[50:51], s[48:49]
	s_cbranch_execz .LBB4_6037
.LBB4_6041:                             ;   in Loop: Header=BB4_6038 Depth=4
	s_sleep 1
	s_trap 2
	ds_read_b64 v[1:2], v0
	s_waitcnt lgkmcnt(0)
	buffer_load_dword v6, off, s[0:3], s33 offset:72 ; 4-byte Folded Reload
	buffer_load_dword v7, off, s[0:3], s33 offset:76 ; 4-byte Folded Reload
	s_andn2_b64 s[38:39], s[38:39], exec
	s_waitcnt vmcnt(0)
	v_cmp_ge_u64_e32 vcc, v[1:2], v[6:7]
	s_orn2_b64 vcc, vcc, exec
	s_branch .LBB4_6037
.LBB4_6042:                             ;   in Loop: Header=BB4_2501 Depth=3
	s_or_b64 exec, exec, s[34:35]
	s_and_saveexec_b64 vcc, s[36:37]
	s_xor_b64 vcc, exec, vcc
	s_cbranch_execz .LBB4_6044
; %bb.6043:                             ;   in Loop: Header=BB4_2501 Depth=3
	v_mov_b32_e32 v1, 1
	ds_write_b32 v0, v1
	s_trap 2
.LBB4_6044:                             ;   in Loop: Header=BB4_2501 Depth=3
	s_or_b64 exec, exec, s[30:31]
	;;#ASMSTART
	s_wakeup
	;;#ASMEND
.LBB4_6045:                             ;   in Loop: Header=BB4_2501 Depth=3
	s_or_b64 exec, exec, s[94:95]
.LBB4_6046:                             ;   in Loop: Header=BB4_2501 Depth=3
	s_andn2_saveexec_b64 s[40:41], s[40:41]
	s_cbranch_execz .LBB4_6048
; %bb.6047:                             ;   in Loop: Header=BB4_2501 Depth=3
	;;#ASMSTART
	s_waitcnt lgkmcnt(0) vmcnt(0)
	;;#ASMEND
	s_waitcnt vmcnt(0) lgkmcnt(0)
	s_barrier
.LBB4_6048:                             ;   in Loop: Header=BB4_2501 Depth=3
	s_or_b64 exec, exec, s[40:41]
	v_and_b32_e32 v1, 16, v19
.LBB4_6049:                             ;   in Loop: Header=BB4_2501 Depth=3
	s_or_b64 exec, exec, s[28:29]
	v_cmp_ne_u32_e32 vcc, 0, v1
	s_xor_b64 s[28:29], s[12:13], -1
	s_and_b64 s[40:41], vcc, s[28:29]
	s_and_saveexec_b64 s[28:29], s[40:41]
	s_cbranch_execz .LBB4_6051
; %bb.6050:                             ;   in Loop: Header=BB4_2501 Depth=3
	buffer_load_dword v1, off, s[0:3], s33 offset:136 ; 4-byte Folded Reload
	buffer_load_dword v2, off, s[0:3], s33 offset:140 ; 4-byte Folded Reload
	v_mov_b32_e32 v4, 1
	s_waitcnt vmcnt(0)
	flat_store_dword v[1:2], v4
.LBB4_6051:                             ;   in Loop: Header=BB4_2501 Depth=3
	s_or_b64 exec, exec, s[28:29]
	v_and_b32_e32 v1, 48, v19
	v_cmp_ne_u32_e32 vcc, 0, v1
	s_and_saveexec_b64 s[28:29], vcc
	s_cbranch_execz .LBB4_2500
; %bb.6052:                             ;   in Loop: Header=BB4_2501 Depth=3
	buffer_load_dword v6, off, s[0:3], s33 offset:80 ; 4-byte Folded Reload
	buffer_load_dword v7, off, s[0:3], s33 offset:84 ; 4-byte Folded Reload
	;; [unrolled: 1-line block ×4, first 2 shown]
	s_waitcnt vmcnt(0)
	v_add_co_u32_e32 v6, vcc, 2, v6
	v_addc_co_u32_e32 v7, vcc, 0, v7, vcc
	buffer_store_dword v6, off, s[0:3], s33 offset:80 ; 4-byte Folded Spill
	s_nop 0
	buffer_store_dword v7, off, s[0:3], s33 offset:84 ; 4-byte Folded Spill
	flat_store_dwordx2 v[1:2], v[6:7]
	s_branch .LBB4_2500
.LBB4_6053:                             ;   in Loop: Header=BB4_2498 Depth=2
	s_or_b64 exec, exec, s[90:91]
.LBB4_6054:                             ;   in Loop: Header=BB4_2498 Depth=2
	s_or_b64 exec, exec, s[42:43]
	v_cmp_gt_i32_e32 vcc, 2, v1
	s_and_saveexec_b64 s[40:41], vcc
	s_cbranch_execz .LBB4_2497
; %bb.6055:                             ;   in Loop: Header=BB4_2498 Depth=2
	v_cmp_eq_u32_e64 s[90:91], 0, v1
	s_mov_b64 s[42:43], 0
	s_branch .LBB4_6057
.LBB4_6056:                             ;   in Loop: Header=BB4_6057 Depth=3
	s_or_b64 exec, exec, s[28:29]
	v_add_u32_e32 v0, v52, v0
	s_mov_b64 s[90:91], 0
	s_andn2_b64 exec, exec, s[42:43]
	s_cbranch_execz .LBB4_2496
.LBB4_6057:                             ;   Parent Loop BB4_47 Depth=1
                                        ;     Parent Loop BB4_2498 Depth=2
                                        ; =>    This Loop Header: Depth=3
                                        ;         Child Loop BB4_6063 Depth 4
                                        ;         Child Loop BB4_6091 Depth 4
	;; [unrolled: 1-line block ×3, first 2 shown]
	buffer_load_dword v1, off, s[0:3], s33 offset:96 ; 4-byte Folded Reload
	s_waitcnt vmcnt(0)
	v_sub_u32_e32 v1, v1, v0
	v_min_i32_e32 v52, v52, v1
	v_and_b32_e32 v1, 12, v19
	v_cmp_ne_u32_e32 vcc, 0, v1
	s_and_saveexec_b64 s[92:93], vcc
	s_cbranch_execz .LBB4_6083
; %bb.6058:                             ;   in Loop: Header=BB4_6057 Depth=3
	buffer_load_dword v6, off, s[0:3], s33 offset:56 ; 4-byte Folded Reload
	buffer_load_dword v7, off, s[0:3], s33 offset:60 ; 4-byte Folded Reload
	buffer_load_dword v8, off, s[0:3], s33 offset:80 ; 4-byte Folded Reload
	buffer_load_dword v9, off, s[0:3], s33 offset:84 ; 4-byte Folded Reload
	v_and_b32_e32 v1, 8, v19
	s_waitcnt vmcnt(0)
	v_add_co_u32_e32 v6, vcc, v6, v1
	v_addc_co_u32_e32 v7, vcc, 0, v7, vcc
	v_add_co_u32_e32 v8, vcc, 2, v8
	v_addc_co_u32_e32 v9, vcc, 0, v9, vcc
	v_cmp_lt_u64_e32 vcc, v[6:7], v[8:9]
	s_and_saveexec_b64 s[94:95], vcc
	s_cbranch_execz .LBB4_6070
; %bb.6059:                             ;   in Loop: Header=BB4_6057 Depth=3
	v_and_b32_e32 v2, 64, v19
	s_mov_b32 s44, 0
	v_cmp_eq_u32_e32 vcc, 0, v2
	s_mov_b64 s[30:31], 0
                                        ; implicit-def: $sgpr34_sgpr35
                                        ; implicit-def: $sgpr36_sgpr37
                                        ; implicit-def: $sgpr38_sgpr39
	s_branch .LBB4_6063
.LBB4_6060:                             ;   in Loop: Header=BB4_6063 Depth=4
	buffer_load_dword v6, off, s[0:3], s33 offset:56 ; 4-byte Folded Reload
	buffer_load_dword v7, off, s[0:3], s33 offset:60 ; 4-byte Folded Reload
	s_or_b64 s[52:53], s[52:53], exec
	s_waitcnt vmcnt(1)
	v_add_co_u32_e64 v6, s[28:29], v6, v1
	s_waitcnt vmcnt(0)
	v_addc_co_u32_e64 v7, s[28:29], 0, v7, s[28:29]
	v_cmp_ge_u64_e64 s[28:29], v[6:7], v[8:9]
	s_orn2_b64 s[50:51], s[28:29], exec
.LBB4_6061:                             ;   in Loop: Header=BB4_6063 Depth=4
	s_or_b64 exec, exec, s[64:65]
	s_andn2_b64 s[28:29], s[38:39], exec
	s_and_b64 s[38:39], s[52:53], exec
	s_or_b64 s[38:39], s[28:29], s[38:39]
	s_andn2_b64 s[28:29], s[36:37], exec
	s_and_b64 s[36:37], s[50:51], exec
	s_or_b64 s[36:37], s[28:29], s[36:37]
.LBB4_6062:                             ;   in Loop: Header=BB4_6063 Depth=4
	s_or_b64 exec, exec, s[48:49]
	s_and_b64 s[28:29], exec, s[36:37]
	s_or_b64 s[30:31], s[28:29], s[30:31]
	s_andn2_b64 s[28:29], s[34:35], exec
	s_and_b64 s[34:35], s[38:39], exec
	s_or_b64 s[34:35], s[28:29], s[34:35]
	s_andn2_b64 exec, exec, s[30:31]
	s_cbranch_execz .LBB4_6067
.LBB4_6063:                             ;   Parent Loop BB4_47 Depth=1
                                        ;     Parent Loop BB4_2498 Depth=2
                                        ;       Parent Loop BB4_6057 Depth=3
                                        ; =>      This Inner Loop Header: Depth=4
	s_sleep 1
	buffer_load_dword v6, off, s[0:3], s33 offset:64 ; 4-byte Folded Reload
	buffer_load_dword v7, off, s[0:3], s33 offset:68 ; 4-byte Folded Reload
	s_or_b64 s[38:39], s[38:39], exec
	s_or_b64 s[36:37], s[36:37], exec
                                        ; implicit-def: $vgpr2
	s_waitcnt vmcnt(0)
	flat_load_dwordx2 v[6:7], v[6:7] glc
	s_waitcnt vmcnt(0) lgkmcnt(0)
	buffer_store_dword v6, off, s[0:3], s33 offset:56 ; 4-byte Folded Spill
	s_nop 0
	buffer_store_dword v7, off, s[0:3], s33 offset:60 ; 4-byte Folded Spill
	s_and_saveexec_b64 s[48:49], vcc
	s_cbranch_execz .LBB4_6062
; %bb.6064:                             ;   in Loop: Header=BB4_6063 Depth=4
	s_cmpk_lt_i32 s44, 0x270f
	s_cselect_b64 s[54:55], -1, 0
	s_cmpk_gt_i32 s44, 0x270e
	s_mov_b64 s[50:51], -1
	s_cbranch_scc0 .LBB4_6066
; %bb.6065:                             ;   in Loop: Header=BB4_6063 Depth=4
	s_trap 2
	ds_read_b64 v[6:7], v0
	s_andn2_b64 s[54:55], s[54:55], exec
	s_mov_b32 s44, 0
	s_mov_b64 s[52:53], 0
	s_waitcnt vmcnt(0) lgkmcnt(0)
	flat_load_dword v2, v[6:7] glc
	s_waitcnt vmcnt(0) lgkmcnt(0)
	buffer_wbinvl1_vol
	v_cmp_eq_u32_e64 s[28:29], 0, v2
	s_and_b64 s[28:29], s[28:29], exec
	s_or_b64 s[54:55], s[54:55], s[28:29]
	s_and_saveexec_b64 s[64:65], s[54:55]
	s_cbranch_execz .LBB4_6061
	s_branch .LBB4_6060
.LBB4_6066:                             ;   in Loop: Header=BB4_6063 Depth=4
	s_add_i32 s44, s44, 1
	s_mov_b64 s[52:53], -1
                                        ; implicit-def: $vgpr2
	s_and_saveexec_b64 s[64:65], s[54:55]
	s_cbranch_execz .LBB4_6061
	s_branch .LBB4_6060
.LBB4_6067:                             ;   in Loop: Header=BB4_6057 Depth=3
	s_or_b64 exec, exec, s[30:31]
	s_xor_b64 s[28:29], s[34:35], -1
	s_and_saveexec_b64 s[44:45], s[28:29]
	s_xor_b64 s[28:29], exec, s[44:45]
	s_cbranch_execz .LBB4_6069
; %bb.6068:                             ;   in Loop: Header=BB4_6057 Depth=3
	v_or_b32_e32 v19, 64, v19
	ds_write_b32 v0, v2
	s_trap 2
.LBB4_6069:                             ;   in Loop: Header=BB4_6057 Depth=3
	s_or_b64 exec, exec, s[28:29]
.LBB4_6070:                             ;   in Loop: Header=BB4_6057 Depth=3
	s_or_b64 exec, exec, s[94:95]
	v_and_b32_e32 v2, 0x108, v19
	v_cmp_ne_u32_e32 vcc, s81, v2
	;;#ASMSTART
	s_wakeup
	;;#ASMEND
                                        ; implicit-def: $vgpr10_vgpr11
	s_and_saveexec_b64 s[28:29], vcc
	s_xor_b64 s[28:29], exec, s[28:29]
	s_cbranch_execz .LBB4_6072
; %bb.6071:                             ;   in Loop: Header=BB4_6057 Depth=3
	buffer_load_dword v6, off, s[0:3], s33 offset:80 ; 4-byte Folded Reload
	buffer_load_dword v7, off, s[0:3], s33 offset:84 ; 4-byte Folded Reload
	v_mov_b32_e32 v11, v3
	s_waitcnt vmcnt(0)
	v_and_b32_e32 v10, 7, v6
                                        ; implicit-def: $vgpr6_vgpr7
                                        ; kill: killed $vgpr6_vgpr7
.LBB4_6072:                             ;   in Loop: Header=BB4_6057 Depth=3
	s_andn2_saveexec_b64 s[28:29], s[28:29]
	s_cbranch_execz .LBB4_6074
; %bb.6073:                             ;   in Loop: Header=BB4_6057 Depth=3
	buffer_load_dword v6, off, s[0:3], s33 offset:80 ; 4-byte Folded Reload
	buffer_load_dword v7, off, s[0:3], s33 offset:84 ; 4-byte Folded Reload
	;; [unrolled: 1-line block ×6, first 2 shown]
	v_ashrrev_i32_e32 v53, 31, v52
	s_waitcnt vmcnt(0)
	v_and_b32_e32 v10, 7, v6
	v_mad_u64_u32 v[6:7], s[44:45], v10, 24, v[11:12]
	v_mov_b32_e32 v11, v3
	flat_store_dwordx2 v[6:7], v[52:53] offset:8
.LBB4_6074:                             ;   in Loop: Header=BB4_6057 Depth=3
	s_or_b64 exec, exec, s[28:29]
	v_and_b32_e32 v2, 0x100, v19
	v_cmp_ne_u32_e32 vcc, 0, v2
	s_mov_b64 s[28:29], -1
                                        ; implicit-def: $vgpr12_vgpr13
	s_and_saveexec_b64 s[94:95], vcc
	s_cbranch_execz .LBB4_6078
; %bb.6075:                             ;   in Loop: Header=BB4_6057 Depth=3
	buffer_load_dword v12, off, s[0:3], s33 offset:120 ; 4-byte Folded Reload
	buffer_load_dword v13, off, s[0:3], s33 offset:124 ; 4-byte Folded Reload
	;; [unrolled: 1-line block ×4, first 2 shown]
	s_waitcnt vmcnt(0)
	v_mad_u64_u32 v[14:15], s[28:29], v10, 24, v[12:13]
                                        ; implicit-def: $vgpr12_vgpr13
	v_mov_b32_e32 v2, v15
	v_mad_u64_u32 v[6:7], s[28:29], v11, 24, v[2:3]
	v_mov_b32_e32 v15, v6
	flat_load_dword v2, v[14:15]
	s_waitcnt vmcnt(0) lgkmcnt(0)
	v_cmp_ne_u32_e32 vcc, 1, v2
	v_cmp_eq_u32_e64 s[28:29], 1, v2
	s_and_saveexec_b64 s[30:31], s[28:29]
	s_cbranch_execz .LBB4_6077
; %bb.6076:                             ;   in Loop: Header=BB4_6057 Depth=3
	flat_load_dword v12, v[14:15] offset:4 glc
	s_waitcnt vmcnt(0) lgkmcnt(0)
	v_ashrrev_i32_e32 v13, 31, v12
.LBB4_6077:                             ;   in Loop: Header=BB4_6057 Depth=3
	s_or_b64 exec, exec, s[30:31]
	s_orn2_b64 s[28:29], vcc, exec
.LBB4_6078:                             ;   in Loop: Header=BB4_6057 Depth=3
	s_or_b64 exec, exec, s[94:95]
	s_and_saveexec_b64 s[94:95], s[28:29]
	s_cbranch_execz .LBB4_6080
; %bb.6079:                             ;   in Loop: Header=BB4_6057 Depth=3
	buffer_load_dword v6, off, s[0:3], s33 offset:152 ; 4-byte Folded Reload
	buffer_load_dword v4, off, s[0:3], s33 offset:172 ; 4-byte Folded Reload
	s_waitcnt vmcnt(0)
	v_mul_lo_u32 v2, v11, v6
	v_mul_lo_u32 v4, v10, v4
	v_mad_u64_u32 v[12:13], s[28:29], v10, v6, 0
	v_add3_u32 v13, v13, v4, v2
.LBB4_6080:                             ;   in Loop: Header=BB4_6057 Depth=3
	s_or_b64 exec, exec, s[94:95]
	v_cmp_eq_u32_e32 vcc, 0, v1
	v_mov_b32_e32 v1, 0xc8
	v_mov_b32_e32 v2, 0x90
	v_cndmask_b32_e32 v4, v1, v2, vcc
	buffer_load_dword v1, off, s[0:3], s33 offset:112 ; 4-byte Folded Reload
	buffer_load_dword v2, off, s[0:3], s33 offset:116 ; 4-byte Folded Reload
	v_add_u32_e32 v4, v0, v4
	s_waitcnt vmcnt(0)
	v_add_co_u32_e32 v1, vcc, v1, v12
	v_addc_co_u32_e32 v2, vcc, v2, v13, vcc
	ds_write_b64 v4, v[1:2] offset:584
	v_and_b32_e32 v1, 0x2000, v19
	v_cmp_ne_u32_e32 vcc, 0, v1
	s_and_saveexec_b64 s[28:29], vcc
	s_cbranch_execz .LBB4_6082
; %bb.6081:                             ;   in Loop: Header=BB4_6057 Depth=3
	ds_read_b64 v[1:2], v0 offset:872
	s_waitcnt lgkmcnt(0)
	v_add_co_u32_e32 v1, vcc, 1, v1
	v_addc_co_u32_e32 v2, vcc, 0, v2, vcc
	ds_write_b64 v0, v[1:2] offset:872
.LBB4_6082:                             ;   in Loop: Header=BB4_6057 Depth=3
	s_or_b64 exec, exec, s[28:29]
	buffer_store_dword v8, off, s[0:3], s33 offset:80 ; 4-byte Folded Spill
	s_nop 0
	buffer_store_dword v9, off, s[0:3], s33 offset:84 ; 4-byte Folded Spill
.LBB4_6083:                             ;   in Loop: Header=BB4_6057 Depth=3
	s_or_b64 exec, exec, s[92:93]
	s_xor_b64 s[28:29], s[90:91], -1
	s_and_b64 s[28:29], exec, s[28:29]
	s_or_b64 s[42:43], s[28:29], s[42:43]
	s_and_saveexec_b64 s[28:29], s[10:11]
	s_cbranch_execz .LBB4_6102
; %bb.6084:                             ;   in Loop: Header=BB4_6057 Depth=3
	s_and_saveexec_b64 s[44:45], s[58:59]
	s_xor_b64 s[90:91], exec, s[44:45]
	s_cbranch_execz .LBB4_6099
; %bb.6085:                             ;   in Loop: Header=BB4_6057 Depth=3
	s_and_saveexec_b64 s[92:93], s[16:17]
	s_cbranch_execz .LBB4_6098
; %bb.6086:                             ;   in Loop: Header=BB4_6057 Depth=3
	s_mov_b64 s[30:31], exec
	v_mbcnt_lo_u32_b32 v1, s30, 0
	v_mbcnt_hi_u32_b32 v1, s31, v1
	v_cmp_eq_u32_e32 vcc, 0, v1
	s_waitcnt vmcnt(0) lgkmcnt(0)
	buffer_wbinvl1_vol
	s_and_saveexec_b64 s[94:95], vcc
	s_cbranch_execz .LBB4_6088
; %bb.6087:                             ;   in Loop: Header=BB4_6057 Depth=3
	s_bcnt1_i32_b64 s44, s[30:31]
	v_mov_b32_e32 v1, s44
	v_mov_b32_e32 v2, v3
	ds_add_u64 v0, v[1:2]
	s_trap 2
.LBB4_6088:                             ;   in Loop: Header=BB4_6057 Depth=3
	s_or_b64 exec, exec, s[94:95]
	s_trap 2
	ds_read_b64 v[1:2], v0
	s_waitcnt lgkmcnt(0)
	buffer_load_dword v6, off, s[0:3], s33 offset:72 ; 4-byte Folded Reload
	buffer_load_dword v7, off, s[0:3], s33 offset:76 ; 4-byte Folded Reload
	;; [unrolled: 1-line block ×3, first 2 shown]
	s_waitcnt vmcnt(0)
	v_add_co_u32_e32 v6, vcc, v6, v4
	v_addc_co_u32_e32 v7, vcc, 0, v7, vcc
	buffer_store_dword v6, off, s[0:3], s33 offset:72 ; 4-byte Folded Spill
	s_nop 0
	buffer_store_dword v7, off, s[0:3], s33 offset:76 ; 4-byte Folded Spill
	v_cmp_lt_u64_e32 vcc, v[1:2], v[6:7]
	s_and_saveexec_b64 s[94:95], vcc
	s_cbranch_execz .LBB4_6097
; %bb.6089:                             ;   in Loop: Header=BB4_6057 Depth=3
	s_mov_b32 s44, 0
	s_mov_b64 s[30:31], 0
                                        ; implicit-def: $sgpr34_sgpr35
                                        ; implicit-def: $sgpr36_sgpr37
	s_branch .LBB4_6091
.LBB4_6090:                             ;   in Loop: Header=BB4_6091 Depth=4
	s_or_b64 exec, exec, s[48:49]
	s_and_b64 vcc, exec, vcc
	s_or_b64 s[30:31], vcc, s[30:31]
	s_andn2_b64 vcc, s[34:35], exec
	s_and_b64 s[34:35], s[36:37], exec
	s_or_b64 s[34:35], vcc, s[34:35]
	s_andn2_b64 exec, exec, s[30:31]
	s_cbranch_execz .LBB4_6095
.LBB4_6091:                             ;   Parent Loop BB4_47 Depth=1
                                        ;     Parent Loop BB4_2498 Depth=2
                                        ;       Parent Loop BB4_6057 Depth=3
                                        ; =>      This Inner Loop Header: Depth=4
	s_add_i32 s44, s44, 1
	s_cmpk_lg_i32 s44, 0x2710
	s_cselect_b64 s[38:39], -1, 0
	s_and_b64 vcc, exec, s[38:39]
	s_cbranch_vccz .LBB4_6093
; %bb.6092:                             ;   in Loop: Header=BB4_6091 Depth=4
	s_mov_b64 vcc, -1
	s_or_b64 s[36:37], s[36:37], exec
	s_and_saveexec_b64 s[48:49], s[38:39]
	s_cbranch_execz .LBB4_6090
	s_branch .LBB4_6094
.LBB4_6093:                             ;   in Loop: Header=BB4_6091 Depth=4
	s_trap 2
	ds_read_b64 v[1:2], v0
	s_andn2_b64 s[38:39], s[38:39], exec
	s_mov_b32 s44, 0
	s_waitcnt vmcnt(0) lgkmcnt(0)
	flat_load_dword v1, v[1:2] glc
	s_waitcnt vmcnt(0) lgkmcnt(0)
	buffer_wbinvl1_vol
	v_cmp_eq_u32_e32 vcc, 0, v1
	s_and_b64 vcc, vcc, exec
	s_or_b64 s[38:39], s[38:39], vcc
	s_mov_b64 vcc, -1
	s_or_b64 s[36:37], s[36:37], exec
	s_and_saveexec_b64 s[48:49], s[38:39]
	s_cbranch_execz .LBB4_6090
.LBB4_6094:                             ;   in Loop: Header=BB4_6091 Depth=4
	s_sleep 1
	s_trap 2
	ds_read_b64 v[1:2], v0
	s_waitcnt lgkmcnt(0)
	buffer_load_dword v6, off, s[0:3], s33 offset:72 ; 4-byte Folded Reload
	buffer_load_dword v7, off, s[0:3], s33 offset:76 ; 4-byte Folded Reload
	s_andn2_b64 s[36:37], s[36:37], exec
	s_waitcnt vmcnt(0)
	v_cmp_ge_u64_e32 vcc, v[1:2], v[6:7]
	s_orn2_b64 vcc, vcc, exec
	s_branch .LBB4_6090
.LBB4_6095:                             ;   in Loop: Header=BB4_6057 Depth=3
	s_or_b64 exec, exec, s[30:31]
	s_and_saveexec_b64 s[44:45], s[34:35]
	s_xor_b64 s[44:45], exec, s[44:45]
	s_cbranch_execz .LBB4_6097
; %bb.6096:                             ;   in Loop: Header=BB4_6057 Depth=3
	v_mov_b32_e32 v1, 1
	ds_write_b32 v0, v1
	s_trap 2
.LBB4_6097:                             ;   in Loop: Header=BB4_6057 Depth=3
	s_or_b64 exec, exec, s[94:95]
	;;#ASMSTART
	s_wakeup
	;;#ASMEND
.LBB4_6098:                             ;   in Loop: Header=BB4_6057 Depth=3
	s_or_b64 exec, exec, s[92:93]
.LBB4_6099:                             ;   in Loop: Header=BB4_6057 Depth=3
	s_andn2_saveexec_b64 s[90:91], s[90:91]
	s_cbranch_execz .LBB4_6101
; %bb.6100:                             ;   in Loop: Header=BB4_6057 Depth=3
	s_waitcnt vmcnt(0) lgkmcnt(0)
	buffer_wbinvl1_vol
	s_barrier
.LBB4_6101:                             ;   in Loop: Header=BB4_6057 Depth=3
	s_or_b64 exec, exec, s[90:91]
.LBB4_6102:                             ;   in Loop: Header=BB4_6057 Depth=3
	s_or_b64 exec, exec, s[28:29]
                                        ; implicit-def: $vgpr1
	s_and_saveexec_b64 s[28:29], s[78:79]
	s_xor_b64 s[28:29], exec, s[28:29]
	s_cbranch_execz .LBB4_6114
; %bb.6103:                             ;   in Loop: Header=BB4_6057 Depth=3
	s_and_saveexec_b64 s[44:45], s[58:59]
	s_xor_b64 s[90:91], exec, s[44:45]
	s_cbranch_execz .LBB4_6119
; %bb.6104:                             ;   in Loop: Header=BB4_6057 Depth=3
	s_and_saveexec_b64 s[92:93], s[16:17]
	s_cbranch_execz .LBB4_6118
; %bb.6105:                             ;   in Loop: Header=BB4_6057 Depth=3
	s_mov_b64 s[30:31], exec
	v_mbcnt_lo_u32_b32 v1, s30, 0
	v_mbcnt_hi_u32_b32 v1, s31, v1
	v_cmp_eq_u32_e32 vcc, 0, v1
	;;#ASMSTART
	s_waitcnt lgkmcnt(0) vmcnt(0)
	;;#ASMEND
	s_and_saveexec_b64 s[94:95], vcc
	s_cbranch_execz .LBB4_6107
; %bb.6106:                             ;   in Loop: Header=BB4_6057 Depth=3
	s_bcnt1_i32_b64 s44, s[30:31]
	v_mov_b32_e32 v1, s44
	v_mov_b32_e32 v2, v3
	s_waitcnt lgkmcnt(0)
	ds_add_u64 v0, v[1:2]
	s_trap 2
.LBB4_6107:                             ;   in Loop: Header=BB4_6057 Depth=3
	s_or_b64 exec, exec, s[94:95]
	s_trap 2
	ds_read_b64 v[1:2], v0
	s_waitcnt lgkmcnt(0)
	buffer_load_dword v6, off, s[0:3], s33 offset:72 ; 4-byte Folded Reload
	buffer_load_dword v7, off, s[0:3], s33 offset:76 ; 4-byte Folded Reload
	;; [unrolled: 1-line block ×3, first 2 shown]
	s_waitcnt vmcnt(0)
	v_add_co_u32_e32 v6, vcc, v6, v4
	v_addc_co_u32_e32 v7, vcc, 0, v7, vcc
	buffer_store_dword v6, off, s[0:3], s33 offset:72 ; 4-byte Folded Spill
	s_nop 0
	buffer_store_dword v7, off, s[0:3], s33 offset:76 ; 4-byte Folded Spill
	v_cmp_lt_u64_e32 vcc, v[1:2], v[6:7]
	s_and_saveexec_b64 s[94:95], vcc
	s_cbranch_execz .LBB4_6117
; %bb.6108:                             ;   in Loop: Header=BB4_6057 Depth=3
	s_mov_b32 s44, 0
	s_mov_b64 s[30:31], 0
                                        ; implicit-def: $sgpr34_sgpr35
                                        ; implicit-def: $sgpr36_sgpr37
	s_branch .LBB4_6110
.LBB4_6109:                             ;   in Loop: Header=BB4_6110 Depth=4
	s_or_b64 exec, exec, s[48:49]
	s_and_b64 vcc, exec, vcc
	s_or_b64 s[30:31], vcc, s[30:31]
	s_andn2_b64 vcc, s[34:35], exec
	s_and_b64 s[34:35], s[36:37], exec
	s_or_b64 s[34:35], vcc, s[34:35]
	s_andn2_b64 exec, exec, s[30:31]
	s_cbranch_execz .LBB4_6115
.LBB4_6110:                             ;   Parent Loop BB4_47 Depth=1
                                        ;     Parent Loop BB4_2498 Depth=2
                                        ;       Parent Loop BB4_6057 Depth=3
                                        ; =>      This Inner Loop Header: Depth=4
	s_add_i32 s44, s44, 1
	s_cmpk_lg_i32 s44, 0x2710
	s_cselect_b64 s[38:39], -1, 0
	s_and_b64 vcc, exec, s[38:39]
	s_cbranch_vccz .LBB4_6112
; %bb.6111:                             ;   in Loop: Header=BB4_6110 Depth=4
	s_mov_b64 vcc, -1
	s_or_b64 s[36:37], s[36:37], exec
	s_and_saveexec_b64 s[48:49], s[38:39]
	s_cbranch_execz .LBB4_6109
	s_branch .LBB4_6113
.LBB4_6112:                             ;   in Loop: Header=BB4_6110 Depth=4
	s_trap 2
	ds_read_b64 v[1:2], v0
	s_andn2_b64 s[38:39], s[38:39], exec
	s_mov_b32 s44, 0
	s_waitcnt vmcnt(0) lgkmcnt(0)
	flat_load_dword v1, v[1:2] glc
	s_waitcnt vmcnt(0) lgkmcnt(0)
	buffer_wbinvl1_vol
	v_cmp_eq_u32_e32 vcc, 0, v1
	s_and_b64 vcc, vcc, exec
	s_or_b64 s[38:39], s[38:39], vcc
	s_mov_b64 vcc, -1
	s_or_b64 s[36:37], s[36:37], exec
	s_and_saveexec_b64 s[48:49], s[38:39]
	s_cbranch_execz .LBB4_6109
.LBB4_6113:                             ;   in Loop: Header=BB4_6110 Depth=4
	s_sleep 1
	s_trap 2
	ds_read_b64 v[1:2], v0
	s_waitcnt lgkmcnt(0)
	buffer_load_dword v6, off, s[0:3], s33 offset:72 ; 4-byte Folded Reload
	buffer_load_dword v7, off, s[0:3], s33 offset:76 ; 4-byte Folded Reload
	s_andn2_b64 s[36:37], s[36:37], exec
	s_waitcnt vmcnt(0)
	v_cmp_ge_u64_e32 vcc, v[1:2], v[6:7]
	s_orn2_b64 vcc, vcc, exec
	s_branch .LBB4_6109
.LBB4_6114:                             ;   in Loop: Header=BB4_6057 Depth=3
	s_andn2_saveexec_b64 s[28:29], s[28:29]
	s_cbranch_execnz .LBB4_6122
	s_branch .LBB4_6125
.LBB4_6115:                             ;   in Loop: Header=BB4_6057 Depth=3
	s_or_b64 exec, exec, s[30:31]
	s_and_saveexec_b64 s[44:45], s[34:35]
	s_xor_b64 s[44:45], exec, s[44:45]
	s_cbranch_execz .LBB4_6117
; %bb.6116:                             ;   in Loop: Header=BB4_6057 Depth=3
	v_mov_b32_e32 v1, 1
	ds_write_b32 v0, v1
	s_trap 2
.LBB4_6117:                             ;   in Loop: Header=BB4_6057 Depth=3
	s_or_b64 exec, exec, s[94:95]
	;;#ASMSTART
	s_wakeup
	;;#ASMEND
.LBB4_6118:                             ;   in Loop: Header=BB4_6057 Depth=3
	s_or_b64 exec, exec, s[92:93]
.LBB4_6119:                             ;   in Loop: Header=BB4_6057 Depth=3
	s_andn2_saveexec_b64 s[90:91], s[90:91]
	s_cbranch_execz .LBB4_6121
; %bb.6120:                             ;   in Loop: Header=BB4_6057 Depth=3
	;;#ASMSTART
	s_waitcnt lgkmcnt(0) vmcnt(0)
	;;#ASMEND
	s_waitcnt vmcnt(0) lgkmcnt(0)
	s_barrier
.LBB4_6121:                             ;   in Loop: Header=BB4_6057 Depth=3
	s_or_b64 exec, exec, s[90:91]
	v_and_b32_e32 v1, 16, v19
	s_andn2_saveexec_b64 s[28:29], s[28:29]
	s_cbranch_execz .LBB4_6125
.LBB4_6122:                             ;   in Loop: Header=BB4_6057 Depth=3
	s_trap 2
	ds_read_b32 v1, v0
	v_cmp_lt_i32_e32 vcc, 0, v52
	v_and_b32_e32 v2, 16, v19
	s_waitcnt lgkmcnt(0)
	v_readfirstlane_b32 s44, v1
	s_cmp_eq_u32 s44, 0
	s_cselect_b64 s[44:45], -1, 0
	s_and_b64 s[44:45], vcc, s[44:45]
	v_cmp_ne_u32_e32 vcc, 0, v2
	v_and_b32_e32 v1, 16, v19
	s_and_b64 s[44:45], vcc, s[44:45]
	s_and_saveexec_b64 s[90:91], s[44:45]
	s_cbranch_execz .LBB4_6124
; %bb.6123:                             ;   in Loop: Header=BB4_6057 Depth=3
	v_mov_b32_e32 v1, 1
	s_waitcnt vmcnt(0)
	buffer_wbinvl1_vol
.LBB4_6124:                             ;   in Loop: Header=BB4_6057 Depth=3
	s_or_b64 exec, exec, s[90:91]
.LBB4_6125:                             ;   in Loop: Header=BB4_6057 Depth=3
	s_or_b64 exec, exec, s[28:29]
	v_cmp_ne_u32_e32 vcc, 0, v1
	s_xor_b64 s[28:29], s[12:13], -1
	s_and_b64 s[44:45], vcc, s[28:29]
	s_and_saveexec_b64 s[28:29], s[44:45]
	s_cbranch_execz .LBB4_6127
; %bb.6126:                             ;   in Loop: Header=BB4_6057 Depth=3
	buffer_load_dword v1, off, s[0:3], s33 offset:136 ; 4-byte Folded Reload
	buffer_load_dword v2, off, s[0:3], s33 offset:140 ; 4-byte Folded Reload
	v_mov_b32_e32 v4, 1
	s_waitcnt vmcnt(0)
	flat_store_dword v[1:2], v4
.LBB4_6127:                             ;   in Loop: Header=BB4_6057 Depth=3
	s_or_b64 exec, exec, s[28:29]
	v_and_b32_e32 v1, 48, v19
	v_cmp_ne_u32_e32 vcc, 0, v1
	s_and_saveexec_b64 s[28:29], vcc
	s_cbranch_execz .LBB4_6056
; %bb.6128:                             ;   in Loop: Header=BB4_6057 Depth=3
	buffer_load_dword v6, off, s[0:3], s33 offset:80 ; 4-byte Folded Reload
	buffer_load_dword v7, off, s[0:3], s33 offset:84 ; 4-byte Folded Reload
	;; [unrolled: 1-line block ×4, first 2 shown]
	s_waitcnt vmcnt(0)
	v_add_co_u32_e32 v6, vcc, 2, v6
	v_addc_co_u32_e32 v7, vcc, 0, v7, vcc
	buffer_store_dword v6, off, s[0:3], s33 offset:80 ; 4-byte Folded Spill
	s_nop 0
	buffer_store_dword v7, off, s[0:3], s33 offset:84 ; 4-byte Folded Spill
	flat_store_dwordx2 v[1:2], v[6:7]
	s_branch .LBB4_6056
.LBB4_6129:                             ;   in Loop: Header=BB4_47 Depth=1
	buffer_load_dword v6, off, s[0:3], s33 offset:348 ; 4-byte Folded Reload
	buffer_load_dword v7, off, s[0:3], s33 offset:352 ; 4-byte Folded Reload
	s_waitcnt vmcnt(0)
	v_mul_lo_u32 v1, v6, s67
	v_mul_lo_u32 v0, v7, s66
	v_mad_u64_u32 v[8:9], s[28:29], v6, s66, 0
	v_add3_u32 v9, v9, v1, v0
	buffer_load_dword v0, off, s[0:3], s33 offset:340 ; 4-byte Folded Reload
	buffer_load_dword v1, off, s[0:3], s33 offset:344 ; 4-byte Folded Reload
	s_waitcnt vmcnt(0)
	v_sub_co_u32_e32 v0, vcc, v0, v8
	v_subb_co_u32_e32 v1, vcc, v1, v9, vcc
	v_cmp_lt_i64_e32 vcc, v[6:7], v[0:1]
	v_cndmask_b32_e32 v1, v0, v6, vcc
	v_max_i32_e32 v16, 0, v1
	v_add_u32_e32 v2, 31, v16
	v_lshrrev_b32_e32 v2, 1, v2
	v_and_b32_e32 v2, 0x3ffffff0, v2
	v_cmp_lt_i32_e32 vcc, 0, v1
	v_mov_b32_e32 v0, 0
	v_max_i32_e32 v2, s87, v2
	s_and_b64 s[28:29], s[88:89], vcc
	v_mov_b32_e32 v1, 0
	buffer_store_dword v2, off, s[0:3], s33 offset:96 ; 4-byte Folded Spill
	s_nop 0
	buffer_store_dword v3, off, s[0:3], s33 offset:100 ; 4-byte Folded Spill
	buffer_store_dword v1, off, s[0:3], s33 offset:144 ; 4-byte Folded Spill
	s_and_saveexec_b64 s[90:91], s[28:29]
	s_cbranch_execnz .LBB4_6130
; %bb.13720:                            ;   in Loop: Header=BB4_47 Depth=1
	s_getpc_b64 s[98:99]
.Lpost_getpc11:
	s_add_u32 s98, s98, (.LBB4_13129-.Lpost_getpc11)&4294967295
	s_addc_u32 s99, s99, (.LBB4_13129-.Lpost_getpc11)>>32
	s_setpc_b64 s[98:99]
.LBB4_6130:                             ;   in Loop: Header=BB4_47 Depth=1
	buffer_load_dword v0, off, s[0:3], s33 offset:196 ; 4-byte Folded Reload
	s_mov_b32 s47, 1
	s_mov_b64 s[94:95], -1
	s_mov_b64 s[92:93], 0
	buffer_store_dword v16, off, s[0:3], s33 offset:272 ; 4-byte Folded Spill
	s_waitcnt vmcnt(0)
	v_add_co_u32_e32 v0, vcc, v8, v0
	buffer_store_dword v0, off, s[0:3], s33 offset:256 ; 4-byte Folded Spill
	buffer_load_dword v0, off, s[0:3], s33 offset:200 ; 4-byte Folded Reload
	s_waitcnt vmcnt(0)
	v_addc_co_u32_e32 v0, vcc, v9, v0, vcc
	buffer_store_dword v0, off, s[0:3], s33 offset:260 ; 4-byte Folded Spill
	v_mov_b32_e32 v0, 0
	buffer_store_dword v0, off, s[0:3], s33 offset:144 ; 4-byte Folded Spill
	s_branch .LBB4_6132
.LBB4_6131:                             ;   in Loop: Header=BB4_6132 Depth=2
	s_or_b64 exec, exec, s[28:29]
	buffer_load_dword v0, off, s[0:3], s33 offset:96 ; 4-byte Folded Reload
	buffer_load_dword v1, off, s[0:3], s33 offset:100 ; 4-byte Folded Reload
	;; [unrolled: 1-line block ×3, first 2 shown]
	s_xor_b64 s[28:29], s[94:95], -1
	s_mov_b64 s[94:95], 0
	s_waitcnt vmcnt(0)
	v_add_u32_e32 v1, v0, v1
	v_cmp_ge_i32_e32 vcc, v1, v16
	s_or_b64 s[28:29], s[28:29], vcc
	s_and_b64 s[28:29], exec, s[28:29]
	s_or_b64 s[92:93], s[28:29], s[92:93]
	v_mov_b32_e32 v0, s47
	s_mov_b32 s47, 2
	buffer_store_dword v1, off, s[0:3], s33 offset:144 ; 4-byte Folded Spill
	s_andn2_b64 exec, exec, s[92:93]
	s_cbranch_execnz .LBB4_6132
; %bb.13722:                            ;   in Loop: Header=BB4_47 Depth=1
	s_getpc_b64 s[98:99]
.Lpost_getpc12:
	s_add_u32 s98, s98, (.LBB4_13204-.Lpost_getpc12)&4294967295
	s_addc_u32 s99, s99, (.LBB4_13204-.Lpost_getpc12)>>32
	s_setpc_b64 s[98:99]
.LBB4_6132:                             ;   Parent Loop BB4_47 Depth=1
                                        ; =>  This Loop Header: Depth=2
                                        ;       Child Loop BB4_6140 Depth 3
                                        ;       Child Loop BB4_6168 Depth 3
	;; [unrolled: 1-line block ×9, first 2 shown]
                                        ;         Child Loop BB4_8617 Depth 4
                                        ;       Child Loop BB4_8645 Depth 3
                                        ;       Child Loop BB4_9582 Depth 3
                                        ;         Child Loop BB4_9646 Depth 4
                                        ;       Child Loop BB4_13095 Depth 3
                                        ;       Child Loop BB4_13114 Depth 3
	s_and_saveexec_b64 s[28:29], s[4:5]
	s_cbranch_execz .LBB4_6134
; %bb.6133:                             ;   in Loop: Header=BB4_6132 Depth=2
	s_trap 2
	buffer_load_dword v4, off, s[0:3], s33 offset:256 ; 4-byte Folded Reload
	ds_read2_b64 v[6:9], v0 offset1:1
	s_waitcnt vmcnt(0) lgkmcnt(0)
	v_add_co_u32_e32 v0, vcc, v6, v4
	buffer_load_dword v6, off, s[0:3], s33 offset:260 ; 4-byte Folded Reload
	s_waitcnt vmcnt(0)
	v_addc_co_u32_e32 v1, vcc, v7, v6, vcc
	buffer_load_dword v7, off, s[0:3], s33 offset:144 ; 4-byte Folded Reload
	s_waitcnt vmcnt(0)
	v_ashrrev_i32_e32 v2, 31, v7
	v_add_co_u32_e32 v0, vcc, v0, v7
	v_addc_co_u32_e32 v1, vcc, v1, v2, vcc
	ds_write_b64 v0, v[0:1]
	v_add_co_u32_e32 v0, vcc, v8, v4
	v_addc_co_u32_e32 v1, vcc, v9, v6, vcc
	v_add_co_u32_e32 v0, vcc, v0, v7
	v_addc_co_u32_e32 v1, vcc, v1, v2, vcc
	ds_write_b64 v0, v[0:1]
	ds_read_b64 v[0:1], v0
	s_waitcnt lgkmcnt(0)
	v_add_co_u32_e32 v4, vcc, v0, v4
	v_addc_co_u32_e32 v6, vcc, v1, v6, vcc
	v_add_co_u32_e32 v4, vcc, v4, v7
	v_addc_co_u32_e32 v2, vcc, v6, v2, vcc
	v_cmp_ne_u64_e32 vcc, 0, v[0:1]
	v_cndmask_b32_e32 v1, 0, v2, vcc
	v_cndmask_b32_e32 v0, 0, v4, vcc
	ds_write_b64 v0, v[0:1]
.LBB4_6134:                             ;   in Loop: Header=BB4_6132 Depth=2
	s_or_b64 exec, exec, s[28:29]
	buffer_load_dword v0, off, s[0:3], s33 offset:144 ; 4-byte Folded Reload
	buffer_load_dword v1, off, s[0:3], s33 offset:96 ; 4-byte Folded Reload
	;; [unrolled: 1-line block ×3, first 2 shown]
	s_waitcnt vmcnt(0)
	v_sub_u32_e32 v0, v16, v0
	v_min_i32_e32 v1, v1, v0
	v_and_b32_e32 v0, 12, v19
	v_cmp_ne_u32_e32 vcc, 0, v0
	buffer_store_dword v1, off, s[0:3], s33 offset:96 ; 4-byte Folded Spill
	s_nop 0
	buffer_store_dword v2, off, s[0:3], s33 offset:100 ; 4-byte Folded Spill
	s_and_saveexec_b64 s[40:41], vcc
	s_cbranch_execz .LBB4_6160
; %bb.6135:                             ;   in Loop: Header=BB4_6132 Depth=2
	buffer_load_dword v1, off, s[0:3], s33 offset:56 ; 4-byte Folded Reload
	buffer_load_dword v2, off, s[0:3], s33 offset:60 ; 4-byte Folded Reload
	;; [unrolled: 1-line block ×4, first 2 shown]
	v_and_b32_e32 v0, 8, v19
	s_waitcnt vmcnt(0)
	v_add_co_u32_e32 v1, vcc, v1, v0
	v_addc_co_u32_e32 v2, vcc, 0, v2, vcc
	v_add_co_u32_e32 v8, vcc, 2, v6
	v_addc_co_u32_e32 v9, vcc, 0, v7, vcc
	v_cmp_lt_u64_e32 vcc, v[1:2], v[8:9]
	s_and_saveexec_b64 s[42:43], vcc
	s_cbranch_execz .LBB4_6147
; %bb.6136:                             ;   in Loop: Header=BB4_6132 Depth=2
	v_and_b32_e32 v1, 64, v19
	s_mov_b32 s44, 0
	v_cmp_eq_u32_e32 vcc, 0, v1
	s_mov_b64 s[30:31], 0
                                        ; implicit-def: $sgpr34_sgpr35
                                        ; implicit-def: $sgpr36_sgpr37
                                        ; implicit-def: $sgpr38_sgpr39
	s_branch .LBB4_6140
.LBB4_6137:                             ;   in Loop: Header=BB4_6140 Depth=3
	buffer_load_dword v6, off, s[0:3], s33 offset:56 ; 4-byte Folded Reload
	buffer_load_dword v7, off, s[0:3], s33 offset:60 ; 4-byte Folded Reload
	s_or_b64 s[52:53], s[52:53], exec
	s_waitcnt vmcnt(1)
	v_add_co_u32_e64 v6, s[28:29], v6, v0
	s_waitcnt vmcnt(0)
	v_addc_co_u32_e64 v7, s[28:29], 0, v7, s[28:29]
	v_cmp_ge_u64_e64 s[28:29], v[6:7], v[8:9]
	s_orn2_b64 s[50:51], s[28:29], exec
.LBB4_6138:                             ;   in Loop: Header=BB4_6140 Depth=3
	s_or_b64 exec, exec, s[64:65]
	s_andn2_b64 s[28:29], s[38:39], exec
	s_and_b64 s[38:39], s[52:53], exec
	s_or_b64 s[38:39], s[28:29], s[38:39]
	s_andn2_b64 s[28:29], s[36:37], exec
	s_and_b64 s[36:37], s[50:51], exec
	s_or_b64 s[36:37], s[28:29], s[36:37]
.LBB4_6139:                             ;   in Loop: Header=BB4_6140 Depth=3
	s_or_b64 exec, exec, s[48:49]
	s_and_b64 s[28:29], exec, s[36:37]
	s_or_b64 s[30:31], s[28:29], s[30:31]
	s_andn2_b64 s[28:29], s[34:35], exec
	s_and_b64 s[34:35], s[38:39], exec
	s_or_b64 s[34:35], s[28:29], s[34:35]
	s_andn2_b64 exec, exec, s[30:31]
	s_cbranch_execz .LBB4_6144
.LBB4_6140:                             ;   Parent Loop BB4_47 Depth=1
                                        ;     Parent Loop BB4_6132 Depth=2
                                        ; =>    This Inner Loop Header: Depth=3
	s_sleep 1
	buffer_load_dword v1, off, s[0:3], s33 offset:64 ; 4-byte Folded Reload
	buffer_load_dword v2, off, s[0:3], s33 offset:68 ; 4-byte Folded Reload
	s_or_b64 s[38:39], s[38:39], exec
	s_or_b64 s[36:37], s[36:37], exec
	s_waitcnt vmcnt(0)
	flat_load_dwordx2 v[1:2], v[1:2] glc
	s_waitcnt vmcnt(0) lgkmcnt(0)
	buffer_store_dword v1, off, s[0:3], s33 offset:56 ; 4-byte Folded Spill
	s_nop 0
	buffer_store_dword v2, off, s[0:3], s33 offset:60 ; 4-byte Folded Spill
                                        ; implicit-def: $vgpr1
	s_and_saveexec_b64 s[48:49], vcc
	s_cbranch_execz .LBB4_6139
; %bb.6141:                             ;   in Loop: Header=BB4_6140 Depth=3
	s_cmpk_lt_i32 s44, 0x270f
	s_cselect_b64 s[54:55], -1, 0
	s_cmpk_gt_i32 s44, 0x270e
	s_mov_b64 s[50:51], -1
	s_cbranch_scc0 .LBB4_6143
; %bb.6142:                             ;   in Loop: Header=BB4_6140 Depth=3
	s_trap 2
	ds_read_b64 v[1:2], v0
	s_andn2_b64 s[54:55], s[54:55], exec
	s_mov_b32 s44, 0
	s_mov_b64 s[52:53], 0
	s_waitcnt vmcnt(0) lgkmcnt(0)
	flat_load_dword v1, v[1:2] glc
	s_waitcnt vmcnt(0) lgkmcnt(0)
	buffer_wbinvl1_vol
	v_cmp_eq_u32_e64 s[28:29], 0, v1
	s_and_b64 s[28:29], s[28:29], exec
	s_or_b64 s[54:55], s[54:55], s[28:29]
	s_and_saveexec_b64 s[64:65], s[54:55]
	s_cbranch_execz .LBB4_6138
	s_branch .LBB4_6137
.LBB4_6143:                             ;   in Loop: Header=BB4_6140 Depth=3
	s_add_i32 s44, s44, 1
	s_mov_b64 s[52:53], -1
                                        ; implicit-def: $vgpr1
	s_and_saveexec_b64 s[64:65], s[54:55]
	s_cbranch_execz .LBB4_6138
	s_branch .LBB4_6137
.LBB4_6144:                             ;   in Loop: Header=BB4_6132 Depth=2
	s_or_b64 exec, exec, s[30:31]
	s_xor_b64 s[28:29], s[34:35], -1
	s_and_saveexec_b64 s[44:45], s[28:29]
	s_xor_b64 s[28:29], exec, s[44:45]
	s_cbranch_execz .LBB4_6146
; %bb.6145:                             ;   in Loop: Header=BB4_6132 Depth=2
	v_or_b32_e32 v19, 64, v19
	ds_write_b32 v0, v1
	s_trap 2
.LBB4_6146:                             ;   in Loop: Header=BB4_6132 Depth=2
	s_or_b64 exec, exec, s[28:29]
.LBB4_6147:                             ;   in Loop: Header=BB4_6132 Depth=2
	s_or_b64 exec, exec, s[42:43]
	v_and_b32_e32 v1, 0x108, v19
	v_cmp_ne_u32_e32 vcc, s81, v1
	;;#ASMSTART
	s_wakeup
	;;#ASMEND
                                        ; implicit-def: $vgpr10_vgpr11
	s_and_saveexec_b64 s[28:29], vcc
	s_xor_b64 s[28:29], exec, s[28:29]
	s_cbranch_execz .LBB4_6149
; %bb.6148:                             ;   in Loop: Header=BB4_6132 Depth=2
	buffer_load_dword v1, off, s[0:3], s33 offset:80 ; 4-byte Folded Reload
	buffer_load_dword v2, off, s[0:3], s33 offset:84 ; 4-byte Folded Reload
	v_mov_b32_e32 v11, v3
	s_waitcnt vmcnt(0)
	v_and_b32_e32 v10, 7, v1
                                        ; implicit-def: $vgpr1_vgpr2
                                        ; kill: killed $vgpr1_vgpr2
.LBB4_6149:                             ;   in Loop: Header=BB4_6132 Depth=2
	s_andn2_saveexec_b64 s[28:29], s[28:29]
	s_cbranch_execz .LBB4_6151
; %bb.6150:                             ;   in Loop: Header=BB4_6132 Depth=2
	buffer_load_dword v1, off, s[0:3], s33 offset:80 ; 4-byte Folded Reload
	buffer_load_dword v2, off, s[0:3], s33 offset:84 ; 4-byte Folded Reload
	;; [unrolled: 1-line block ×8, first 2 shown]
	s_waitcnt vmcnt(0)
	v_and_b32_e32 v10, 7, v1
	v_mad_u64_u32 v[1:2], s[42:43], v10, 24, v[11:12]
	v_mov_b32_e32 v11, v3
	v_ashrrev_i32_e32 v7, 31, v6
	v_mov_b32_e32 v4, v6
	buffer_store_dword v4, off, s[0:3], s33 offset:96 ; 4-byte Folded Spill
	s_nop 0
	buffer_store_dword v5, off, s[0:3], s33 offset:100 ; 4-byte Folded Spill
	flat_store_dwordx2 v[1:2], v[6:7] offset:8
.LBB4_6151:                             ;   in Loop: Header=BB4_6132 Depth=2
	s_or_b64 exec, exec, s[28:29]
	v_and_b32_e32 v1, 0x100, v19
	v_cmp_ne_u32_e32 vcc, 0, v1
	s_mov_b64 s[28:29], -1
                                        ; implicit-def: $vgpr12_vgpr13
	s_and_saveexec_b64 s[42:43], vcc
	s_cbranch_execz .LBB4_6155
; %bb.6152:                             ;   in Loop: Header=BB4_6132 Depth=2
	buffer_load_dword v12, off, s[0:3], s33 offset:120 ; 4-byte Folded Reload
	buffer_load_dword v13, off, s[0:3], s33 offset:124 ; 4-byte Folded Reload
	;; [unrolled: 1-line block ×4, first 2 shown]
	s_waitcnt vmcnt(0)
	v_mad_u64_u32 v[14:15], s[28:29], v10, 24, v[12:13]
                                        ; implicit-def: $vgpr12_vgpr13
	v_mov_b32_e32 v1, v15
	v_mad_u64_u32 v[1:2], s[28:29], v11, 24, v[1:2]
	v_mov_b32_e32 v15, v1
	flat_load_dword v1, v[14:15]
	s_waitcnt vmcnt(0) lgkmcnt(0)
	v_cmp_ne_u32_e32 vcc, 1, v1
	v_cmp_eq_u32_e64 s[28:29], 1, v1
	s_and_saveexec_b64 s[30:31], s[28:29]
	s_cbranch_execz .LBB4_6154
; %bb.6153:                             ;   in Loop: Header=BB4_6132 Depth=2
	flat_load_dword v12, v[14:15] offset:4 glc
	s_waitcnt vmcnt(0) lgkmcnt(0)
	v_ashrrev_i32_e32 v13, 31, v12
.LBB4_6154:                             ;   in Loop: Header=BB4_6132 Depth=2
	s_or_b64 exec, exec, s[30:31]
	s_orn2_b64 s[28:29], vcc, exec
.LBB4_6155:                             ;   in Loop: Header=BB4_6132 Depth=2
	s_or_b64 exec, exec, s[42:43]
	s_and_saveexec_b64 s[42:43], s[28:29]
	s_cbranch_execz .LBB4_6157
; %bb.6156:                             ;   in Loop: Header=BB4_6132 Depth=2
	buffer_load_dword v4, off, s[0:3], s33 offset:152 ; 4-byte Folded Reload
	buffer_load_dword v2, off, s[0:3], s33 offset:172 ; 4-byte Folded Reload
	s_waitcnt vmcnt(0)
	v_mul_lo_u32 v1, v11, v4
	v_mul_lo_u32 v2, v10, v2
	v_mad_u64_u32 v[12:13], s[28:29], v10, v4, 0
	v_add3_u32 v13, v13, v2, v1
.LBB4_6157:                             ;   in Loop: Header=BB4_6132 Depth=2
	s_or_b64 exec, exec, s[42:43]
	v_cmp_eq_u32_e32 vcc, 0, v0
	v_mov_b32_e32 v0, 0x90
	v_mov_b32_e32 v1, 0xd0
	v_cndmask_b32_e32 v2, v1, v0, vcc
	buffer_load_dword v0, off, s[0:3], s33 offset:112 ; 4-byte Folded Reload
	buffer_load_dword v1, off, s[0:3], s33 offset:116 ; 4-byte Folded Reload
	s_waitcnt vmcnt(0)
	v_add_co_u32_e32 v0, vcc, v0, v12
	v_addc_co_u32_e32 v1, vcc, v1, v13, vcc
	v_add_u32_e32 v2, v0, v2
	ds_write_b64 v2, v[0:1] offset:584
	v_and_b32_e32 v0, 0x2000, v19
	v_cmp_ne_u32_e32 vcc, 0, v0
	s_and_saveexec_b64 s[28:29], vcc
	s_cbranch_execz .LBB4_6159
; %bb.6158:                             ;   in Loop: Header=BB4_6132 Depth=2
	ds_read_b64 v[0:1], v0 offset:872
	s_waitcnt lgkmcnt(0)
	v_add_co_u32_e32 v0, vcc, 1, v0
	v_addc_co_u32_e32 v1, vcc, 0, v1, vcc
	ds_write_b64 v0, v[0:1] offset:872
.LBB4_6159:                             ;   in Loop: Header=BB4_6132 Depth=2
	s_or_b64 exec, exec, s[28:29]
	buffer_store_dword v8, off, s[0:3], s33 offset:80 ; 4-byte Folded Spill
	s_nop 0
	buffer_store_dword v9, off, s[0:3], s33 offset:84 ; 4-byte Folded Spill
.LBB4_6160:                             ;   in Loop: Header=BB4_6132 Depth=2
	s_or_b64 exec, exec, s[40:41]
	s_and_saveexec_b64 s[28:29], s[10:11]
	s_cbranch_execz .LBB4_6179
; %bb.6161:                             ;   in Loop: Header=BB4_6132 Depth=2
	s_and_saveexec_b64 s[40:41], s[58:59]
	s_xor_b64 s[40:41], exec, s[40:41]
	s_cbranch_execz .LBB4_6176
; %bb.6162:                             ;   in Loop: Header=BB4_6132 Depth=2
	s_and_saveexec_b64 s[42:43], s[16:17]
	s_cbranch_execz .LBB4_6175
; %bb.6163:                             ;   in Loop: Header=BB4_6132 Depth=2
	s_mov_b64 s[34:35], exec
	v_mbcnt_lo_u32_b32 v0, s34, 0
	v_mbcnt_hi_u32_b32 v0, s35, v0
	v_cmp_eq_u32_e32 vcc, 0, v0
	s_waitcnt vmcnt(0) lgkmcnt(0)
	buffer_wbinvl1_vol
	s_and_saveexec_b64 s[30:31], vcc
	s_cbranch_execz .LBB4_6165
; %bb.6164:                             ;   in Loop: Header=BB4_6132 Depth=2
	s_bcnt1_i32_b64 s44, s[34:35]
	v_mov_b32_e32 v0, s44
	v_mov_b32_e32 v1, v3
	ds_add_u64 v0, v[0:1]
	s_trap 2
.LBB4_6165:                             ;   in Loop: Header=BB4_6132 Depth=2
	s_or_b64 exec, exec, s[30:31]
	s_trap 2
	ds_read_b64 v[0:1], v0
	s_waitcnt lgkmcnt(0)
	buffer_load_dword v6, off, s[0:3], s33 offset:72 ; 4-byte Folded Reload
	buffer_load_dword v7, off, s[0:3], s33 offset:76 ; 4-byte Folded Reload
	;; [unrolled: 1-line block ×3, first 2 shown]
	s_waitcnt vmcnt(0)
	v_add_co_u32_e32 v6, vcc, v6, v2
	v_addc_co_u32_e32 v7, vcc, 0, v7, vcc
	buffer_store_dword v6, off, s[0:3], s33 offset:72 ; 4-byte Folded Spill
	s_nop 0
	buffer_store_dword v7, off, s[0:3], s33 offset:76 ; 4-byte Folded Spill
	v_cmp_lt_u64_e32 vcc, v[0:1], v[6:7]
	s_and_saveexec_b64 s[30:31], vcc
	s_cbranch_execz .LBB4_6174
; %bb.6166:                             ;   in Loop: Header=BB4_6132 Depth=2
	s_mov_b32 s44, 0
	s_mov_b64 s[34:35], 0
                                        ; implicit-def: $sgpr36_sgpr37
                                        ; implicit-def: $sgpr38_sgpr39
	s_branch .LBB4_6168
.LBB4_6167:                             ;   in Loop: Header=BB4_6168 Depth=3
	s_or_b64 exec, exec, s[50:51]
	s_and_b64 vcc, exec, vcc
	s_or_b64 s[34:35], vcc, s[34:35]
	s_andn2_b64 vcc, s[36:37], exec
	s_and_b64 s[36:37], s[38:39], exec
	s_or_b64 s[36:37], vcc, s[36:37]
	s_andn2_b64 exec, exec, s[34:35]
	s_cbranch_execz .LBB4_6172
.LBB4_6168:                             ;   Parent Loop BB4_47 Depth=1
                                        ;     Parent Loop BB4_6132 Depth=2
                                        ; =>    This Inner Loop Header: Depth=3
	s_add_i32 s44, s44, 1
	s_cmpk_lg_i32 s44, 0x2710
	s_cselect_b64 s[48:49], -1, 0
	s_and_b64 vcc, exec, s[48:49]
	s_cbranch_vccz .LBB4_6170
; %bb.6169:                             ;   in Loop: Header=BB4_6168 Depth=3
	s_mov_b64 vcc, -1
	s_or_b64 s[38:39], s[38:39], exec
	s_and_saveexec_b64 s[50:51], s[48:49]
	s_cbranch_execz .LBB4_6167
	s_branch .LBB4_6171
.LBB4_6170:                             ;   in Loop: Header=BB4_6168 Depth=3
	s_trap 2
	ds_read_b64 v[0:1], v0
	s_andn2_b64 s[48:49], s[48:49], exec
	s_mov_b32 s44, 0
	s_waitcnt vmcnt(0) lgkmcnt(0)
	flat_load_dword v0, v[0:1] glc
	s_waitcnt vmcnt(0) lgkmcnt(0)
	buffer_wbinvl1_vol
	v_cmp_eq_u32_e32 vcc, 0, v0
	s_and_b64 vcc, vcc, exec
	s_or_b64 s[48:49], s[48:49], vcc
	s_mov_b64 vcc, -1
	s_or_b64 s[38:39], s[38:39], exec
	s_and_saveexec_b64 s[50:51], s[48:49]
	s_cbranch_execz .LBB4_6167
.LBB4_6171:                             ;   in Loop: Header=BB4_6168 Depth=3
	s_sleep 1
	s_trap 2
	ds_read_b64 v[0:1], v0
	s_waitcnt lgkmcnt(0)
	buffer_load_dword v6, off, s[0:3], s33 offset:72 ; 4-byte Folded Reload
	buffer_load_dword v7, off, s[0:3], s33 offset:76 ; 4-byte Folded Reload
	s_andn2_b64 s[38:39], s[38:39], exec
	s_waitcnt vmcnt(0)
	v_cmp_ge_u64_e32 vcc, v[0:1], v[6:7]
	s_orn2_b64 vcc, vcc, exec
	s_branch .LBB4_6167
.LBB4_6172:                             ;   in Loop: Header=BB4_6132 Depth=2
	s_or_b64 exec, exec, s[34:35]
	s_and_saveexec_b64 s[44:45], s[36:37]
	s_xor_b64 s[44:45], exec, s[44:45]
	s_cbranch_execz .LBB4_6174
; %bb.6173:                             ;   in Loop: Header=BB4_6132 Depth=2
	v_mov_b32_e32 v0, 1
	ds_write_b32 v0, v0
	s_trap 2
.LBB4_6174:                             ;   in Loop: Header=BB4_6132 Depth=2
	s_or_b64 exec, exec, s[30:31]
	;;#ASMSTART
	s_wakeup
	;;#ASMEND
.LBB4_6175:                             ;   in Loop: Header=BB4_6132 Depth=2
	s_or_b64 exec, exec, s[42:43]
.LBB4_6176:                             ;   in Loop: Header=BB4_6132 Depth=2
	s_andn2_saveexec_b64 s[40:41], s[40:41]
	s_cbranch_execz .LBB4_6178
; %bb.6177:                             ;   in Loop: Header=BB4_6132 Depth=2
	s_waitcnt vmcnt(0) lgkmcnt(0)
	buffer_wbinvl1_vol
	s_barrier
.LBB4_6178:                             ;   in Loop: Header=BB4_6132 Depth=2
	s_or_b64 exec, exec, s[40:41]
.LBB4_6179:                             ;   in Loop: Header=BB4_6132 Depth=2
	s_or_b64 exec, exec, s[28:29]
	s_trap 2
	ds_read_b32 v0, v0
	v_and_b32_e32 v1, 0x4000, v19
	v_cmp_ne_u32_e32 vcc, 0, v1
	s_xor_b64 s[28:29], s[6:7], -1
	s_and_b64 s[40:41], s[28:29], vcc
	s_and_saveexec_b64 s[28:29], s[40:41]
	s_cbranch_execz .LBB4_6198
; %bb.6180:                             ;   in Loop: Header=BB4_6132 Depth=2
	s_and_saveexec_b64 s[40:41], s[58:59]
	s_xor_b64 s[40:41], exec, s[40:41]
	s_cbranch_execz .LBB4_6195
; %bb.6181:                             ;   in Loop: Header=BB4_6132 Depth=2
	s_and_saveexec_b64 s[42:43], s[16:17]
	s_cbranch_execz .LBB4_6194
; %bb.6182:                             ;   in Loop: Header=BB4_6132 Depth=2
	s_mov_b64 s[34:35], exec
	v_mbcnt_lo_u32_b32 v1, s34, 0
	v_mbcnt_hi_u32_b32 v1, s35, v1
	v_cmp_eq_u32_e32 vcc, 0, v1
	s_waitcnt vmcnt(0) lgkmcnt(0)
	buffer_wbinvl1_vol
	s_and_saveexec_b64 s[30:31], vcc
	s_cbranch_execz .LBB4_6184
; %bb.6183:                             ;   in Loop: Header=BB4_6132 Depth=2
	s_bcnt1_i32_b64 s44, s[34:35]
	v_mov_b32_e32 v1, s44
	v_mov_b32_e32 v2, v3
	ds_add_u64 v0, v[1:2]
	s_trap 2
.LBB4_6184:                             ;   in Loop: Header=BB4_6132 Depth=2
	s_or_b64 exec, exec, s[30:31]
	s_trap 2
	ds_read_b64 v[1:2], v0
	s_waitcnt lgkmcnt(0)
	buffer_load_dword v6, off, s[0:3], s33 offset:72 ; 4-byte Folded Reload
	buffer_load_dword v7, off, s[0:3], s33 offset:76 ; 4-byte Folded Reload
	;; [unrolled: 1-line block ×3, first 2 shown]
	s_waitcnt vmcnt(0)
	v_add_co_u32_e32 v6, vcc, v6, v4
	v_addc_co_u32_e32 v7, vcc, 0, v7, vcc
	buffer_store_dword v6, off, s[0:3], s33 offset:72 ; 4-byte Folded Spill
	s_nop 0
	buffer_store_dword v7, off, s[0:3], s33 offset:76 ; 4-byte Folded Spill
	v_cmp_lt_u64_e32 vcc, v[1:2], v[6:7]
	s_and_saveexec_b64 s[30:31], vcc
	s_cbranch_execz .LBB4_6193
; %bb.6185:                             ;   in Loop: Header=BB4_6132 Depth=2
	s_mov_b32 s44, 0
	s_mov_b64 s[34:35], 0
                                        ; implicit-def: $sgpr36_sgpr37
                                        ; implicit-def: $sgpr38_sgpr39
	s_branch .LBB4_6187
.LBB4_6186:                             ;   in Loop: Header=BB4_6187 Depth=3
	s_or_b64 exec, exec, s[50:51]
	s_and_b64 vcc, exec, vcc
	s_or_b64 s[34:35], vcc, s[34:35]
	s_andn2_b64 vcc, s[36:37], exec
	s_and_b64 s[36:37], s[38:39], exec
	s_or_b64 s[36:37], vcc, s[36:37]
	s_andn2_b64 exec, exec, s[34:35]
	s_cbranch_execz .LBB4_6191
.LBB4_6187:                             ;   Parent Loop BB4_47 Depth=1
                                        ;     Parent Loop BB4_6132 Depth=2
                                        ; =>    This Inner Loop Header: Depth=3
	s_add_i32 s44, s44, 1
	s_cmpk_lg_i32 s44, 0x2710
	s_cselect_b64 s[48:49], -1, 0
	s_and_b64 vcc, exec, s[48:49]
	s_cbranch_vccz .LBB4_6189
; %bb.6188:                             ;   in Loop: Header=BB4_6187 Depth=3
	s_mov_b64 vcc, -1
	s_or_b64 s[38:39], s[38:39], exec
	s_and_saveexec_b64 s[50:51], s[48:49]
	s_cbranch_execz .LBB4_6186
	s_branch .LBB4_6190
.LBB4_6189:                             ;   in Loop: Header=BB4_6187 Depth=3
	s_trap 2
	ds_read_b64 v[1:2], v0
	s_andn2_b64 s[48:49], s[48:49], exec
	s_mov_b32 s44, 0
	s_waitcnt vmcnt(0) lgkmcnt(0)
	flat_load_dword v1, v[1:2] glc
	s_waitcnt vmcnt(0) lgkmcnt(0)
	buffer_wbinvl1_vol
	v_cmp_eq_u32_e32 vcc, 0, v1
	s_and_b64 vcc, vcc, exec
	s_or_b64 s[48:49], s[48:49], vcc
	s_mov_b64 vcc, -1
	s_or_b64 s[38:39], s[38:39], exec
	s_and_saveexec_b64 s[50:51], s[48:49]
	s_cbranch_execz .LBB4_6186
.LBB4_6190:                             ;   in Loop: Header=BB4_6187 Depth=3
	s_sleep 1
	s_trap 2
	ds_read_b64 v[1:2], v0
	s_waitcnt lgkmcnt(0)
	buffer_load_dword v6, off, s[0:3], s33 offset:72 ; 4-byte Folded Reload
	buffer_load_dword v7, off, s[0:3], s33 offset:76 ; 4-byte Folded Reload
	s_andn2_b64 s[38:39], s[38:39], exec
	s_waitcnt vmcnt(0)
	v_cmp_ge_u64_e32 vcc, v[1:2], v[6:7]
	s_orn2_b64 vcc, vcc, exec
	s_branch .LBB4_6186
.LBB4_6191:                             ;   in Loop: Header=BB4_6132 Depth=2
	s_or_b64 exec, exec, s[34:35]
	s_and_saveexec_b64 s[44:45], s[36:37]
	s_xor_b64 s[44:45], exec, s[44:45]
	s_cbranch_execz .LBB4_6193
; %bb.6192:                             ;   in Loop: Header=BB4_6132 Depth=2
	v_mov_b32_e32 v1, 1
	ds_write_b32 v0, v1
	s_trap 2
.LBB4_6193:                             ;   in Loop: Header=BB4_6132 Depth=2
	s_or_b64 exec, exec, s[30:31]
	;;#ASMSTART
	s_wakeup
	;;#ASMEND
.LBB4_6194:                             ;   in Loop: Header=BB4_6132 Depth=2
	s_or_b64 exec, exec, s[42:43]
.LBB4_6195:                             ;   in Loop: Header=BB4_6132 Depth=2
	s_andn2_saveexec_b64 s[40:41], s[40:41]
	s_cbranch_execz .LBB4_6197
; %bb.6196:                             ;   in Loop: Header=BB4_6132 Depth=2
	s_waitcnt vmcnt(0) lgkmcnt(0)
	buffer_wbinvl1_vol
	s_barrier
.LBB4_6197:                             ;   in Loop: Header=BB4_6132 Depth=2
	s_or_b64 exec, exec, s[40:41]
.LBB4_6198:                             ;   in Loop: Header=BB4_6132 Depth=2
	s_or_b64 exec, exec, s[28:29]
	s_trap 2
	s_waitcnt lgkmcnt(0)
	ds_read_b64 v[1:2], v0
	s_waitcnt lgkmcnt(0)
	v_cmp_eq_u64_e32 vcc, 0, v[1:2]
	s_cbranch_vccnz .LBB4_6207
; %bb.6199:                             ;   in Loop: Header=BB4_6132 Depth=2
	buffer_store_dword v1, off, s[0:3], s33 offset:236 ; 4-byte Folded Spill
	s_nop 0
	buffer_store_dword v2, off, s[0:3], s33 offset:240 ; 4-byte Folded Spill
	s_trap 2
	ds_read_b64 v[1:2], v0
	s_waitcnt lgkmcnt(0)
	v_cmp_eq_u64_e32 vcc, 0, v[1:2]
	s_cbranch_vccnz .LBB4_6207
; %bb.6200:                             ;   in Loop: Header=BB4_6132 Depth=2
	buffer_store_dword v1, off, s[0:3], s33 offset:248 ; 4-byte Folded Spill
	s_nop 0
	buffer_store_dword v2, off, s[0:3], s33 offset:252 ; 4-byte Folded Spill
	s_trap 2
	ds_read_b64 v[1:2], v0
	v_cmp_eq_u32_e64 s[28:29], 0, v0
	s_waitcnt lgkmcnt(0)
	buffer_store_dword v1, off, s[0:3], s33 offset:264 ; 4-byte Folded Spill
	s_nop 0
	buffer_store_dword v2, off, s[0:3], s33 offset:268 ; 4-byte Folded Spill
	v_cmp_ne_u64_e32 vcc, 0, v[1:2]
	buffer_load_dword v0, off, s[0:3], s33 offset:96 ; 4-byte Folded Reload
	buffer_load_dword v1, off, s[0:3], s33 offset:100 ; 4-byte Folded Reload
	s_waitcnt vmcnt(1)
	v_cndmask_b32_e64 v0, 0, v0, s[28:29]
	buffer_store_dword v0, off, s[0:3], s33 offset:228 ; 4-byte Folded Spill
	s_cbranch_vccz .LBB4_6212
; %bb.6201:                             ;   in Loop: Header=BB4_6132 Depth=2
	s_mov_b64 s[40:41], -1
	s_and_saveexec_b64 s[28:29], s[22:23]
	s_cbranch_execz .LBB4_6203
; %bb.6202:                             ;   in Loop: Header=BB4_6132 Depth=2
	ds_read_b32 v0, v0 offset:720
	s_waitcnt lgkmcnt(0)
	v_and_b32_e32 v0, 15, v0
	v_cmp_eq_u32_e32 vcc, 0, v0
	s_orn2_b64 s[40:41], vcc, exec
.LBB4_6203:                             ;   in Loop: Header=BB4_6132 Depth=2
	s_or_b64 exec, exec, s[28:29]
	s_and_saveexec_b64 s[28:29], s[22:23]
	s_cbranch_execz .LBB4_6205
; %bb.6204:                             ;   in Loop: Header=BB4_6132 Depth=2
	ds_read_b32 v0, v0 offset:784
	s_waitcnt lgkmcnt(0)
	v_and_b32_e32 v0, 15, v0
	v_cmp_eq_u32_e32 vcc, 0, v0
	s_and_b64 s[42:43], s[40:41], vcc
	s_andn2_b64 s[40:41], s[40:41], exec
	s_and_b64 s[42:43], s[42:43], exec
	s_or_b64 s[40:41], s[40:41], s[42:43]
.LBB4_6205:                             ;   in Loop: Header=BB4_6132 Depth=2
	s_or_b64 exec, exec, s[28:29]
	buffer_load_dword v6, off, s[0:3], s33 offset:228 ; 4-byte Folded Reload
	buffer_load_dword v7, off, s[0:3], s33 offset:176 ; 4-byte Folded Reload
	s_xor_b64 s[40:41], s[40:41], -1
	v_cndmask_b32_e64 v0, 0, 1, s[40:41]
	s_mov_b64 s[28:29], -1
	s_waitcnt vmcnt(3)
	v_mov_b32_e32 v1, 0
	v_cmp_ne_u32_e32 vcc, 0, v0
	s_cbranch_vccz .LBB4_6213
; %bb.6206:                             ;   in Loop: Header=BB4_6132 Depth=2
	s_and_saveexec_b64 s[42:43], s[28:29]
	s_cbranch_execz .LBB4_9648
	s_branch .LBB4_8642
.LBB4_6207:                             ;   in Loop: Header=BB4_6132 Depth=2
	s_mov_b64 s[28:29], 0
	s_and_saveexec_b64 s[40:41], s[10:11]
	s_cbranch_execz .LBB4_6208
; %bb.13724:                            ;   in Loop: Header=BB4_6132 Depth=2
	s_getpc_b64 s[98:99]
.Lpost_getpc13:
	s_add_u32 s98, s98, (.LBB4_13088-.Lpost_getpc13)&4294967295
	s_addc_u32 s99, s99, (.LBB4_13088-.Lpost_getpc13)>>32
	s_setpc_b64 s[98:99]
.LBB4_6208:                             ;   in Loop: Header=BB4_6132 Depth=2
	s_or_b64 exec, exec, s[40:41]
                                        ; implicit-def: $vgpr0
	s_and_saveexec_b64 s[40:41], s[24:25]
	s_xor_b64 s[40:41], exec, s[40:41]
	s_cbranch_execnz .LBB4_6209
; %bb.13726:                            ;   in Loop: Header=BB4_6132 Depth=2
	s_getpc_b64 s[98:99]
.Lpost_getpc14:
	s_add_u32 s98, s98, (.LBB4_13106-.Lpost_getpc14)&4294967295
	s_addc_u32 s99, s99, (.LBB4_13106-.Lpost_getpc14)>>32
	s_setpc_b64 s[98:99]
.LBB4_6209:                             ;   in Loop: Header=BB4_6132 Depth=2
	v_and_b32_e32 v1, 16, v19
	v_cmp_ne_u32_e32 vcc, 0, v1
	v_and_b32_e32 v0, 16, v19
	s_and_b64 s[42:43], vcc, s[28:29]
	s_and_saveexec_b64 s[28:29], s[42:43]
	s_cbranch_execz .LBB4_6211
; %bb.6210:                             ;   in Loop: Header=BB4_6132 Depth=2
	v_mov_b32_e32 v0, 1
	s_waitcnt vmcnt(0) lgkmcnt(0)
	buffer_wbinvl1_vol
.LBB4_6211:                             ;   in Loop: Header=BB4_6132 Depth=2
	s_or_b64 exec, exec, s[28:29]
	s_andn2_saveexec_b64 s[28:29], s[40:41]
	s_cbranch_execnz .LBB4_13708
; %bb.13728:                            ;   in Loop: Header=BB4_6132 Depth=2
	s_getpc_b64 s[98:99]
.Lpost_getpc15:
	s_add_u32 s98, s98, (.LBB4_13125-.Lpost_getpc15)&4294967295
	s_addc_u32 s99, s99, (.LBB4_13125-.Lpost_getpc15)>>32
	s_setpc_b64 s[98:99]
.LBB4_13708:                            ;   in Loop: Header=BB4_6132 Depth=2
	s_getpc_b64 s[98:99]
.Lpost_getpc5:
	s_add_u32 s98, s98, (.LBB4_13107-.Lpost_getpc5)&4294967295
	s_addc_u32 s99, s99, (.LBB4_13107-.Lpost_getpc5)>>32
	s_setpc_b64 s[98:99]
.LBB4_6212:                             ;   in Loop: Header=BB4_6132 Depth=2
	s_cbranch_execnz .LBB4_9649
; %bb.13710:                            ;   in Loop: Header=BB4_6132 Depth=2
	s_getpc_b64 s[98:99]
.Lpost_getpc6:
	s_add_u32 s98, s98, (.LBB4_13087-.Lpost_getpc6)&4294967295
	s_addc_u32 s99, s99, (.LBB4_13087-.Lpost_getpc6)>>32
	s_setpc_b64 s[98:99]
.LBB4_6213:                             ;   in Loop: Header=BB4_6132 Depth=2
	buffer_load_dword v1, off, s[0:3], s33 offset:228 ; 4-byte Folded Reload
	s_waitcnt vmcnt(0)
	v_ashrrev_i32_e32 v0, 31, v1
	v_lshrrev_b32_e32 v0, 21, v0
	v_add_u32_e32 v0, v1, v0
	v_ashrrev_i32_e32 v1, 11, v0
	buffer_load_dword v0, off, s[0:3], s33 offset:212 ; 4-byte Folded Reload
	s_waitcnt vmcnt(0)
	v_sub_u32_e32 v0, v1, v0
	v_cmp_lt_i32_e32 vcc, 0, v0
	s_and_saveexec_b64 s[40:41], vcc
	s_cbranch_execz .LBB4_7825
; %bb.6214:                             ;   in Loop: Header=BB4_6132 Depth=2
	buffer_store_dword v1, off, s[0:3], s33 offset:276 ; 4-byte Folded Spill
	buffer_load_dword v4, off, s[0:3], s33 offset:356 ; 4-byte Folded Reload
	s_nop 0
	buffer_load_dword v1, off, s[0:3], s33 offset:248 ; 4-byte Folded Reload
	buffer_load_dword v2, off, s[0:3], s33 offset:252 ; 4-byte Folded Reload
	s_waitcnt vmcnt(1)
	v_add_co_u32_e32 v44, vcc, v1, v4
	s_waitcnt vmcnt(0)
	v_addc_co_u32_e32 v45, vcc, 0, v2, vcc
	buffer_load_dword v1, off, s[0:3], s33 offset:264 ; 4-byte Folded Reload
	buffer_load_dword v2, off, s[0:3], s33 offset:268 ; 4-byte Folded Reload
	s_trap 2
	s_waitcnt vmcnt(1)
	v_add_co_u32_e32 v46, vcc, v1, v4
	s_waitcnt vmcnt(0)
	v_addc_co_u32_e32 v47, vcc, 0, v2, vcc
	ds_read_b64 v[1:2], v0
	buffer_load_dword v6, off, s[0:3], s33 offset:236 ; 4-byte Folded Reload
	buffer_load_dword v7, off, s[0:3], s33 offset:240 ; 4-byte Folded Reload
	s_waitcnt lgkmcnt(0)
	v_readfirstlane_b32 s28, v1
	s_and_b32 s29, s28, 7
	s_flbit_i32_b32 s29, s29
	s_min_u32 s29, s29, 32
	s_and_b32 s42, s28, 0x7f
	s_bfe_u32 s43, s28, 0x40003
	s_sub_i32 s44, s29, 28
	s_sub_i32 s29, 29, s29
	s_cmp_lt_u32 s42, 8
	s_cselect_b32 s44, s44, 0
	s_cselect_b32 s29, s29, s43
	s_lshl_b32 s43, s28, 24
	s_lshl_b32 s29, s29, 23
	s_and_b32 s43, s43, 0x80000000
	s_add_i32 s29, s29, 0x3c000000
	s_or_b32 s29, s43, s29
	s_cmpk_lg_i32 s42, 0x7f
	s_mov_b64 s[42:43], 0
	s_waitcnt vmcnt(1)
	v_add_co_u32_e32 v55, vcc, v6, v4
	s_waitcnt vmcnt(0)
	v_addc_co_u32_e32 v56, vcc, 0, v7, vcc
	v_add_co_u32_e32 v57, vcc, v1, v4
	v_addc_co_u32_e32 v58, vcc, 0, v2, vcc
	v_lshlrev_b64 v[1:2], s44, v[1:2]
	s_cselect_b64 vcc, -1, 0
	v_lshlrev_b32_e32 v1, 20, v1
	v_and_b32_e32 v1, 0x700000, v1
	v_or_b32_e32 v1, s29, v1
	v_mov_b32_e32 v2, 0x7f800001
	v_cndmask_b32_e32 v1, v2, v1, vcc
	s_and_b32 s44, s28, 0xff
	buffer_store_dword v1, off, s[0:3], s33 offset:244 ; 4-byte Folded Spill
	s_branch .LBB4_6216
.LBB4_6215:                             ;   in Loop: Header=BB4_6216 Depth=3
	s_or_b64 exec, exec, s[28:29]
	v_lshl_or_b32 v4, v39, 8, v4
	v_lshlrev_b32_e32 v8, 16, v17
	v_lshlrev_b32_e32 v9, 24, v30
	v_or3_b32 v8, v4, v8, v9
	v_lshl_or_b32 v4, v7, 8, v33
	v_lshlrev_b32_e32 v7, 16, v26
	v_lshlrev_b32_e32 v9, 24, v25
	v_or3_b32 v7, v4, v7, v9
	;; [unrolled: 4-line block ×3, first 2 shown]
	v_lshlrev_b32_e32 v4, 24, v15
	v_lshlrev_b32_e32 v10, 16, v37
	v_lshl_or_b32 v11, v34, 8, v21
	v_or3_b32 v10, v11, v10, v4
	v_lshl_or_b32 v4, v38, 8, v20
	v_lshlrev_b32_e32 v11, 16, v14
	v_lshlrev_b32_e32 v13, 24, v52
	v_or3_b32 v14, v4, v11, v13
	v_lshl_or_b32 v1, v35, 8, v1
	v_lshlrev_b32_e32 v4, 16, v48
	v_lshlrev_b32_e32 v11, 24, v49
	;; [unrolled: 4-line block ×3, first 2 shown]
	v_or3_b32 v15, v1, v4, v11
	v_lshlrev_b32_e32 v1, 24, v2
	v_lshlrev_b32_e32 v2, 16, v12
	v_lshl_or_b32 v4, v24, 8, v6
	v_or3_b32 v16, v4, v2, v1
	global_store_dwordx4 v[44:45], v[7:10], off glc slc
	global_store_dwordx4 v[44:45], v[13:16], off offset:1024 glc slc
	global_store_dwordx4 v[46:47], v[7:10], off glc slc
	global_store_dwordx4 v[46:47], v[13:16], off offset:1024 glc slc
	buffer_load_dword v2, off, s[0:3], s33 offset:108 ; 4-byte Folded Reload
	buffer_load_dword v1, off, s[0:3], s33 offset:88 ; 4-byte Folded Reload
	s_waitcnt vmcnt(1)
	v_add_co_u32_e32 v55, vcc, v55, v2
	v_addc_co_u32_e32 v56, vcc, 0, v56, vcc
	v_add_co_u32_e32 v57, vcc, v57, v2
	v_addc_co_u32_e32 v58, vcc, 0, v58, vcc
	;; [unrolled: 2-line block ×3, first 2 shown]
	s_waitcnt vmcnt(0)
	v_sub_u32_e32 v0, v0, v1
	v_cmp_gt_i32_e32 vcc, 1, v0
	s_or_b64 s[42:43], vcc, s[42:43]
	v_add_co_u32_e32 v46, vcc, v46, v2
	v_addc_co_u32_e32 v47, vcc, 0, v47, vcc
	s_andn2_b64 exec, exec, s[42:43]
	s_cbranch_execz .LBB4_7824
.LBB4_6216:                             ;   Parent Loop BB4_47 Depth=1
                                        ;     Parent Loop BB4_6132 Depth=2
                                        ; =>    This Inner Loop Header: Depth=3
	s_cmpk_lt_i32 s44, 0x80
	s_cbranch_scc1 .LBB4_6220
; %bb.6217:                             ;   in Loop: Header=BB4_6216 Depth=3
	s_and_b32 s45, 0xffff, s44
	s_mov_b64 s[28:29], -1
	s_cmpk_eq_i32 s45, 0x80
	s_cbranch_scc0 .LBB4_6219
; %bb.6218:                             ;   in Loop: Header=BB4_6216 Depth=3
	s_mov_b64 s[28:29], 0
.LBB4_6219:                             ;   in Loop: Header=BB4_6216 Depth=3
	s_brev_b32 s45, 1
	s_branch .LBB4_6222
.LBB4_6220:                             ;   in Loop: Header=BB4_6216 Depth=3
	s_mov_b64 s[28:29], 0
	s_brev_b32 s45, 1
	s_cbranch_execz .LBB4_6222
; %bb.6221:                             ;   in Loop: Header=BB4_6216 Depth=3
	s_and_b32 s28, 0xffff, s44
	s_cmp_lg_u32 s28, 0
	s_mov_b32 s45, 0
	s_cselect_b64 s[28:29], -1, 0
.LBB4_6222:                             ;   in Loop: Header=BB4_6216 Depth=3
	s_andn2_b64 vcc, exec, s[28:29]
	v_mov_b32_e32 v15, s45
	s_cbranch_vccnz .LBB4_6224
; %bb.6223:                             ;   in Loop: Header=BB4_6216 Depth=3
	buffer_load_dword v15, off, s[0:3], s33 offset:244 ; 4-byte Folded Reload
.LBB4_6224:                             ;   in Loop: Header=BB4_6216 Depth=3
	global_load_dwordx4 v[8:11], v[55:56], off glc slc
	v_mov_b32_e32 v1, 0
	s_waitcnt vmcnt(0)
	v_cmp_ne_u16_sdwa vcc, v8, v3 src0_sel:BYTE_0 src1_sel:DWORD
	s_and_saveexec_b64 s[28:29], vcc
	s_cbranch_execz .LBB4_6230
; %bb.6225:                             ;   in Loop: Header=BB4_6216 Depth=3
	v_cmp_ne_u16_sdwa vcc, v8, s70 src0_sel:BYTE_0 src1_sel:DWORD
	v_bfrev_b32_e32 v1, 1
	s_and_saveexec_b64 s[30:31], vcc
	s_cbranch_execz .LBB4_6229
; %bb.6226:                             ;   in Loop: Header=BB4_6216 Depth=3
	v_and_b32_e32 v2, 0x7f, v8
	v_cmp_ne_u32_e32 vcc, s68, v2
	v_mov_b32_e32 v1, 0x7f800001
	s_and_saveexec_b64 s[34:35], vcc
	s_cbranch_execz .LBB4_6228
; %bb.6227:                             ;   in Loop: Header=BB4_6216 Depth=3
	v_and_b32_e32 v1, 7, v8
	v_ffbh_u32_e32 v1, v1
	v_min_u32_e32 v1, 32, v1
	v_lshrrev_b32_e32 v4, 3, v2
	v_cmp_gt_u32_e32 vcc, 8, v2
	v_subrev_u32_e32 v2, 28, v1
	v_sub_u32_e32 v1, 29, v1
	v_cndmask_b32_e32 v4, v4, v1, vcc
	v_cndmask_b32_e32 v1, 0, v2, vcc
	v_lshlrev_b64 v[1:2], v1, v[8:9]
	v_lshlrev_b32_e32 v2, 24, v8
	v_lshlrev_b32_e32 v1, 20, v1
	v_and_b32_e32 v1, 0x700000, v1
	v_and_b32_e32 v2, 0x80000000, v2
	v_lshl_add_u32 v4, v4, 23, v5
	v_or3_b32 v1, v2, v4, v1
.LBB4_6228:                             ;   in Loop: Header=BB4_6216 Depth=3
	s_or_b64 exec, exec, s[34:35]
.LBB4_6229:                             ;   in Loop: Header=BB4_6216 Depth=3
	s_or_b64 exec, exec, s[30:31]
.LBB4_6230:                             ;   in Loop: Header=BB4_6216 Depth=3
	s_or_b64 exec, exec, s[28:29]
	v_mul_f32_e32 v4, v15, v1
	v_and_b32_e32 v2, 0x7f800000, v4
	v_cmp_ne_u64_e32 vcc, s[62:63], v[2:3]
                                        ; implicit-def: $vgpr7
	s_and_saveexec_b64 s[28:29], vcc
	s_xor_b64 s[30:31], exec, s[28:29]
	s_cbranch_execz .LBB4_6244
; %bb.6231:                             ;   in Loop: Header=BB4_6216 Depth=3
	v_and_b32_e32 v2, 0x7fffffff, v4
	v_cmp_gt_u64_e32 vcc, s[72:73], v[2:3]
	v_and_b32_sdwa v1, v4, s70 dst_sel:DWORD dst_unused:UNUSED_PAD src0_sel:BYTE_3 src1_sel:DWORD
                                        ; implicit-def: $vgpr7
	s_and_saveexec_b64 s[28:29], vcc
	s_xor_b64 s[34:35], exec, s[28:29]
	s_cbranch_execz .LBB4_6241
; %bb.6232:                             ;   in Loop: Header=BB4_6216 Depth=3
	v_mov_b32_e32 v7, 0
	v_cmp_ne_u32_e32 vcc, 0, v4
	s_and_saveexec_b64 s[36:37], vcc
	s_cbranch_execz .LBB4_6240
; %bb.6233:                             ;   in Loop: Header=BB4_6216 Depth=3
	v_and_b32_e32 v2, 0x7fffff, v4
	v_bfe_u32 v4, v4, 23, 8
	v_cmp_gt_u32_e64 s[28:29], s71, v4
	v_sub_u32_e32 v6, 0x79, v4
	v_cmp_eq_u32_e32 vcc, 0, v4
	v_cndmask_b32_e64 v6, 0, v6, s[28:29]
	v_mov_b32_e32 v12, 0x78
	v_or_b32_e32 v7, 0x800000, v2
	v_cndmask_b32_e32 v6, v6, v12, vcc
	v_cndmask_b32_e32 v2, v7, v2, vcc
	v_add_u32_e32 v7, 20, v6
	v_lshlrev_b64 v[12:13], v7, -1
	v_add_u32_e32 v7, 19, v6
	v_lshlrev_b64 v[16:17], v7, 1
	v_bfi_b32 v13, v13, 0, 0
	v_bfi_b32 v12, v12, 0, v2
	v_cmp_eq_u64_e64 s[28:29], v[12:13], v[16:17]
	v_lshrrev_b64 v[12:13], v6, v[2:3]
	v_mov_b32_e32 v14, v13
	v_mov_b32_e32 v13, v12
	s_and_saveexec_b64 s[38:39], s[28:29]
; %bb.6234:                             ;   in Loop: Header=BB4_6216 Depth=3
	v_bfe_u32 v2, v12, 20, 1
	v_add_co_u32_e64 v2, s[28:29], v12, v2
	v_add_co_u32_e64 v13, s[28:29], -1, v2
; %bb.6235:                             ;   in Loop: Header=BB4_6216 Depth=3
	s_or_b64 exec, exec, s[38:39]
	v_add_u32_e32 v2, 0xffffff81, v4
	v_mov_b32_e32 v4, 0xffffff82
	v_cndmask_b32_e32 v2, v2, v4, vcc
	v_lshrrev_b32_e32 v4, 23, v12
	v_add3_u32 v7, v6, v2, v4
	v_add_u32_e32 v6, 6, v7
	v_and_b32_e32 v2, 0xfffff, v13
	v_add_u32_e32 v2, v2, v12
	v_cmp_ne_u32_e32 vcc, 0, v6
                                        ; implicit-def: $vgpr12_vgpr13
                                        ; implicit-def: $vgpr4
	s_and_saveexec_b64 s[28:29], vcc
	s_xor_b64 s[28:29], exec, s[28:29]
; %bb.6236:                             ;   in Loop: Header=BB4_6216 Depth=3
	v_cmp_lt_u64_e32 vcc, s[74:75], v[2:3]
	v_add_u32_e32 v4, 7, v7
	v_cndmask_b32_e32 v4, v6, v4, vcc
	v_cndmask_b32_e64 v6, 0, 1, vcc
	v_lshrrev_b64 v[12:13], v6, v[2:3]
; %bb.6237:                             ;   in Loop: Header=BB4_6216 Depth=3
	s_andn2_saveexec_b64 s[28:29], s[28:29]
; %bb.6238:                             ;   in Loop: Header=BB4_6216 Depth=3
	v_mov_b32_e32 v13, v3
	v_mov_b32_e32 v12, v2
	v_bfe_u32 v4, v2, 23, 1
; %bb.6239:                             ;   in Loop: Header=BB4_6216 Depth=3
	s_or_b64 exec, exec, s[28:29]
	v_lshrrev_b64 v[6:7], 20, v[12:13]
	v_cmp_gt_i32_e32 vcc, 16, v4
	v_cndmask_b32_e32 v7, 0, v7, vcc
	v_cndmask_b32_e32 v6, 7, v6, vcc
	v_min_i32_e32 v2, 15, v4
	v_cmp_eq_u64_e64 s[28:29], 0, v[6:7]
	v_lshlrev_b32_e32 v2, 3, v2
	v_cmp_eq_u32_e32 vcc, 0, v4
	v_and_b32_e32 v2, 0xf8, v2
	v_and_or_b32 v2, v6, 7, v2
	s_and_b64 s[28:29], vcc, s[28:29]
	v_cndmask_b32_e64 v2, v2, 0, s[28:29]
	v_or_b32_e32 v7, v2, v1
.LBB4_6240:                             ;   in Loop: Header=BB4_6216 Depth=3
	s_or_b64 exec, exec, s[36:37]
                                        ; implicit-def: $vgpr1
.LBB4_6241:                             ;   in Loop: Header=BB4_6216 Depth=3
	s_andn2_saveexec_b64 s[28:29], s[34:35]
; %bb.6242:                             ;   in Loop: Header=BB4_6216 Depth=3
	v_or_b32_e32 v7, 0x7e, v1
; %bb.6243:                             ;   in Loop: Header=BB4_6216 Depth=3
	s_or_b64 exec, exec, s[28:29]
                                        ; implicit-def: $vgpr4
.LBB4_6244:                             ;   in Loop: Header=BB4_6216 Depth=3
	s_andn2_saveexec_b64 s[28:29], s[30:31]
; %bb.6245:                             ;   in Loop: Header=BB4_6216 Depth=3
	v_or_b32_sdwa v7, v4, s68 dst_sel:DWORD dst_unused:UNUSED_PAD src0_sel:BYTE_3 src1_sel:DWORD
; %bb.6246:                             ;   in Loop: Header=BB4_6216 Depth=3
	s_or_b64 exec, exec, s[28:29]
	v_lshrrev_b16_e32 v2, 8, v8
	v_cmp_ne_u16_e32 vcc, 0, v2
	v_mov_b32_e32 v1, 0
	s_and_saveexec_b64 s[28:29], vcc
	s_cbranch_execz .LBB4_6252
; %bb.6247:                             ;   in Loop: Header=BB4_6216 Depth=3
	v_cmp_ne_u16_e32 vcc, s70, v2
	v_bfrev_b32_e32 v1, 1
	s_and_saveexec_b64 s[30:31], vcc
	s_cbranch_execz .LBB4_6251
; %bb.6248:                             ;   in Loop: Header=BB4_6216 Depth=3
	v_and_b32_e32 v4, 0x7f, v2
	v_cmp_ne_u32_e32 vcc, s68, v4
	v_mov_b32_e32 v1, 0x7f800001
	s_and_saveexec_b64 s[34:35], vcc
	s_cbranch_execz .LBB4_6250
; %bb.6249:                             ;   in Loop: Header=BB4_6216 Depth=3
	v_and_b32_e32 v6, 7, v2
	v_ffbh_u32_e32 v1, v6
	v_lshrrev_b32_e32 v12, 3, v4
	v_cmp_gt_u32_e32 vcc, 8, v4
	v_min_u32_e32 v4, 32, v1
	v_subrev_u32_e32 v1, 28, v4
	v_lshlrev_b64 v[1:2], v1, v[2:3]
	v_sub_u32_e32 v2, 29, v4
	v_and_b32_e32 v1, 7, v1
	v_cndmask_b32_e32 v2, v12, v2, vcc
	v_cndmask_b32_e32 v1, v6, v1, vcc
	v_lshlrev_b32_e32 v4, 16, v8
	v_lshlrev_b32_e32 v1, 20, v1
	v_and_b32_e32 v4, 0x80000000, v4
	v_lshl_add_u32 v2, v2, 23, v5
	v_or3_b32 v1, v4, v2, v1
.LBB4_6250:                             ;   in Loop: Header=BB4_6216 Depth=3
	s_or_b64 exec, exec, s[34:35]
.LBB4_6251:                             ;   in Loop: Header=BB4_6216 Depth=3
	s_or_b64 exec, exec, s[30:31]
.LBB4_6252:                             ;   in Loop: Header=BB4_6216 Depth=3
	s_or_b64 exec, exec, s[28:29]
	v_mul_f32_e32 v4, v15, v1
	v_and_b32_e32 v2, 0x7f800000, v4
	v_cmp_ne_u64_e32 vcc, s[62:63], v[2:3]
                                        ; implicit-def: $vgpr25
	s_and_saveexec_b64 s[28:29], vcc
	s_xor_b64 s[30:31], exec, s[28:29]
	s_cbranch_execz .LBB4_6266
; %bb.6253:                             ;   in Loop: Header=BB4_6216 Depth=3
	v_and_b32_e32 v2, 0x7fffffff, v4
	v_cmp_gt_u64_e32 vcc, s[72:73], v[2:3]
	v_and_b32_sdwa v1, v4, s70 dst_sel:DWORD dst_unused:UNUSED_PAD src0_sel:BYTE_3 src1_sel:DWORD
                                        ; implicit-def: $vgpr25
	s_and_saveexec_b64 s[28:29], vcc
	s_xor_b64 s[34:35], exec, s[28:29]
	s_cbranch_execz .LBB4_6263
; %bb.6254:                             ;   in Loop: Header=BB4_6216 Depth=3
	v_mov_b32_e32 v25, 0
	v_cmp_ne_u32_e32 vcc, 0, v4
	s_and_saveexec_b64 s[36:37], vcc
	s_cbranch_execz .LBB4_6262
; %bb.6255:                             ;   in Loop: Header=BB4_6216 Depth=3
	v_and_b32_e32 v2, 0x7fffff, v4
	v_bfe_u32 v4, v4, 23, 8
	v_cmp_gt_u32_e64 s[28:29], s71, v4
	v_sub_u32_e32 v6, 0x79, v4
	v_cmp_eq_u32_e32 vcc, 0, v4
	v_cndmask_b32_e64 v6, 0, v6, s[28:29]
	v_mov_b32_e32 v13, 0x78
	v_or_b32_e32 v12, 0x800000, v2
	v_cndmask_b32_e32 v6, v6, v13, vcc
	v_cndmask_b32_e32 v2, v12, v2, vcc
	v_add_u32_e32 v12, 20, v6
	v_lshlrev_b64 v[12:13], v12, -1
	v_add_u32_e32 v14, 19, v6
	v_lshlrev_b64 v[16:17], v14, 1
	v_bfi_b32 v13, v13, 0, 0
	v_bfi_b32 v12, v12, 0, v2
	v_cmp_eq_u64_e64 s[28:29], v[12:13], v[16:17]
	v_lshrrev_b64 v[12:13], v6, v[2:3]
	v_mov_b32_e32 v14, v13
	v_mov_b32_e32 v13, v12
	s_and_saveexec_b64 s[38:39], s[28:29]
; %bb.6256:                             ;   in Loop: Header=BB4_6216 Depth=3
	v_bfe_u32 v2, v12, 20, 1
	v_add_co_u32_e64 v2, s[28:29], v12, v2
	v_add_co_u32_e64 v13, s[28:29], -1, v2
; %bb.6257:                             ;   in Loop: Header=BB4_6216 Depth=3
	s_or_b64 exec, exec, s[38:39]
	v_add_u32_e32 v2, 0xffffff81, v4
	v_mov_b32_e32 v4, 0xffffff82
	v_cndmask_b32_e32 v2, v2, v4, vcc
	v_lshrrev_b32_e32 v4, 23, v12
	v_add3_u32 v14, v6, v2, v4
	v_add_u32_e32 v6, 6, v14
	v_and_b32_e32 v2, 0xfffff, v13
	v_add_u32_e32 v2, v2, v12
	v_cmp_ne_u32_e32 vcc, 0, v6
                                        ; implicit-def: $vgpr12_vgpr13
                                        ; implicit-def: $vgpr4
	s_and_saveexec_b64 s[28:29], vcc
	s_xor_b64 s[28:29], exec, s[28:29]
; %bb.6258:                             ;   in Loop: Header=BB4_6216 Depth=3
	v_cmp_lt_u64_e32 vcc, s[74:75], v[2:3]
	v_add_u32_e32 v4, 7, v14
	v_cndmask_b32_e32 v4, v6, v4, vcc
	v_cndmask_b32_e64 v6, 0, 1, vcc
	v_lshrrev_b64 v[12:13], v6, v[2:3]
; %bb.6259:                             ;   in Loop: Header=BB4_6216 Depth=3
	s_andn2_saveexec_b64 s[28:29], s[28:29]
; %bb.6260:                             ;   in Loop: Header=BB4_6216 Depth=3
	v_mov_b32_e32 v13, v3
	v_mov_b32_e32 v12, v2
	v_bfe_u32 v4, v2, 23, 1
; %bb.6261:                             ;   in Loop: Header=BB4_6216 Depth=3
	s_or_b64 exec, exec, s[28:29]
	v_lshrrev_b64 v[12:13], 20, v[12:13]
	v_cmp_gt_i32_e32 vcc, 16, v4
	v_cndmask_b32_e32 v13, 0, v13, vcc
	v_cndmask_b32_e32 v12, 7, v12, vcc
	v_min_i32_e32 v2, 15, v4
	v_cmp_eq_u64_e64 s[28:29], 0, v[12:13]
	v_lshlrev_b32_e32 v2, 3, v2
	v_cmp_eq_u32_e32 vcc, 0, v4
	v_and_b32_e32 v2, 0xf8, v2
	v_and_or_b32 v2, v12, 7, v2
	s_and_b64 s[28:29], vcc, s[28:29]
	v_cndmask_b32_e64 v2, v2, 0, s[28:29]
	v_or_b32_e32 v25, v2, v1
.LBB4_6262:                             ;   in Loop: Header=BB4_6216 Depth=3
	s_or_b64 exec, exec, s[36:37]
                                        ; implicit-def: $vgpr1
.LBB4_6263:                             ;   in Loop: Header=BB4_6216 Depth=3
	s_andn2_saveexec_b64 s[28:29], s[34:35]
; %bb.6264:                             ;   in Loop: Header=BB4_6216 Depth=3
	v_or_b32_e32 v25, 0x7e, v1
; %bb.6265:                             ;   in Loop: Header=BB4_6216 Depth=3
	s_or_b64 exec, exec, s[28:29]
                                        ; implicit-def: $vgpr4
.LBB4_6266:                             ;   in Loop: Header=BB4_6216 Depth=3
	s_andn2_saveexec_b64 s[28:29], s[30:31]
; %bb.6267:                             ;   in Loop: Header=BB4_6216 Depth=3
	v_or_b32_sdwa v25, v4, s68 dst_sel:DWORD dst_unused:UNUSED_PAD src0_sel:BYTE_3 src1_sel:DWORD
; %bb.6268:                             ;   in Loop: Header=BB4_6216 Depth=3
	s_or_b64 exec, exec, s[28:29]
	v_lshrrev_b32_e32 v2, 16, v8
	v_cmp_ne_u16_sdwa vcc, v2, v3 src0_sel:BYTE_0 src1_sel:DWORD
	v_mov_b32_e32 v1, 0
	s_and_saveexec_b64 s[28:29], vcc
	s_cbranch_execz .LBB4_6274
; %bb.6269:                             ;   in Loop: Header=BB4_6216 Depth=3
	v_cmp_ne_u16_sdwa vcc, v2, s70 src0_sel:BYTE_0 src1_sel:DWORD
	v_bfrev_b32_e32 v1, 1
	s_and_saveexec_b64 s[30:31], vcc
	s_cbranch_execz .LBB4_6273
; %bb.6270:                             ;   in Loop: Header=BB4_6216 Depth=3
	v_bfe_u32 v4, v8, 16, 7
	v_cmp_ne_u32_e32 vcc, s68, v4
	v_mov_b32_e32 v1, 0x7f800001
	s_and_saveexec_b64 s[34:35], vcc
	s_cbranch_execz .LBB4_6272
; %bb.6271:                             ;   in Loop: Header=BB4_6216 Depth=3
	v_and_b32_e32 v1, 7, v2
	v_lshrrev_b32_e32 v6, 3, v4
	v_cmp_gt_u32_e32 vcc, 8, v4
	v_ffbh_u32_e32 v4, v1
	v_min_u32_e32 v4, 32, v4
	v_subrev_u32_e32 v12, 28, v4
	v_lshlrev_b64 v[12:13], v12, v[2:3]
	v_sub_u32_e32 v4, 29, v4
	v_and_b32_e32 v12, 7, v12
	v_cndmask_b32_e32 v4, v6, v4, vcc
	v_cndmask_b32_e32 v1, v1, v12, vcc
	v_lshlrev_b32_e32 v2, 24, v2
	v_lshlrev_b32_e32 v1, 20, v1
	v_and_b32_e32 v2, 0x80000000, v2
	v_lshl_add_u32 v4, v4, 23, v5
	v_or3_b32 v1, v2, v4, v1
.LBB4_6272:                             ;   in Loop: Header=BB4_6216 Depth=3
	s_or_b64 exec, exec, s[34:35]
.LBB4_6273:                             ;   in Loop: Header=BB4_6216 Depth=3
	s_or_b64 exec, exec, s[30:31]
.LBB4_6274:                             ;   in Loop: Header=BB4_6216 Depth=3
	s_or_b64 exec, exec, s[28:29]
	v_mul_f32_e32 v4, v15, v1
	v_and_b32_e32 v2, 0x7f800000, v4
	v_cmp_ne_u64_e32 vcc, s[62:63], v[2:3]
                                        ; implicit-def: $vgpr26
	s_and_saveexec_b64 s[28:29], vcc
	s_xor_b64 s[30:31], exec, s[28:29]
	s_cbranch_execz .LBB4_6288
; %bb.6275:                             ;   in Loop: Header=BB4_6216 Depth=3
	v_and_b32_e32 v2, 0x7fffffff, v4
	v_cmp_gt_u64_e32 vcc, s[72:73], v[2:3]
	v_and_b32_sdwa v1, v4, s70 dst_sel:DWORD dst_unused:UNUSED_PAD src0_sel:BYTE_3 src1_sel:DWORD
                                        ; implicit-def: $vgpr26
	s_and_saveexec_b64 s[28:29], vcc
	s_xor_b64 s[34:35], exec, s[28:29]
	s_cbranch_execz .LBB4_6285
; %bb.6276:                             ;   in Loop: Header=BB4_6216 Depth=3
	v_mov_b32_e32 v26, 0
	v_cmp_ne_u32_e32 vcc, 0, v4
	s_and_saveexec_b64 s[36:37], vcc
	s_cbranch_execz .LBB4_6284
; %bb.6277:                             ;   in Loop: Header=BB4_6216 Depth=3
	v_and_b32_e32 v2, 0x7fffff, v4
	v_bfe_u32 v4, v4, 23, 8
	v_cmp_gt_u32_e64 s[28:29], s71, v4
	v_sub_u32_e32 v6, 0x79, v4
	v_cmp_eq_u32_e32 vcc, 0, v4
	v_cndmask_b32_e64 v6, 0, v6, s[28:29]
	v_mov_b32_e32 v13, 0x78
	v_or_b32_e32 v12, 0x800000, v2
	v_cndmask_b32_e32 v6, v6, v13, vcc
	v_cndmask_b32_e32 v2, v12, v2, vcc
	v_add_u32_e32 v12, 20, v6
	v_lshlrev_b64 v[12:13], v12, -1
	v_add_u32_e32 v14, 19, v6
	v_lshlrev_b64 v[16:17], v14, 1
	v_bfi_b32 v13, v13, 0, 0
	v_bfi_b32 v12, v12, 0, v2
	v_cmp_eq_u64_e64 s[28:29], v[12:13], v[16:17]
	v_lshrrev_b64 v[12:13], v6, v[2:3]
	v_mov_b32_e32 v14, v13
	v_mov_b32_e32 v13, v12
	s_and_saveexec_b64 s[38:39], s[28:29]
; %bb.6278:                             ;   in Loop: Header=BB4_6216 Depth=3
	v_bfe_u32 v2, v12, 20, 1
	v_add_co_u32_e64 v2, s[28:29], v12, v2
	v_add_co_u32_e64 v13, s[28:29], -1, v2
; %bb.6279:                             ;   in Loop: Header=BB4_6216 Depth=3
	s_or_b64 exec, exec, s[38:39]
	v_add_u32_e32 v2, 0xffffff81, v4
	v_mov_b32_e32 v4, 0xffffff82
	v_cndmask_b32_e32 v2, v2, v4, vcc
	v_lshrrev_b32_e32 v4, 23, v12
	v_add3_u32 v14, v6, v2, v4
	v_add_u32_e32 v6, 6, v14
	v_and_b32_e32 v2, 0xfffff, v13
	v_add_u32_e32 v2, v2, v12
	v_cmp_ne_u32_e32 vcc, 0, v6
                                        ; implicit-def: $vgpr12_vgpr13
                                        ; implicit-def: $vgpr4
	s_and_saveexec_b64 s[28:29], vcc
	s_xor_b64 s[28:29], exec, s[28:29]
; %bb.6280:                             ;   in Loop: Header=BB4_6216 Depth=3
	v_cmp_lt_u64_e32 vcc, s[74:75], v[2:3]
	v_add_u32_e32 v4, 7, v14
	v_cndmask_b32_e32 v4, v6, v4, vcc
	v_cndmask_b32_e64 v6, 0, 1, vcc
	v_lshrrev_b64 v[12:13], v6, v[2:3]
; %bb.6281:                             ;   in Loop: Header=BB4_6216 Depth=3
	s_andn2_saveexec_b64 s[28:29], s[28:29]
; %bb.6282:                             ;   in Loop: Header=BB4_6216 Depth=3
	v_mov_b32_e32 v13, v3
	v_mov_b32_e32 v12, v2
	v_bfe_u32 v4, v2, 23, 1
; %bb.6283:                             ;   in Loop: Header=BB4_6216 Depth=3
	s_or_b64 exec, exec, s[28:29]
	v_lshrrev_b64 v[12:13], 20, v[12:13]
	v_cmp_gt_i32_e32 vcc, 16, v4
	v_cndmask_b32_e32 v13, 0, v13, vcc
	v_cndmask_b32_e32 v12, 7, v12, vcc
	v_min_i32_e32 v2, 15, v4
	v_cmp_eq_u64_e64 s[28:29], 0, v[12:13]
	v_lshlrev_b32_e32 v2, 3, v2
	v_cmp_eq_u32_e32 vcc, 0, v4
	v_and_b32_e32 v2, 0xf8, v2
	v_and_or_b32 v2, v12, 7, v2
	s_and_b64 s[28:29], vcc, s[28:29]
	v_cndmask_b32_e64 v2, v2, 0, s[28:29]
	v_or_b32_e32 v26, v2, v1
.LBB4_6284:                             ;   in Loop: Header=BB4_6216 Depth=3
	s_or_b64 exec, exec, s[36:37]
                                        ; implicit-def: $vgpr1
.LBB4_6285:                             ;   in Loop: Header=BB4_6216 Depth=3
	s_andn2_saveexec_b64 s[28:29], s[34:35]
; %bb.6286:                             ;   in Loop: Header=BB4_6216 Depth=3
	v_or_b32_e32 v26, 0x7e, v1
; %bb.6287:                             ;   in Loop: Header=BB4_6216 Depth=3
	s_or_b64 exec, exec, s[28:29]
                                        ; implicit-def: $vgpr4
.LBB4_6288:                             ;   in Loop: Header=BB4_6216 Depth=3
	s_andn2_saveexec_b64 s[28:29], s[30:31]
; %bb.6289:                             ;   in Loop: Header=BB4_6216 Depth=3
	v_or_b32_sdwa v26, v4, s68 dst_sel:DWORD dst_unused:UNUSED_PAD src0_sel:BYTE_3 src1_sel:DWORD
; %bb.6290:                             ;   in Loop: Header=BB4_6216 Depth=3
	s_or_b64 exec, exec, s[28:29]
	v_cmp_lt_u32_e32 vcc, s57, v8
	v_mov_b32_e32 v1, 0
	s_and_saveexec_b64 s[28:29], vcc
	s_cbranch_execz .LBB4_6296
; %bb.6291:                             ;   in Loop: Header=BB4_6216 Depth=3
	v_lshrrev_b32_e32 v2, 24, v8
	v_cmp_ne_u32_e32 vcc, s70, v2
	v_bfrev_b32_e32 v1, 1
	s_and_saveexec_b64 s[30:31], vcc
	s_cbranch_execz .LBB4_6295
; %bb.6292:                             ;   in Loop: Header=BB4_6216 Depth=3
	v_bfe_u32 v4, v8, 24, 7
	v_cmp_ne_u32_e32 vcc, s68, v4
	v_mov_b32_e32 v1, 0x7f800001
	s_and_saveexec_b64 s[34:35], vcc
	s_cbranch_execz .LBB4_6294
; %bb.6293:                             ;   in Loop: Header=BB4_6216 Depth=3
	v_and_b32_e32 v1, 7, v2
	v_lshrrev_b32_e32 v6, 3, v4
	v_cmp_gt_u32_e32 vcc, 8, v4
	v_ffbh_u32_e32 v4, v1
	v_min_u32_e32 v4, 32, v4
	v_subrev_u32_e32 v12, 28, v4
	v_lshlrev_b64 v[12:13], v12, v[2:3]
	v_sub_u32_e32 v4, 29, v4
	v_and_b32_e32 v12, 7, v12
	v_cndmask_b32_e32 v4, v6, v4, vcc
	v_cndmask_b32_e32 v1, v1, v12, vcc
	v_lshlrev_b32_e32 v2, 24, v2
	v_lshlrev_b32_e32 v1, 20, v1
	v_and_b32_e32 v2, 0x80000000, v2
	v_lshl_add_u32 v4, v4, 23, v5
	v_or3_b32 v1, v2, v4, v1
.LBB4_6294:                             ;   in Loop: Header=BB4_6216 Depth=3
	s_or_b64 exec, exec, s[34:35]
.LBB4_6295:                             ;   in Loop: Header=BB4_6216 Depth=3
	s_or_b64 exec, exec, s[30:31]
.LBB4_6296:                             ;   in Loop: Header=BB4_6216 Depth=3
	s_or_b64 exec, exec, s[28:29]
	v_mul_f32_e32 v4, v15, v1
	v_and_b32_e32 v2, 0x7f800000, v4
	v_cmp_ne_u64_e32 vcc, s[62:63], v[2:3]
                                        ; implicit-def: $vgpr28
	s_and_saveexec_b64 s[28:29], vcc
	s_xor_b64 s[30:31], exec, s[28:29]
	s_cbranch_execz .LBB4_6310
; %bb.6297:                             ;   in Loop: Header=BB4_6216 Depth=3
	v_and_b32_e32 v2, 0x7fffffff, v4
	v_cmp_gt_u64_e32 vcc, s[72:73], v[2:3]
	v_and_b32_sdwa v1, v4, s70 dst_sel:DWORD dst_unused:UNUSED_PAD src0_sel:BYTE_3 src1_sel:DWORD
                                        ; implicit-def: $vgpr28
	s_and_saveexec_b64 s[28:29], vcc
	s_xor_b64 s[34:35], exec, s[28:29]
	s_cbranch_execz .LBB4_6307
; %bb.6298:                             ;   in Loop: Header=BB4_6216 Depth=3
	v_mov_b32_e32 v28, 0
	v_cmp_ne_u32_e32 vcc, 0, v4
	s_and_saveexec_b64 s[36:37], vcc
	s_cbranch_execz .LBB4_6306
; %bb.6299:                             ;   in Loop: Header=BB4_6216 Depth=3
	v_and_b32_e32 v2, 0x7fffff, v4
	v_bfe_u32 v4, v4, 23, 8
	v_cmp_gt_u32_e64 s[28:29], s71, v4
	v_sub_u32_e32 v6, 0x79, v4
	v_cmp_eq_u32_e32 vcc, 0, v4
	v_cndmask_b32_e64 v6, 0, v6, s[28:29]
	v_mov_b32_e32 v13, 0x78
	v_or_b32_e32 v12, 0x800000, v2
	v_cndmask_b32_e32 v6, v6, v13, vcc
	v_cndmask_b32_e32 v2, v12, v2, vcc
	v_add_u32_e32 v12, 20, v6
	v_lshlrev_b64 v[12:13], v12, -1
	v_add_u32_e32 v14, 19, v6
	v_lshlrev_b64 v[16:17], v14, 1
	v_bfi_b32 v13, v13, 0, 0
	v_bfi_b32 v12, v12, 0, v2
	v_cmp_eq_u64_e64 s[28:29], v[12:13], v[16:17]
	v_lshrrev_b64 v[12:13], v6, v[2:3]
	v_mov_b32_e32 v14, v13
	v_mov_b32_e32 v13, v12
	s_and_saveexec_b64 s[38:39], s[28:29]
; %bb.6300:                             ;   in Loop: Header=BB4_6216 Depth=3
	v_bfe_u32 v2, v12, 20, 1
	v_add_co_u32_e64 v2, s[28:29], v12, v2
	v_add_co_u32_e64 v13, s[28:29], -1, v2
; %bb.6301:                             ;   in Loop: Header=BB4_6216 Depth=3
	s_or_b64 exec, exec, s[38:39]
	v_add_u32_e32 v2, 0xffffff81, v4
	v_mov_b32_e32 v4, 0xffffff82
	v_cndmask_b32_e32 v2, v2, v4, vcc
	v_lshrrev_b32_e32 v4, 23, v12
	v_add3_u32 v14, v6, v2, v4
	v_add_u32_e32 v6, 6, v14
	v_and_b32_e32 v2, 0xfffff, v13
	v_add_u32_e32 v2, v2, v12
	v_cmp_ne_u32_e32 vcc, 0, v6
                                        ; implicit-def: $vgpr12_vgpr13
                                        ; implicit-def: $vgpr4
	s_and_saveexec_b64 s[28:29], vcc
	s_xor_b64 s[28:29], exec, s[28:29]
; %bb.6302:                             ;   in Loop: Header=BB4_6216 Depth=3
	v_cmp_lt_u64_e32 vcc, s[74:75], v[2:3]
	v_add_u32_e32 v4, 7, v14
	v_cndmask_b32_e32 v4, v6, v4, vcc
	v_cndmask_b32_e64 v6, 0, 1, vcc
	v_lshrrev_b64 v[12:13], v6, v[2:3]
; %bb.6303:                             ;   in Loop: Header=BB4_6216 Depth=3
	s_andn2_saveexec_b64 s[28:29], s[28:29]
; %bb.6304:                             ;   in Loop: Header=BB4_6216 Depth=3
	v_mov_b32_e32 v13, v3
	v_mov_b32_e32 v12, v2
	v_bfe_u32 v4, v2, 23, 1
; %bb.6305:                             ;   in Loop: Header=BB4_6216 Depth=3
	s_or_b64 exec, exec, s[28:29]
	v_lshrrev_b64 v[12:13], 20, v[12:13]
	v_cmp_gt_i32_e32 vcc, 16, v4
	v_cndmask_b32_e32 v13, 0, v13, vcc
	v_cndmask_b32_e32 v12, 7, v12, vcc
	v_min_i32_e32 v2, 15, v4
	v_cmp_eq_u64_e64 s[28:29], 0, v[12:13]
	v_lshlrev_b32_e32 v2, 3, v2
	v_cmp_eq_u32_e32 vcc, 0, v4
	v_and_b32_e32 v2, 0xf8, v2
	v_and_or_b32 v2, v12, 7, v2
	s_and_b64 s[28:29], vcc, s[28:29]
	v_cndmask_b32_e64 v2, v2, 0, s[28:29]
	v_or_b32_e32 v28, v2, v1
.LBB4_6306:                             ;   in Loop: Header=BB4_6216 Depth=3
	s_or_b64 exec, exec, s[36:37]
                                        ; implicit-def: $vgpr1
.LBB4_6307:                             ;   in Loop: Header=BB4_6216 Depth=3
	s_andn2_saveexec_b64 s[28:29], s[34:35]
; %bb.6308:                             ;   in Loop: Header=BB4_6216 Depth=3
	v_or_b32_e32 v28, 0x7e, v1
; %bb.6309:                             ;   in Loop: Header=BB4_6216 Depth=3
	s_or_b64 exec, exec, s[28:29]
                                        ; implicit-def: $vgpr4
.LBB4_6310:                             ;   in Loop: Header=BB4_6216 Depth=3
	s_andn2_saveexec_b64 s[28:29], s[30:31]
; %bb.6311:                             ;   in Loop: Header=BB4_6216 Depth=3
	v_or_b32_sdwa v28, v4, s68 dst_sel:DWORD dst_unused:UNUSED_PAD src0_sel:BYTE_3 src1_sel:DWORD
; %bb.6312:                             ;   in Loop: Header=BB4_6216 Depth=3
	s_or_b64 exec, exec, s[28:29]
	v_mov_b32_e32 v2, v9
	v_cmp_ne_u16_sdwa vcc, v9, v3 src0_sel:BYTE_0 src1_sel:DWORD
	v_mov_b32_e32 v1, 0
	s_and_saveexec_b64 s[28:29], vcc
	s_cbranch_execz .LBB4_6318
; %bb.6313:                             ;   in Loop: Header=BB4_6216 Depth=3
	v_cmp_ne_u16_sdwa vcc, v9, s70 src0_sel:BYTE_0 src1_sel:DWORD
	v_bfrev_b32_e32 v1, 1
	s_and_saveexec_b64 s[30:31], vcc
	s_cbranch_execz .LBB4_6317
; %bb.6314:                             ;   in Loop: Header=BB4_6216 Depth=3
	v_and_b32_e32 v4, 0x7f, v9
	v_cmp_ne_u32_e32 vcc, s68, v4
	v_mov_b32_e32 v1, 0x7f800001
	s_and_saveexec_b64 s[34:35], vcc
	s_cbranch_execz .LBB4_6316
; %bb.6315:                             ;   in Loop: Header=BB4_6216 Depth=3
	v_and_b32_e32 v1, 7, v9
	v_ffbh_u32_e32 v1, v1
	v_min_u32_e32 v1, 32, v1
	v_lshrrev_b32_e32 v6, 3, v4
	v_cmp_gt_u32_e32 vcc, 8, v4
	v_subrev_u32_e32 v4, 28, v1
	v_cndmask_b32_e32 v4, 0, v4, vcc
	v_lshlrev_b64 v[12:13], v4, v[2:3]
	v_sub_u32_e32 v1, 29, v1
	v_cndmask_b32_e32 v1, v6, v1, vcc
	v_lshlrev_b32_e32 v4, 20, v12
	v_lshlrev_b32_e32 v6, 24, v2
	v_and_b32_e32 v4, 0x700000, v4
	v_and_b32_e32 v6, 0x80000000, v6
	v_lshl_add_u32 v1, v1, 23, v5
	v_or3_b32 v1, v6, v1, v4
.LBB4_6316:                             ;   in Loop: Header=BB4_6216 Depth=3
	s_or_b64 exec, exec, s[34:35]
.LBB4_6317:                             ;   in Loop: Header=BB4_6216 Depth=3
	s_or_b64 exec, exec, s[30:31]
.LBB4_6318:                             ;   in Loop: Header=BB4_6216 Depth=3
	s_or_b64 exec, exec, s[28:29]
	v_mul_f32_e32 v6, v15, v1
	v_and_b32_e32 v12, 0x7f800000, v6
	v_mov_b32_e32 v13, v3
	v_cmp_ne_u64_e32 vcc, s[62:63], v[12:13]
                                        ; implicit-def: $vgpr4
	s_and_saveexec_b64 s[28:29], vcc
	s_xor_b64 s[30:31], exec, s[28:29]
	s_cbranch_execz .LBB4_6332
; %bb.6319:                             ;   in Loop: Header=BB4_6216 Depth=3
	v_and_b32_e32 v12, 0x7fffffff, v6
	v_mov_b32_e32 v13, v3
	v_cmp_gt_u64_e32 vcc, s[72:73], v[12:13]
	v_and_b32_sdwa v1, v6, s70 dst_sel:DWORD dst_unused:UNUSED_PAD src0_sel:BYTE_3 src1_sel:DWORD
                                        ; implicit-def: $vgpr4
	s_and_saveexec_b64 s[28:29], vcc
	s_xor_b64 s[34:35], exec, s[28:29]
	s_cbranch_execz .LBB4_6329
; %bb.6320:                             ;   in Loop: Header=BB4_6216 Depth=3
	v_mov_b32_e32 v4, 0
	v_cmp_ne_u32_e32 vcc, 0, v6
	s_and_saveexec_b64 s[36:37], vcc
	s_cbranch_execz .LBB4_6328
; %bb.6321:                             ;   in Loop: Header=BB4_6216 Depth=3
	v_bfe_u32 v4, v6, 23, 8
	v_and_b32_e32 v12, 0x7fffff, v6
	v_cmp_gt_u32_e64 s[28:29], s71, v4
	v_sub_u32_e32 v6, 0x79, v4
	v_cmp_eq_u32_e32 vcc, 0, v4
	v_cndmask_b32_e64 v6, 0, v6, s[28:29]
	v_mov_b32_e32 v14, 0x78
	v_cndmask_b32_e32 v6, v6, v14, vcc
	v_add_u32_e32 v14, 20, v6
	v_or_b32_e32 v13, 0x800000, v12
	v_lshlrev_b64 v[16:17], v14, -1
	v_cndmask_b32_e32 v12, v13, v12, vcc
	v_mov_b32_e32 v13, v3
	v_add_u32_e32 v14, 19, v6
	v_bfi_b32 v16, v16, 0, v12
	v_lshlrev_b64 v[20:21], v14, 1
	v_lshrrev_b64 v[12:13], v6, v[12:13]
	v_bfi_b32 v17, v17, 0, 0
	v_cmp_eq_u64_e64 s[28:29], v[16:17], v[20:21]
	v_mov_b32_e32 v14, v13
	v_mov_b32_e32 v13, v12
	s_and_saveexec_b64 s[38:39], s[28:29]
; %bb.6322:                             ;   in Loop: Header=BB4_6216 Depth=3
	v_bfe_u32 v13, v12, 20, 1
	v_add_co_u32_e64 v13, s[28:29], v12, v13
	v_add_co_u32_e64 v13, s[28:29], -1, v13
; %bb.6323:                             ;   in Loop: Header=BB4_6216 Depth=3
	s_or_b64 exec, exec, s[38:39]
	v_add_u32_e32 v4, 0xffffff81, v4
	v_mov_b32_e32 v14, 0xffffff82
	v_cndmask_b32_e32 v4, v4, v14, vcc
	v_lshrrev_b32_e32 v14, 23, v12
	v_add3_u32 v14, v6, v4, v14
	v_add_u32_e32 v6, 6, v14
	v_and_b32_e32 v4, 0xfffff, v13
	v_add_u32_e32 v12, v4, v12
	v_mov_b32_e32 v13, v3
	v_cmp_ne_u32_e32 vcc, 0, v6
                                        ; implicit-def: $vgpr4
	s_and_saveexec_b64 s[28:29], vcc
	s_xor_b64 s[28:29], exec, s[28:29]
; %bb.6324:                             ;   in Loop: Header=BB4_6216 Depth=3
	v_cmp_lt_u64_e32 vcc, s[74:75], v[12:13]
	v_add_u32_e32 v4, 7, v14
	v_cndmask_b32_e32 v4, v6, v4, vcc
	v_cndmask_b32_e64 v6, 0, 1, vcc
	v_lshrrev_b64 v[12:13], v6, v[12:13]
; %bb.6325:                             ;   in Loop: Header=BB4_6216 Depth=3
	s_andn2_saveexec_b64 s[28:29], s[28:29]
; %bb.6326:                             ;   in Loop: Header=BB4_6216 Depth=3
	v_bfe_u32 v4, v12, 23, 1
; %bb.6327:                             ;   in Loop: Header=BB4_6216 Depth=3
	s_or_b64 exec, exec, s[28:29]
	v_lshrrev_b64 v[12:13], 20, v[12:13]
	v_cmp_gt_i32_e32 vcc, 16, v4
	v_cndmask_b32_e32 v13, 0, v13, vcc
	v_cndmask_b32_e32 v12, 7, v12, vcc
	v_cmp_eq_u32_e32 vcc, 0, v4
	v_min_i32_e32 v4, 15, v4
	v_cmp_eq_u64_e64 s[28:29], 0, v[12:13]
	v_lshlrev_b32_e32 v4, 3, v4
	v_and_b32_e32 v4, 0xf8, v4
	v_and_or_b32 v4, v12, 7, v4
	s_and_b64 s[28:29], vcc, s[28:29]
	v_cndmask_b32_e64 v4, v4, 0, s[28:29]
	v_or_b32_e32 v4, v4, v1
.LBB4_6328:                             ;   in Loop: Header=BB4_6216 Depth=3
	s_or_b64 exec, exec, s[36:37]
                                        ; implicit-def: $vgpr1
.LBB4_6329:                             ;   in Loop: Header=BB4_6216 Depth=3
	s_andn2_saveexec_b64 s[28:29], s[34:35]
; %bb.6330:                             ;   in Loop: Header=BB4_6216 Depth=3
	v_or_b32_e32 v4, 0x7e, v1
; %bb.6331:                             ;   in Loop: Header=BB4_6216 Depth=3
	s_or_b64 exec, exec, s[28:29]
                                        ; implicit-def: $vgpr6
.LBB4_6332:                             ;   in Loop: Header=BB4_6216 Depth=3
	s_andn2_saveexec_b64 s[28:29], s[30:31]
; %bb.6333:                             ;   in Loop: Header=BB4_6216 Depth=3
	v_or_b32_sdwa v4, v6, s68 dst_sel:DWORD dst_unused:UNUSED_PAD src0_sel:BYTE_3 src1_sel:DWORD
; %bb.6334:                             ;   in Loop: Header=BB4_6216 Depth=3
	s_or_b64 exec, exec, s[28:29]
	v_lshrrev_b16_e32 v12, 8, v2
	v_cmp_ne_u16_e32 vcc, 0, v12
	v_mov_b32_e32 v1, 0
	s_and_saveexec_b64 s[28:29], vcc
	s_cbranch_execz .LBB4_6340
; %bb.6335:                             ;   in Loop: Header=BB4_6216 Depth=3
	v_cmp_ne_u16_e32 vcc, s70, v12
	v_bfrev_b32_e32 v1, 1
	s_and_saveexec_b64 s[30:31], vcc
	s_cbranch_execz .LBB4_6339
; %bb.6336:                             ;   in Loop: Header=BB4_6216 Depth=3
	v_and_b32_e32 v6, 0x7f, v12
	v_cmp_ne_u32_e32 vcc, s68, v6
	v_mov_b32_e32 v1, 0x7f800001
	s_and_saveexec_b64 s[34:35], vcc
	s_cbranch_execz .LBB4_6338
; %bb.6337:                             ;   in Loop: Header=BB4_6216 Depth=3
	v_and_b32_e32 v1, 7, v12
	v_lshrrev_b32_e32 v14, 3, v6
	v_cmp_gt_u32_e32 vcc, 8, v6
	v_ffbh_u32_e32 v6, v1
	v_min_u32_e32 v6, 32, v6
	v_subrev_u32_e32 v13, 28, v6
	v_lshlrev_b64 v[12:13], v13, v[12:13]
	v_sub_u32_e32 v6, 29, v6
	v_and_b32_e32 v12, 7, v12
	v_cndmask_b32_e32 v6, v14, v6, vcc
	v_cndmask_b32_e32 v1, v1, v12, vcc
	v_lshlrev_b32_e32 v2, 16, v2
	v_lshlrev_b32_e32 v1, 20, v1
	v_and_b32_e32 v2, 0x80000000, v2
	v_lshl_add_u32 v6, v6, 23, v5
	v_or3_b32 v1, v2, v6, v1
.LBB4_6338:                             ;   in Loop: Header=BB4_6216 Depth=3
	s_or_b64 exec, exec, s[34:35]
.LBB4_6339:                             ;   in Loop: Header=BB4_6216 Depth=3
	s_or_b64 exec, exec, s[30:31]
.LBB4_6340:                             ;   in Loop: Header=BB4_6216 Depth=3
	s_or_b64 exec, exec, s[28:29]
	v_mul_f32_e32 v6, v15, v1
	v_and_b32_e32 v2, 0x7f800000, v6
	v_cmp_ne_u64_e32 vcc, s[62:63], v[2:3]
                                        ; implicit-def: $vgpr17
	s_and_saveexec_b64 s[28:29], vcc
	s_xor_b64 s[30:31], exec, s[28:29]
	s_cbranch_execz .LBB4_6354
; %bb.6341:                             ;   in Loop: Header=BB4_6216 Depth=3
	v_and_b32_e32 v2, 0x7fffffff, v6
	v_cmp_gt_u64_e32 vcc, s[72:73], v[2:3]
	v_and_b32_sdwa v1, v6, s70 dst_sel:DWORD dst_unused:UNUSED_PAD src0_sel:BYTE_3 src1_sel:DWORD
                                        ; implicit-def: $vgpr17
	s_and_saveexec_b64 s[28:29], vcc
	s_xor_b64 s[34:35], exec, s[28:29]
	s_cbranch_execz .LBB4_6351
; %bb.6342:                             ;   in Loop: Header=BB4_6216 Depth=3
	v_mov_b32_e32 v17, 0
	v_cmp_ne_u32_e32 vcc, 0, v6
	s_and_saveexec_b64 s[36:37], vcc
	s_cbranch_execz .LBB4_6350
; %bb.6343:                             ;   in Loop: Header=BB4_6216 Depth=3
	v_and_b32_e32 v2, 0x7fffff, v6
	v_bfe_u32 v6, v6, 23, 8
	v_cmp_gt_u32_e64 s[28:29], s71, v6
	v_sub_u32_e32 v12, 0x79, v6
	v_cmp_eq_u32_e32 vcc, 0, v6
	v_cndmask_b32_e64 v12, 0, v12, s[28:29]
	v_mov_b32_e32 v14, 0x78
	v_cndmask_b32_e32 v16, v12, v14, vcc
	v_or_b32_e32 v13, 0x800000, v2
	v_add_u32_e32 v12, 20, v16
	v_cndmask_b32_e32 v2, v13, v2, vcc
	v_lshlrev_b64 v[12:13], v12, -1
	v_add_u32_e32 v14, 19, v16
	v_lshlrev_b64 v[17:18], v14, 1
	v_bfi_b32 v13, v13, 0, 0
	v_bfi_b32 v12, v12, 0, v2
	v_cmp_eq_u64_e64 s[28:29], v[12:13], v[17:18]
	v_lshrrev_b64 v[12:13], v16, v[2:3]
	v_mov_b32_e32 v14, v13
	v_mov_b32_e32 v13, v12
	s_and_saveexec_b64 s[38:39], s[28:29]
; %bb.6344:                             ;   in Loop: Header=BB4_6216 Depth=3
	v_bfe_u32 v2, v12, 20, 1
	v_add_co_u32_e64 v2, s[28:29], v12, v2
	v_add_co_u32_e64 v13, s[28:29], -1, v2
; %bb.6345:                             ;   in Loop: Header=BB4_6216 Depth=3
	s_or_b64 exec, exec, s[38:39]
	v_add_u32_e32 v2, 0xffffff81, v6
	v_mov_b32_e32 v6, 0xffffff82
	v_cndmask_b32_e32 v2, v2, v6, vcc
	v_lshrrev_b32_e32 v6, 23, v12
	v_add3_u32 v16, v16, v2, v6
	v_add_u32_e32 v14, 6, v16
	v_and_b32_e32 v2, 0xfffff, v13
	v_add_u32_e32 v2, v2, v12
	v_cmp_ne_u32_e32 vcc, 0, v14
                                        ; implicit-def: $vgpr12_vgpr13
                                        ; implicit-def: $vgpr6
	s_and_saveexec_b64 s[28:29], vcc
	s_xor_b64 s[28:29], exec, s[28:29]
; %bb.6346:                             ;   in Loop: Header=BB4_6216 Depth=3
	v_cmp_lt_u64_e32 vcc, s[74:75], v[2:3]
	v_add_u32_e32 v6, 7, v16
	v_cndmask_b32_e64 v12, 0, 1, vcc
	v_cndmask_b32_e32 v6, v14, v6, vcc
	v_lshrrev_b64 v[12:13], v12, v[2:3]
; %bb.6347:                             ;   in Loop: Header=BB4_6216 Depth=3
	s_andn2_saveexec_b64 s[28:29], s[28:29]
; %bb.6348:                             ;   in Loop: Header=BB4_6216 Depth=3
	v_mov_b32_e32 v13, v3
	v_mov_b32_e32 v12, v2
	v_bfe_u32 v6, v2, 23, 1
; %bb.6349:                             ;   in Loop: Header=BB4_6216 Depth=3
	s_or_b64 exec, exec, s[28:29]
	v_lshrrev_b64 v[12:13], 20, v[12:13]
	v_cmp_gt_i32_e32 vcc, 16, v6
	v_cndmask_b32_e32 v13, 0, v13, vcc
	v_cndmask_b32_e32 v12, 7, v12, vcc
	v_min_i32_e32 v2, 15, v6
	v_cmp_eq_u64_e64 s[28:29], 0, v[12:13]
	v_lshlrev_b32_e32 v2, 3, v2
	v_cmp_eq_u32_e32 vcc, 0, v6
	v_and_b32_e32 v2, 0xf8, v2
	v_and_or_b32 v2, v12, 7, v2
	s_and_b64 s[28:29], vcc, s[28:29]
	v_cndmask_b32_e64 v2, v2, 0, s[28:29]
	v_or_b32_e32 v17, v2, v1
.LBB4_6350:                             ;   in Loop: Header=BB4_6216 Depth=3
	s_or_b64 exec, exec, s[36:37]
                                        ; implicit-def: $vgpr1
.LBB4_6351:                             ;   in Loop: Header=BB4_6216 Depth=3
	s_andn2_saveexec_b64 s[28:29], s[34:35]
; %bb.6352:                             ;   in Loop: Header=BB4_6216 Depth=3
	v_or_b32_e32 v17, 0x7e, v1
; %bb.6353:                             ;   in Loop: Header=BB4_6216 Depth=3
	s_or_b64 exec, exec, s[28:29]
                                        ; implicit-def: $vgpr6
.LBB4_6354:                             ;   in Loop: Header=BB4_6216 Depth=3
	s_andn2_saveexec_b64 s[28:29], s[30:31]
; %bb.6355:                             ;   in Loop: Header=BB4_6216 Depth=3
	v_or_b32_sdwa v17, v6, s68 dst_sel:DWORD dst_unused:UNUSED_PAD src0_sel:BYTE_3 src1_sel:DWORD
; %bb.6356:                             ;   in Loop: Header=BB4_6216 Depth=3
	s_or_b64 exec, exec, s[28:29]
	v_lshrrev_b32_e32 v2, 16, v9
	v_cmp_ne_u16_sdwa vcc, v2, v3 src0_sel:BYTE_0 src1_sel:DWORD
	v_mov_b32_e32 v1, 0
	s_and_saveexec_b64 s[28:29], vcc
	s_cbranch_execz .LBB4_6362
; %bb.6357:                             ;   in Loop: Header=BB4_6216 Depth=3
	v_cmp_ne_u16_sdwa vcc, v2, s70 src0_sel:BYTE_0 src1_sel:DWORD
	v_bfrev_b32_e32 v1, 1
	s_and_saveexec_b64 s[30:31], vcc
	s_cbranch_execz .LBB4_6361
; %bb.6358:                             ;   in Loop: Header=BB4_6216 Depth=3
	v_bfe_u32 v6, v9, 16, 7
	v_cmp_ne_u32_e32 vcc, s68, v6
	v_mov_b32_e32 v1, 0x7f800001
	s_and_saveexec_b64 s[34:35], vcc
	s_cbranch_execz .LBB4_6360
; %bb.6359:                             ;   in Loop: Header=BB4_6216 Depth=3
	v_and_b32_e32 v1, 7, v2
	v_lshrrev_b32_e32 v14, 3, v6
	v_cmp_gt_u32_e32 vcc, 8, v6
	v_ffbh_u32_e32 v6, v1
	v_min_u32_e32 v6, 32, v6
	v_subrev_u32_e32 v12, 28, v6
	v_lshlrev_b64 v[12:13], v12, v[2:3]
	v_sub_u32_e32 v6, 29, v6
	v_and_b32_e32 v12, 7, v12
	v_cndmask_b32_e32 v6, v14, v6, vcc
	v_cndmask_b32_e32 v1, v1, v12, vcc
	v_lshlrev_b32_e32 v2, 24, v2
	v_lshlrev_b32_e32 v1, 20, v1
	v_and_b32_e32 v2, 0x80000000, v2
	v_lshl_add_u32 v6, v6, 23, v5
	v_or3_b32 v1, v2, v6, v1
.LBB4_6360:                             ;   in Loop: Header=BB4_6216 Depth=3
	s_or_b64 exec, exec, s[34:35]
.LBB4_6361:                             ;   in Loop: Header=BB4_6216 Depth=3
	s_or_b64 exec, exec, s[30:31]
.LBB4_6362:                             ;   in Loop: Header=BB4_6216 Depth=3
	s_or_b64 exec, exec, s[28:29]
	v_mul_f32_e32 v6, v15, v1
	v_and_b32_e32 v2, 0x7f800000, v6
	v_cmp_ne_u64_e32 vcc, s[62:63], v[2:3]
                                        ; implicit-def: $vgpr39
	s_and_saveexec_b64 s[28:29], vcc
	s_xor_b64 s[30:31], exec, s[28:29]
	s_cbranch_execz .LBB4_6376
; %bb.6363:                             ;   in Loop: Header=BB4_6216 Depth=3
	v_and_b32_e32 v2, 0x7fffffff, v6
	v_cmp_gt_u64_e32 vcc, s[72:73], v[2:3]
	v_and_b32_sdwa v1, v6, s70 dst_sel:DWORD dst_unused:UNUSED_PAD src0_sel:BYTE_3 src1_sel:DWORD
                                        ; implicit-def: $vgpr39
	s_and_saveexec_b64 s[28:29], vcc
	s_xor_b64 s[34:35], exec, s[28:29]
	s_cbranch_execz .LBB4_6373
; %bb.6364:                             ;   in Loop: Header=BB4_6216 Depth=3
	v_mov_b32_e32 v39, 0
	v_cmp_ne_u32_e32 vcc, 0, v6
	s_and_saveexec_b64 s[36:37], vcc
	s_cbranch_execz .LBB4_6372
; %bb.6365:                             ;   in Loop: Header=BB4_6216 Depth=3
	v_and_b32_e32 v2, 0x7fffff, v6
	v_bfe_u32 v6, v6, 23, 8
	v_cmp_gt_u32_e64 s[28:29], s71, v6
	v_sub_u32_e32 v12, 0x79, v6
	v_cmp_eq_u32_e32 vcc, 0, v6
	v_cndmask_b32_e64 v12, 0, v12, s[28:29]
	v_mov_b32_e32 v14, 0x78
	v_cndmask_b32_e32 v16, v12, v14, vcc
	v_or_b32_e32 v13, 0x800000, v2
	v_add_u32_e32 v12, 20, v16
	v_cndmask_b32_e32 v2, v13, v2, vcc
	v_lshlrev_b64 v[12:13], v12, -1
	v_add_u32_e32 v14, 19, v16
	v_lshlrev_b64 v[20:21], v14, 1
	v_bfi_b32 v13, v13, 0, 0
	v_bfi_b32 v12, v12, 0, v2
	v_cmp_eq_u64_e64 s[28:29], v[12:13], v[20:21]
	v_lshrrev_b64 v[12:13], v16, v[2:3]
	v_mov_b32_e32 v14, v13
	v_mov_b32_e32 v13, v12
	s_and_saveexec_b64 s[38:39], s[28:29]
; %bb.6366:                             ;   in Loop: Header=BB4_6216 Depth=3
	v_bfe_u32 v2, v12, 20, 1
	v_add_co_u32_e64 v2, s[28:29], v12, v2
	v_add_co_u32_e64 v13, s[28:29], -1, v2
; %bb.6367:                             ;   in Loop: Header=BB4_6216 Depth=3
	s_or_b64 exec, exec, s[38:39]
	v_add_u32_e32 v2, 0xffffff81, v6
	v_mov_b32_e32 v6, 0xffffff82
	v_cndmask_b32_e32 v2, v2, v6, vcc
	v_lshrrev_b32_e32 v6, 23, v12
	v_add3_u32 v16, v16, v2, v6
	v_add_u32_e32 v14, 6, v16
	v_and_b32_e32 v2, 0xfffff, v13
	v_add_u32_e32 v2, v2, v12
	v_cmp_ne_u32_e32 vcc, 0, v14
                                        ; implicit-def: $vgpr12_vgpr13
                                        ; implicit-def: $vgpr6
	s_and_saveexec_b64 s[28:29], vcc
	s_xor_b64 s[28:29], exec, s[28:29]
; %bb.6368:                             ;   in Loop: Header=BB4_6216 Depth=3
	v_cmp_lt_u64_e32 vcc, s[74:75], v[2:3]
	v_add_u32_e32 v6, 7, v16
	v_cndmask_b32_e64 v12, 0, 1, vcc
	v_cndmask_b32_e32 v6, v14, v6, vcc
	v_lshrrev_b64 v[12:13], v12, v[2:3]
; %bb.6369:                             ;   in Loop: Header=BB4_6216 Depth=3
	s_andn2_saveexec_b64 s[28:29], s[28:29]
; %bb.6370:                             ;   in Loop: Header=BB4_6216 Depth=3
	v_mov_b32_e32 v13, v3
	v_mov_b32_e32 v12, v2
	v_bfe_u32 v6, v2, 23, 1
; %bb.6371:                             ;   in Loop: Header=BB4_6216 Depth=3
	s_or_b64 exec, exec, s[28:29]
	v_lshrrev_b64 v[12:13], 20, v[12:13]
	v_cmp_gt_i32_e32 vcc, 16, v6
	v_cndmask_b32_e32 v13, 0, v13, vcc
	v_cndmask_b32_e32 v12, 7, v12, vcc
	v_min_i32_e32 v2, 15, v6
	v_cmp_eq_u64_e64 s[28:29], 0, v[12:13]
	v_lshlrev_b32_e32 v2, 3, v2
	v_cmp_eq_u32_e32 vcc, 0, v6
	v_and_b32_e32 v2, 0xf8, v2
	v_and_or_b32 v2, v12, 7, v2
	s_and_b64 s[28:29], vcc, s[28:29]
	v_cndmask_b32_e64 v2, v2, 0, s[28:29]
	v_or_b32_e32 v39, v2, v1
.LBB4_6372:                             ;   in Loop: Header=BB4_6216 Depth=3
	s_or_b64 exec, exec, s[36:37]
                                        ; implicit-def: $vgpr1
.LBB4_6373:                             ;   in Loop: Header=BB4_6216 Depth=3
	s_andn2_saveexec_b64 s[28:29], s[34:35]
; %bb.6374:                             ;   in Loop: Header=BB4_6216 Depth=3
	v_or_b32_e32 v39, 0x7e, v1
; %bb.6375:                             ;   in Loop: Header=BB4_6216 Depth=3
	s_or_b64 exec, exec, s[28:29]
                                        ; implicit-def: $vgpr6
.LBB4_6376:                             ;   in Loop: Header=BB4_6216 Depth=3
	s_andn2_saveexec_b64 s[28:29], s[30:31]
; %bb.6377:                             ;   in Loop: Header=BB4_6216 Depth=3
	v_or_b32_sdwa v39, v6, s68 dst_sel:DWORD dst_unused:UNUSED_PAD src0_sel:BYTE_3 src1_sel:DWORD
; %bb.6378:                             ;   in Loop: Header=BB4_6216 Depth=3
	s_or_b64 exec, exec, s[28:29]
	v_cmp_lt_u64_e32 vcc, s[56:57], v[8:9]
	v_mov_b32_e32 v1, 0
	s_and_saveexec_b64 s[28:29], vcc
	s_cbranch_execz .LBB4_6384
; %bb.6379:                             ;   in Loop: Header=BB4_6216 Depth=3
	v_lshrrev_b32_e32 v2, 24, v9
	v_cmp_ne_u32_e32 vcc, s70, v2
	v_bfrev_b32_e32 v1, 1
	s_and_saveexec_b64 s[30:31], vcc
	s_cbranch_execz .LBB4_6383
; %bb.6380:                             ;   in Loop: Header=BB4_6216 Depth=3
	v_bfe_u32 v6, v9, 24, 7
	v_cmp_ne_u32_e32 vcc, s68, v6
	v_mov_b32_e32 v1, 0x7f800001
	s_and_saveexec_b64 s[34:35], vcc
	s_cbranch_execz .LBB4_6382
; %bb.6381:                             ;   in Loop: Header=BB4_6216 Depth=3
	v_and_b32_e32 v1, 7, v2
	v_lshrrev_b32_e32 v12, 3, v6
	v_cmp_gt_u32_e32 vcc, 8, v6
	v_ffbh_u32_e32 v6, v1
	v_min_u32_e32 v6, 32, v6
	v_subrev_u32_e32 v8, 28, v6
	v_lshlrev_b64 v[8:9], v8, v[2:3]
	v_sub_u32_e32 v6, 29, v6
	v_and_b32_e32 v8, 7, v8
	v_cndmask_b32_e32 v6, v12, v6, vcc
	v_cndmask_b32_e32 v1, v1, v8, vcc
	v_lshlrev_b32_e32 v2, 24, v2
	v_lshlrev_b32_e32 v1, 20, v1
	v_and_b32_e32 v2, 0x80000000, v2
	v_lshl_add_u32 v6, v6, 23, v5
	v_or3_b32 v1, v2, v6, v1
.LBB4_6382:                             ;   in Loop: Header=BB4_6216 Depth=3
	s_or_b64 exec, exec, s[34:35]
.LBB4_6383:                             ;   in Loop: Header=BB4_6216 Depth=3
	s_or_b64 exec, exec, s[30:31]
.LBB4_6384:                             ;   in Loop: Header=BB4_6216 Depth=3
	s_or_b64 exec, exec, s[28:29]
	v_mul_f32_e32 v6, v15, v1
	v_and_b32_e32 v2, 0x7f800000, v6
	v_cmp_ne_u64_e32 vcc, s[62:63], v[2:3]
                                        ; implicit-def: $vgpr37
	s_and_saveexec_b64 s[28:29], vcc
	s_xor_b64 s[30:31], exec, s[28:29]
	s_cbranch_execz .LBB4_6398
; %bb.6385:                             ;   in Loop: Header=BB4_6216 Depth=3
	v_and_b32_e32 v2, 0x7fffffff, v6
	v_cmp_gt_u64_e32 vcc, s[72:73], v[2:3]
	v_and_b32_sdwa v1, v6, s70 dst_sel:DWORD dst_unused:UNUSED_PAD src0_sel:BYTE_3 src1_sel:DWORD
                                        ; implicit-def: $vgpr37
	s_and_saveexec_b64 s[28:29], vcc
	s_xor_b64 s[34:35], exec, s[28:29]
	s_cbranch_execz .LBB4_6395
; %bb.6386:                             ;   in Loop: Header=BB4_6216 Depth=3
	v_mov_b32_e32 v37, 0
	v_cmp_ne_u32_e32 vcc, 0, v6
	s_and_saveexec_b64 s[36:37], vcc
	s_cbranch_execz .LBB4_6394
; %bb.6387:                             ;   in Loop: Header=BB4_6216 Depth=3
	v_and_b32_e32 v2, 0x7fffff, v6
	v_bfe_u32 v6, v6, 23, 8
	v_cmp_gt_u32_e64 s[28:29], s71, v6
	v_sub_u32_e32 v8, 0x79, v6
	v_cmp_eq_u32_e32 vcc, 0, v6
	v_cndmask_b32_e64 v8, 0, v8, s[28:29]
	v_mov_b32_e32 v12, 0x78
	v_cndmask_b32_e32 v14, v8, v12, vcc
	v_or_b32_e32 v9, 0x800000, v2
	v_add_u32_e32 v8, 20, v14
	v_cndmask_b32_e32 v2, v9, v2, vcc
	v_lshlrev_b64 v[8:9], v8, -1
	v_add_u32_e32 v12, 19, v14
	v_lshlrev_b64 v[12:13], v12, 1
	v_bfi_b32 v9, v9, 0, 0
	v_bfi_b32 v8, v8, 0, v2
	v_cmp_eq_u64_e64 s[28:29], v[8:9], v[12:13]
	v_lshrrev_b64 v[8:9], v14, v[2:3]
	v_mov_b32_e32 v13, v9
	v_mov_b32_e32 v12, v8
	s_and_saveexec_b64 s[38:39], s[28:29]
; %bb.6388:                             ;   in Loop: Header=BB4_6216 Depth=3
	v_bfe_u32 v2, v8, 20, 1
	v_add_co_u32_e64 v2, s[28:29], v8, v2
	v_add_co_u32_e64 v12, s[28:29], -1, v2
; %bb.6389:                             ;   in Loop: Header=BB4_6216 Depth=3
	s_or_b64 exec, exec, s[38:39]
	v_add_u32_e32 v2, 0xffffff81, v6
	v_mov_b32_e32 v6, 0xffffff82
	v_cndmask_b32_e32 v2, v2, v6, vcc
	v_lshrrev_b32_e32 v6, 23, v8
	v_add3_u32 v14, v14, v2, v6
	v_add_u32_e32 v13, 6, v14
	v_and_b32_e32 v2, 0xfffff, v12
	v_add_u32_e32 v2, v2, v8
	v_cmp_ne_u32_e32 vcc, 0, v13
                                        ; implicit-def: $vgpr8_vgpr9
                                        ; implicit-def: $vgpr6
	s_and_saveexec_b64 s[28:29], vcc
	s_xor_b64 s[28:29], exec, s[28:29]
; %bb.6390:                             ;   in Loop: Header=BB4_6216 Depth=3
	v_cmp_lt_u64_e32 vcc, s[74:75], v[2:3]
	v_add_u32_e32 v6, 7, v14
	v_cndmask_b32_e64 v8, 0, 1, vcc
	v_cndmask_b32_e32 v6, v13, v6, vcc
	v_lshrrev_b64 v[8:9], v8, v[2:3]
; %bb.6391:                             ;   in Loop: Header=BB4_6216 Depth=3
	s_andn2_saveexec_b64 s[28:29], s[28:29]
; %bb.6392:                             ;   in Loop: Header=BB4_6216 Depth=3
	v_mov_b32_e32 v9, v3
	v_mov_b32_e32 v8, v2
	v_bfe_u32 v6, v2, 23, 1
; %bb.6393:                             ;   in Loop: Header=BB4_6216 Depth=3
	s_or_b64 exec, exec, s[28:29]
	v_lshrrev_b64 v[8:9], 20, v[8:9]
	v_cmp_gt_i32_e32 vcc, 16, v6
	v_cndmask_b32_e32 v9, 0, v9, vcc
	v_cndmask_b32_e32 v8, 7, v8, vcc
	v_min_i32_e32 v2, 15, v6
	v_cmp_eq_u64_e64 s[28:29], 0, v[8:9]
	v_lshlrev_b32_e32 v2, 3, v2
	v_cmp_eq_u32_e32 vcc, 0, v6
	v_and_b32_e32 v2, 0xf8, v2
	v_and_or_b32 v2, v8, 7, v2
	s_and_b64 s[28:29], vcc, s[28:29]
	v_cndmask_b32_e64 v2, v2, 0, s[28:29]
	v_or_b32_e32 v37, v2, v1
.LBB4_6394:                             ;   in Loop: Header=BB4_6216 Depth=3
	s_or_b64 exec, exec, s[36:37]
                                        ; implicit-def: $vgpr1
.LBB4_6395:                             ;   in Loop: Header=BB4_6216 Depth=3
	s_andn2_saveexec_b64 s[28:29], s[34:35]
; %bb.6396:                             ;   in Loop: Header=BB4_6216 Depth=3
	v_or_b32_e32 v37, 0x7e, v1
; %bb.6397:                             ;   in Loop: Header=BB4_6216 Depth=3
	s_or_b64 exec, exec, s[28:29]
                                        ; implicit-def: $vgpr6
.LBB4_6398:                             ;   in Loop: Header=BB4_6216 Depth=3
	s_andn2_saveexec_b64 s[28:29], s[30:31]
; %bb.6399:                             ;   in Loop: Header=BB4_6216 Depth=3
	v_or_b32_sdwa v37, v6, s68 dst_sel:DWORD dst_unused:UNUSED_PAD src0_sel:BYTE_3 src1_sel:DWORD
; %bb.6400:                             ;   in Loop: Header=BB4_6216 Depth=3
	s_or_b64 exec, exec, s[28:29]
	v_cmp_ne_u16_sdwa vcc, v10, v3 src0_sel:BYTE_0 src1_sel:DWORD
	v_mov_b32_e32 v1, 0
	s_and_saveexec_b64 s[28:29], vcc
	s_cbranch_execz .LBB4_6406
; %bb.6401:                             ;   in Loop: Header=BB4_6216 Depth=3
	v_cmp_ne_u16_sdwa vcc, v10, s70 src0_sel:BYTE_0 src1_sel:DWORD
	v_bfrev_b32_e32 v1, 1
	s_and_saveexec_b64 s[30:31], vcc
	s_cbranch_execz .LBB4_6405
; %bb.6402:                             ;   in Loop: Header=BB4_6216 Depth=3
	v_and_b32_e32 v2, 0x7f, v10
	v_cmp_ne_u32_e32 vcc, s68, v2
	v_mov_b32_e32 v1, 0x7f800001
	s_and_saveexec_b64 s[34:35], vcc
	s_cbranch_execz .LBB4_6404
; %bb.6403:                             ;   in Loop: Header=BB4_6216 Depth=3
	v_and_b32_e32 v1, 7, v10
	v_ffbh_u32_e32 v1, v1
	v_min_u32_e32 v1, 32, v1
	v_lshrrev_b32_e32 v6, 3, v2
	v_cmp_gt_u32_e32 vcc, 8, v2
	v_subrev_u32_e32 v2, 28, v1
	v_sub_u32_e32 v1, 29, v1
	v_cndmask_b32_e32 v6, v6, v1, vcc
	v_cndmask_b32_e32 v1, 0, v2, vcc
	v_lshlrev_b64 v[1:2], v1, v[10:11]
	v_lshlrev_b32_e32 v2, 24, v10
	v_lshlrev_b32_e32 v1, 20, v1
	v_and_b32_e32 v1, 0x700000, v1
	v_and_b32_e32 v2, 0x80000000, v2
	v_lshl_add_u32 v6, v6, 23, v5
	v_or3_b32 v1, v2, v6, v1
.LBB4_6404:                             ;   in Loop: Header=BB4_6216 Depth=3
	s_or_b64 exec, exec, s[34:35]
.LBB4_6405:                             ;   in Loop: Header=BB4_6216 Depth=3
	s_or_b64 exec, exec, s[30:31]
.LBB4_6406:                             ;   in Loop: Header=BB4_6216 Depth=3
	s_or_b64 exec, exec, s[28:29]
	v_mul_f32_e32 v6, v15, v1
	v_and_b32_e32 v2, 0x7f800000, v6
	v_cmp_ne_u64_e32 vcc, s[62:63], v[2:3]
                                        ; implicit-def: $vgpr42
	s_and_saveexec_b64 s[28:29], vcc
	s_xor_b64 s[30:31], exec, s[28:29]
	s_cbranch_execz .LBB4_6420
; %bb.6407:                             ;   in Loop: Header=BB4_6216 Depth=3
	v_and_b32_e32 v2, 0x7fffffff, v6
	v_cmp_gt_u64_e32 vcc, s[72:73], v[2:3]
	v_and_b32_sdwa v1, v6, s70 dst_sel:DWORD dst_unused:UNUSED_PAD src0_sel:BYTE_3 src1_sel:DWORD
                                        ; implicit-def: $vgpr42
	s_and_saveexec_b64 s[28:29], vcc
	s_xor_b64 s[34:35], exec, s[28:29]
	s_cbranch_execz .LBB4_6417
; %bb.6408:                             ;   in Loop: Header=BB4_6216 Depth=3
	v_mov_b32_e32 v42, 0
	v_cmp_ne_u32_e32 vcc, 0, v6
	s_and_saveexec_b64 s[36:37], vcc
	s_cbranch_execz .LBB4_6416
; %bb.6409:                             ;   in Loop: Header=BB4_6216 Depth=3
	v_and_b32_e32 v2, 0x7fffff, v6
	v_bfe_u32 v6, v6, 23, 8
	v_cmp_gt_u32_e64 s[28:29], s71, v6
	v_sub_u32_e32 v8, 0x79, v6
	v_cmp_eq_u32_e32 vcc, 0, v6
	v_cndmask_b32_e64 v8, 0, v8, s[28:29]
	v_mov_b32_e32 v12, 0x78
	v_cndmask_b32_e32 v14, v8, v12, vcc
	v_or_b32_e32 v9, 0x800000, v2
	v_add_u32_e32 v8, 20, v14
	v_cndmask_b32_e32 v2, v9, v2, vcc
	v_lshlrev_b64 v[8:9], v8, -1
	v_add_u32_e32 v12, 19, v14
	v_lshlrev_b64 v[12:13], v12, 1
	v_bfi_b32 v9, v9, 0, 0
	v_bfi_b32 v8, v8, 0, v2
	v_cmp_eq_u64_e64 s[28:29], v[8:9], v[12:13]
	v_lshrrev_b64 v[8:9], v14, v[2:3]
	v_mov_b32_e32 v13, v9
	v_mov_b32_e32 v12, v8
	s_and_saveexec_b64 s[38:39], s[28:29]
; %bb.6410:                             ;   in Loop: Header=BB4_6216 Depth=3
	v_bfe_u32 v2, v8, 20, 1
	v_add_co_u32_e64 v2, s[28:29], v8, v2
	v_add_co_u32_e64 v12, s[28:29], -1, v2
; %bb.6411:                             ;   in Loop: Header=BB4_6216 Depth=3
	s_or_b64 exec, exec, s[38:39]
	v_add_u32_e32 v2, 0xffffff81, v6
	v_mov_b32_e32 v6, 0xffffff82
	v_cndmask_b32_e32 v2, v2, v6, vcc
	v_lshrrev_b32_e32 v6, 23, v8
	v_add3_u32 v14, v14, v2, v6
	v_add_u32_e32 v13, 6, v14
	v_and_b32_e32 v2, 0xfffff, v12
	v_add_u32_e32 v2, v2, v8
	v_cmp_ne_u32_e32 vcc, 0, v13
                                        ; implicit-def: $vgpr8_vgpr9
                                        ; implicit-def: $vgpr6
	s_and_saveexec_b64 s[28:29], vcc
	s_xor_b64 s[28:29], exec, s[28:29]
; %bb.6412:                             ;   in Loop: Header=BB4_6216 Depth=3
	v_cmp_lt_u64_e32 vcc, s[74:75], v[2:3]
	v_add_u32_e32 v6, 7, v14
	v_cndmask_b32_e64 v8, 0, 1, vcc
	v_cndmask_b32_e32 v6, v13, v6, vcc
	v_lshrrev_b64 v[8:9], v8, v[2:3]
; %bb.6413:                             ;   in Loop: Header=BB4_6216 Depth=3
	s_andn2_saveexec_b64 s[28:29], s[28:29]
; %bb.6414:                             ;   in Loop: Header=BB4_6216 Depth=3
	v_mov_b32_e32 v9, v3
	v_mov_b32_e32 v8, v2
	v_bfe_u32 v6, v2, 23, 1
; %bb.6415:                             ;   in Loop: Header=BB4_6216 Depth=3
	s_or_b64 exec, exec, s[28:29]
	v_lshrrev_b64 v[8:9], 20, v[8:9]
	v_cmp_gt_i32_e32 vcc, 16, v6
	v_cndmask_b32_e32 v9, 0, v9, vcc
	v_cndmask_b32_e32 v8, 7, v8, vcc
	v_min_i32_e32 v2, 15, v6
	v_cmp_eq_u64_e64 s[28:29], 0, v[8:9]
	v_lshlrev_b32_e32 v2, 3, v2
	v_cmp_eq_u32_e32 vcc, 0, v6
	v_and_b32_e32 v2, 0xf8, v2
	v_and_or_b32 v2, v8, 7, v2
	s_and_b64 s[28:29], vcc, s[28:29]
	v_cndmask_b32_e64 v2, v2, 0, s[28:29]
	v_or_b32_e32 v42, v2, v1
.LBB4_6416:                             ;   in Loop: Header=BB4_6216 Depth=3
	s_or_b64 exec, exec, s[36:37]
                                        ; implicit-def: $vgpr1
.LBB4_6417:                             ;   in Loop: Header=BB4_6216 Depth=3
	s_andn2_saveexec_b64 s[28:29], s[34:35]
; %bb.6418:                             ;   in Loop: Header=BB4_6216 Depth=3
	v_or_b32_e32 v42, 0x7e, v1
; %bb.6419:                             ;   in Loop: Header=BB4_6216 Depth=3
	s_or_b64 exec, exec, s[28:29]
                                        ; implicit-def: $vgpr6
.LBB4_6420:                             ;   in Loop: Header=BB4_6216 Depth=3
	s_andn2_saveexec_b64 s[28:29], s[30:31]
; %bb.6421:                             ;   in Loop: Header=BB4_6216 Depth=3
	v_or_b32_sdwa v42, v6, s68 dst_sel:DWORD dst_unused:UNUSED_PAD src0_sel:BYTE_3 src1_sel:DWORD
; %bb.6422:                             ;   in Loop: Header=BB4_6216 Depth=3
	s_or_b64 exec, exec, s[28:29]
	v_lshrrev_b16_e32 v2, 8, v10
	v_cmp_ne_u16_e32 vcc, 0, v2
	v_mov_b32_e32 v1, 0
	s_and_saveexec_b64 s[28:29], vcc
	s_cbranch_execz .LBB4_6428
; %bb.6423:                             ;   in Loop: Header=BB4_6216 Depth=3
	v_cmp_ne_u16_e32 vcc, s70, v2
	v_bfrev_b32_e32 v1, 1
	s_and_saveexec_b64 s[30:31], vcc
	s_cbranch_execz .LBB4_6427
; %bb.6424:                             ;   in Loop: Header=BB4_6216 Depth=3
	v_and_b32_e32 v6, 0x7f, v2
	v_cmp_ne_u32_e32 vcc, s68, v6
	v_mov_b32_e32 v1, 0x7f800001
	s_and_saveexec_b64 s[34:35], vcc
	s_cbranch_execz .LBB4_6426
; %bb.6425:                             ;   in Loop: Header=BB4_6216 Depth=3
	v_and_b32_e32 v8, 7, v2
	v_ffbh_u32_e32 v1, v8
	v_lshrrev_b32_e32 v9, 3, v6
	v_cmp_gt_u32_e32 vcc, 8, v6
	v_min_u32_e32 v6, 32, v1
	v_subrev_u32_e32 v1, 28, v6
	v_lshlrev_b64 v[1:2], v1, v[2:3]
	v_sub_u32_e32 v2, 29, v6
	v_and_b32_e32 v1, 7, v1
	v_cndmask_b32_e32 v2, v9, v2, vcc
	v_cndmask_b32_e32 v1, v8, v1, vcc
	v_lshlrev_b32_e32 v6, 16, v10
	v_lshlrev_b32_e32 v1, 20, v1
	v_and_b32_e32 v6, 0x80000000, v6
	v_lshl_add_u32 v2, v2, 23, v5
	v_or3_b32 v1, v6, v2, v1
.LBB4_6426:                             ;   in Loop: Header=BB4_6216 Depth=3
	s_or_b64 exec, exec, s[34:35]
.LBB4_6427:                             ;   in Loop: Header=BB4_6216 Depth=3
	s_or_b64 exec, exec, s[30:31]
.LBB4_6428:                             ;   in Loop: Header=BB4_6216 Depth=3
	s_or_b64 exec, exec, s[28:29]
	v_mul_f32_e32 v6, v15, v1
	v_and_b32_e32 v2, 0x7f800000, v6
	v_cmp_ne_u64_e32 vcc, s[62:63], v[2:3]
                                        ; implicit-def: $vgpr52
	s_and_saveexec_b64 s[28:29], vcc
	s_xor_b64 s[30:31], exec, s[28:29]
	s_cbranch_execz .LBB4_6442
; %bb.6429:                             ;   in Loop: Header=BB4_6216 Depth=3
	v_and_b32_e32 v2, 0x7fffffff, v6
	v_cmp_gt_u64_e32 vcc, s[72:73], v[2:3]
	v_and_b32_sdwa v1, v6, s70 dst_sel:DWORD dst_unused:UNUSED_PAD src0_sel:BYTE_3 src1_sel:DWORD
                                        ; implicit-def: $vgpr52
	s_and_saveexec_b64 s[28:29], vcc
	s_xor_b64 s[34:35], exec, s[28:29]
	s_cbranch_execz .LBB4_6439
; %bb.6430:                             ;   in Loop: Header=BB4_6216 Depth=3
	v_mov_b32_e32 v52, 0
	v_cmp_ne_u32_e32 vcc, 0, v6
	s_and_saveexec_b64 s[36:37], vcc
	s_cbranch_execz .LBB4_6438
; %bb.6431:                             ;   in Loop: Header=BB4_6216 Depth=3
	v_and_b32_e32 v2, 0x7fffff, v6
	v_bfe_u32 v6, v6, 23, 8
	v_cmp_gt_u32_e64 s[28:29], s71, v6
	v_sub_u32_e32 v8, 0x79, v6
	v_cmp_eq_u32_e32 vcc, 0, v6
	v_cndmask_b32_e64 v8, 0, v8, s[28:29]
	v_mov_b32_e32 v12, 0x78
	v_cndmask_b32_e32 v14, v8, v12, vcc
	v_or_b32_e32 v9, 0x800000, v2
	v_add_u32_e32 v8, 20, v14
	v_cndmask_b32_e32 v2, v9, v2, vcc
	v_lshlrev_b64 v[8:9], v8, -1
	v_add_u32_e32 v12, 19, v14
	v_lshlrev_b64 v[12:13], v12, 1
	v_bfi_b32 v9, v9, 0, 0
	v_bfi_b32 v8, v8, 0, v2
	v_cmp_eq_u64_e64 s[28:29], v[8:9], v[12:13]
	v_lshrrev_b64 v[8:9], v14, v[2:3]
	v_mov_b32_e32 v13, v9
	v_mov_b32_e32 v12, v8
	s_and_saveexec_b64 s[38:39], s[28:29]
; %bb.6432:                             ;   in Loop: Header=BB4_6216 Depth=3
	v_bfe_u32 v2, v8, 20, 1
	v_add_co_u32_e64 v2, s[28:29], v8, v2
	v_add_co_u32_e64 v12, s[28:29], -1, v2
; %bb.6433:                             ;   in Loop: Header=BB4_6216 Depth=3
	s_or_b64 exec, exec, s[38:39]
	v_add_u32_e32 v2, 0xffffff81, v6
	v_mov_b32_e32 v6, 0xffffff82
	v_cndmask_b32_e32 v2, v2, v6, vcc
	v_lshrrev_b32_e32 v6, 23, v8
	v_add3_u32 v14, v14, v2, v6
	v_add_u32_e32 v13, 6, v14
	v_and_b32_e32 v2, 0xfffff, v12
	v_add_u32_e32 v2, v2, v8
	v_cmp_ne_u32_e32 vcc, 0, v13
                                        ; implicit-def: $vgpr8_vgpr9
                                        ; implicit-def: $vgpr6
	s_and_saveexec_b64 s[28:29], vcc
	s_xor_b64 s[28:29], exec, s[28:29]
; %bb.6434:                             ;   in Loop: Header=BB4_6216 Depth=3
	v_cmp_lt_u64_e32 vcc, s[74:75], v[2:3]
	v_add_u32_e32 v6, 7, v14
	v_cndmask_b32_e64 v8, 0, 1, vcc
	v_cndmask_b32_e32 v6, v13, v6, vcc
	v_lshrrev_b64 v[8:9], v8, v[2:3]
; %bb.6435:                             ;   in Loop: Header=BB4_6216 Depth=3
	s_andn2_saveexec_b64 s[28:29], s[28:29]
; %bb.6436:                             ;   in Loop: Header=BB4_6216 Depth=3
	v_mov_b32_e32 v9, v3
	v_mov_b32_e32 v8, v2
	v_bfe_u32 v6, v2, 23, 1
; %bb.6437:                             ;   in Loop: Header=BB4_6216 Depth=3
	s_or_b64 exec, exec, s[28:29]
	v_lshrrev_b64 v[8:9], 20, v[8:9]
	v_cmp_gt_i32_e32 vcc, 16, v6
	v_cndmask_b32_e32 v9, 0, v9, vcc
	v_cndmask_b32_e32 v8, 7, v8, vcc
	v_min_i32_e32 v2, 15, v6
	v_cmp_eq_u64_e64 s[28:29], 0, v[8:9]
	v_lshlrev_b32_e32 v2, 3, v2
	v_cmp_eq_u32_e32 vcc, 0, v6
	v_and_b32_e32 v2, 0xf8, v2
	v_and_or_b32 v2, v8, 7, v2
	s_and_b64 s[28:29], vcc, s[28:29]
	v_cndmask_b32_e64 v2, v2, 0, s[28:29]
	v_or_b32_e32 v52, v2, v1
.LBB4_6438:                             ;   in Loop: Header=BB4_6216 Depth=3
	s_or_b64 exec, exec, s[36:37]
                                        ; implicit-def: $vgpr1
.LBB4_6439:                             ;   in Loop: Header=BB4_6216 Depth=3
	s_andn2_saveexec_b64 s[28:29], s[34:35]
; %bb.6440:                             ;   in Loop: Header=BB4_6216 Depth=3
	v_or_b32_e32 v52, 0x7e, v1
; %bb.6441:                             ;   in Loop: Header=BB4_6216 Depth=3
	s_or_b64 exec, exec, s[28:29]
                                        ; implicit-def: $vgpr6
.LBB4_6442:                             ;   in Loop: Header=BB4_6216 Depth=3
	s_andn2_saveexec_b64 s[28:29], s[30:31]
; %bb.6443:                             ;   in Loop: Header=BB4_6216 Depth=3
	v_or_b32_sdwa v52, v6, s68 dst_sel:DWORD dst_unused:UNUSED_PAD src0_sel:BYTE_3 src1_sel:DWORD
; %bb.6444:                             ;   in Loop: Header=BB4_6216 Depth=3
	s_or_b64 exec, exec, s[28:29]
	v_lshrrev_b32_e32 v2, 16, v10
	v_cmp_ne_u16_sdwa vcc, v2, v3 src0_sel:BYTE_0 src1_sel:DWORD
	v_mov_b32_e32 v1, 0
	s_and_saveexec_b64 s[28:29], vcc
	s_cbranch_execz .LBB4_6450
; %bb.6445:                             ;   in Loop: Header=BB4_6216 Depth=3
	v_cmp_ne_u16_sdwa vcc, v2, s70 src0_sel:BYTE_0 src1_sel:DWORD
	v_bfrev_b32_e32 v1, 1
	s_and_saveexec_b64 s[30:31], vcc
	s_cbranch_execz .LBB4_6449
; %bb.6446:                             ;   in Loop: Header=BB4_6216 Depth=3
	v_bfe_u32 v6, v10, 16, 7
	v_cmp_ne_u32_e32 vcc, s68, v6
	v_mov_b32_e32 v1, 0x7f800001
	s_and_saveexec_b64 s[34:35], vcc
	s_cbranch_execz .LBB4_6448
; %bb.6447:                             ;   in Loop: Header=BB4_6216 Depth=3
	v_and_b32_e32 v1, 7, v2
	v_lshrrev_b32_e32 v12, 3, v6
	v_cmp_gt_u32_e32 vcc, 8, v6
	v_ffbh_u32_e32 v6, v1
	v_min_u32_e32 v6, 32, v6
	v_subrev_u32_e32 v8, 28, v6
	v_lshlrev_b64 v[8:9], v8, v[2:3]
	v_sub_u32_e32 v6, 29, v6
	v_and_b32_e32 v8, 7, v8
	v_cndmask_b32_e32 v6, v12, v6, vcc
	v_cndmask_b32_e32 v1, v1, v8, vcc
	v_lshlrev_b32_e32 v2, 24, v2
	v_lshlrev_b32_e32 v1, 20, v1
	v_and_b32_e32 v2, 0x80000000, v2
	v_lshl_add_u32 v6, v6, 23, v5
	v_or3_b32 v1, v2, v6, v1
.LBB4_6448:                             ;   in Loop: Header=BB4_6216 Depth=3
	s_or_b64 exec, exec, s[34:35]
.LBB4_6449:                             ;   in Loop: Header=BB4_6216 Depth=3
	s_or_b64 exec, exec, s[30:31]
.LBB4_6450:                             ;   in Loop: Header=BB4_6216 Depth=3
	s_or_b64 exec, exec, s[28:29]
	v_mul_f32_e32 v6, v15, v1
	v_and_b32_e32 v2, 0x7f800000, v6
	v_cmp_ne_u64_e32 vcc, s[62:63], v[2:3]
                                        ; implicit-def: $vgpr18
	s_and_saveexec_b64 s[28:29], vcc
	s_xor_b64 s[30:31], exec, s[28:29]
	s_cbranch_execz .LBB4_6464
; %bb.6451:                             ;   in Loop: Header=BB4_6216 Depth=3
	v_and_b32_e32 v2, 0x7fffffff, v6
	v_cmp_gt_u64_e32 vcc, s[72:73], v[2:3]
	v_and_b32_sdwa v1, v6, s70 dst_sel:DWORD dst_unused:UNUSED_PAD src0_sel:BYTE_3 src1_sel:DWORD
                                        ; implicit-def: $vgpr18
	s_and_saveexec_b64 s[28:29], vcc
	s_xor_b64 s[34:35], exec, s[28:29]
	s_cbranch_execz .LBB4_6461
; %bb.6452:                             ;   in Loop: Header=BB4_6216 Depth=3
	v_mov_b32_e32 v18, 0
	v_cmp_ne_u32_e32 vcc, 0, v6
	s_and_saveexec_b64 s[36:37], vcc
	s_cbranch_execz .LBB4_6460
; %bb.6453:                             ;   in Loop: Header=BB4_6216 Depth=3
	v_and_b32_e32 v2, 0x7fffff, v6
	v_bfe_u32 v6, v6, 23, 8
	v_cmp_gt_u32_e64 s[28:29], s71, v6
	v_sub_u32_e32 v8, 0x79, v6
	v_cmp_eq_u32_e32 vcc, 0, v6
	v_cndmask_b32_e64 v8, 0, v8, s[28:29]
	v_mov_b32_e32 v12, 0x78
	v_cndmask_b32_e32 v14, v8, v12, vcc
	v_or_b32_e32 v9, 0x800000, v2
	v_add_u32_e32 v8, 20, v14
	v_cndmask_b32_e32 v2, v9, v2, vcc
	v_lshlrev_b64 v[8:9], v8, -1
	v_add_u32_e32 v12, 19, v14
	v_lshlrev_b64 v[12:13], v12, 1
	v_bfi_b32 v9, v9, 0, 0
	v_bfi_b32 v8, v8, 0, v2
	v_cmp_eq_u64_e64 s[28:29], v[8:9], v[12:13]
	v_lshrrev_b64 v[8:9], v14, v[2:3]
	v_mov_b32_e32 v13, v9
	v_mov_b32_e32 v12, v8
	s_and_saveexec_b64 s[38:39], s[28:29]
; %bb.6454:                             ;   in Loop: Header=BB4_6216 Depth=3
	v_bfe_u32 v2, v8, 20, 1
	v_add_co_u32_e64 v2, s[28:29], v8, v2
	v_add_co_u32_e64 v12, s[28:29], -1, v2
; %bb.6455:                             ;   in Loop: Header=BB4_6216 Depth=3
	s_or_b64 exec, exec, s[38:39]
	v_add_u32_e32 v2, 0xffffff81, v6
	v_mov_b32_e32 v6, 0xffffff82
	v_cndmask_b32_e32 v2, v2, v6, vcc
	v_lshrrev_b32_e32 v6, 23, v8
	v_add3_u32 v14, v14, v2, v6
	v_add_u32_e32 v13, 6, v14
	v_and_b32_e32 v2, 0xfffff, v12
	v_add_u32_e32 v2, v2, v8
	v_cmp_ne_u32_e32 vcc, 0, v13
                                        ; implicit-def: $vgpr8_vgpr9
                                        ; implicit-def: $vgpr6
	s_and_saveexec_b64 s[28:29], vcc
	s_xor_b64 s[28:29], exec, s[28:29]
; %bb.6456:                             ;   in Loop: Header=BB4_6216 Depth=3
	v_cmp_lt_u64_e32 vcc, s[74:75], v[2:3]
	v_add_u32_e32 v6, 7, v14
	v_cndmask_b32_e64 v8, 0, 1, vcc
	v_cndmask_b32_e32 v6, v13, v6, vcc
	v_lshrrev_b64 v[8:9], v8, v[2:3]
; %bb.6457:                             ;   in Loop: Header=BB4_6216 Depth=3
	s_andn2_saveexec_b64 s[28:29], s[28:29]
; %bb.6458:                             ;   in Loop: Header=BB4_6216 Depth=3
	v_mov_b32_e32 v9, v3
	v_mov_b32_e32 v8, v2
	v_bfe_u32 v6, v2, 23, 1
; %bb.6459:                             ;   in Loop: Header=BB4_6216 Depth=3
	s_or_b64 exec, exec, s[28:29]
	v_lshrrev_b64 v[8:9], 20, v[8:9]
	v_cmp_gt_i32_e32 vcc, 16, v6
	v_cndmask_b32_e32 v9, 0, v9, vcc
	v_cndmask_b32_e32 v8, 7, v8, vcc
	v_min_i32_e32 v2, 15, v6
	v_cmp_eq_u64_e64 s[28:29], 0, v[8:9]
	v_lshlrev_b32_e32 v2, 3, v2
	v_cmp_eq_u32_e32 vcc, 0, v6
	v_and_b32_e32 v2, 0xf8, v2
	v_and_or_b32 v2, v8, 7, v2
	s_and_b64 s[28:29], vcc, s[28:29]
	v_cndmask_b32_e64 v2, v2, 0, s[28:29]
	v_or_b32_e32 v18, v2, v1
.LBB4_6460:                             ;   in Loop: Header=BB4_6216 Depth=3
	s_or_b64 exec, exec, s[36:37]
                                        ; implicit-def: $vgpr1
.LBB4_6461:                             ;   in Loop: Header=BB4_6216 Depth=3
	s_andn2_saveexec_b64 s[28:29], s[34:35]
; %bb.6462:                             ;   in Loop: Header=BB4_6216 Depth=3
	v_or_b32_e32 v18, 0x7e, v1
; %bb.6463:                             ;   in Loop: Header=BB4_6216 Depth=3
	s_or_b64 exec, exec, s[28:29]
                                        ; implicit-def: $vgpr6
.LBB4_6464:                             ;   in Loop: Header=BB4_6216 Depth=3
	s_andn2_saveexec_b64 s[28:29], s[30:31]
; %bb.6465:                             ;   in Loop: Header=BB4_6216 Depth=3
	v_or_b32_sdwa v18, v6, s68 dst_sel:DWORD dst_unused:UNUSED_PAD src0_sel:BYTE_3 src1_sel:DWORD
; %bb.6466:                             ;   in Loop: Header=BB4_6216 Depth=3
	s_or_b64 exec, exec, s[28:29]
	v_cmp_lt_u32_e32 vcc, s57, v10
	v_mov_b32_e32 v1, 0
	s_and_saveexec_b64 s[28:29], vcc
	s_cbranch_execz .LBB4_6472
; %bb.6467:                             ;   in Loop: Header=BB4_6216 Depth=3
	v_lshrrev_b32_e32 v2, 24, v10
	v_cmp_ne_u32_e32 vcc, s70, v2
	v_bfrev_b32_e32 v1, 1
	s_and_saveexec_b64 s[30:31], vcc
	s_cbranch_execz .LBB4_6471
; %bb.6468:                             ;   in Loop: Header=BB4_6216 Depth=3
	v_bfe_u32 v6, v10, 24, 7
	v_cmp_ne_u32_e32 vcc, s68, v6
	v_mov_b32_e32 v1, 0x7f800001
	s_and_saveexec_b64 s[34:35], vcc
	s_cbranch_execz .LBB4_6470
; %bb.6469:                             ;   in Loop: Header=BB4_6216 Depth=3
	v_and_b32_e32 v1, 7, v2
	v_lshrrev_b32_e32 v12, 3, v6
	v_cmp_gt_u32_e32 vcc, 8, v6
	v_ffbh_u32_e32 v6, v1
	v_min_u32_e32 v6, 32, v6
	v_subrev_u32_e32 v8, 28, v6
	v_lshlrev_b64 v[8:9], v8, v[2:3]
	v_sub_u32_e32 v6, 29, v6
	v_and_b32_e32 v8, 7, v8
	v_cndmask_b32_e32 v6, v12, v6, vcc
	v_cndmask_b32_e32 v1, v1, v8, vcc
	v_lshlrev_b32_e32 v2, 24, v2
	v_lshlrev_b32_e32 v1, 20, v1
	v_and_b32_e32 v2, 0x80000000, v2
	v_lshl_add_u32 v6, v6, 23, v5
	v_or3_b32 v1, v2, v6, v1
.LBB4_6470:                             ;   in Loop: Header=BB4_6216 Depth=3
	s_or_b64 exec, exec, s[34:35]
.LBB4_6471:                             ;   in Loop: Header=BB4_6216 Depth=3
	s_or_b64 exec, exec, s[30:31]
.LBB4_6472:                             ;   in Loop: Header=BB4_6216 Depth=3
	s_or_b64 exec, exec, s[28:29]
	v_mul_f32_e32 v6, v15, v1
	v_and_b32_e32 v2, 0x7f800000, v6
	v_cmp_ne_u64_e32 vcc, s[62:63], v[2:3]
                                        ; implicit-def: $vgpr36
	s_and_saveexec_b64 s[28:29], vcc
	s_xor_b64 s[30:31], exec, s[28:29]
	s_cbranch_execz .LBB4_6486
; %bb.6473:                             ;   in Loop: Header=BB4_6216 Depth=3
	v_and_b32_e32 v2, 0x7fffffff, v6
	v_cmp_gt_u64_e32 vcc, s[72:73], v[2:3]
	v_and_b32_sdwa v1, v6, s70 dst_sel:DWORD dst_unused:UNUSED_PAD src0_sel:BYTE_3 src1_sel:DWORD
                                        ; implicit-def: $vgpr36
	s_and_saveexec_b64 s[28:29], vcc
	s_xor_b64 s[34:35], exec, s[28:29]
	s_cbranch_execz .LBB4_6483
; %bb.6474:                             ;   in Loop: Header=BB4_6216 Depth=3
	v_mov_b32_e32 v36, 0
	v_cmp_ne_u32_e32 vcc, 0, v6
	s_and_saveexec_b64 s[36:37], vcc
	s_cbranch_execz .LBB4_6482
; %bb.6475:                             ;   in Loop: Header=BB4_6216 Depth=3
	v_and_b32_e32 v2, 0x7fffff, v6
	v_bfe_u32 v6, v6, 23, 8
	v_cmp_gt_u32_e64 s[28:29], s71, v6
	v_sub_u32_e32 v8, 0x79, v6
	v_cmp_eq_u32_e32 vcc, 0, v6
	v_cndmask_b32_e64 v8, 0, v8, s[28:29]
	v_mov_b32_e32 v12, 0x78
	v_cndmask_b32_e32 v14, v8, v12, vcc
	v_or_b32_e32 v9, 0x800000, v2
	v_add_u32_e32 v8, 20, v14
	v_cndmask_b32_e32 v2, v9, v2, vcc
	v_lshlrev_b64 v[8:9], v8, -1
	v_add_u32_e32 v12, 19, v14
	v_lshlrev_b64 v[12:13], v12, 1
	v_bfi_b32 v9, v9, 0, 0
	v_bfi_b32 v8, v8, 0, v2
	v_cmp_eq_u64_e64 s[28:29], v[8:9], v[12:13]
	v_lshrrev_b64 v[8:9], v14, v[2:3]
	v_mov_b32_e32 v13, v9
	v_mov_b32_e32 v12, v8
	s_and_saveexec_b64 s[38:39], s[28:29]
; %bb.6476:                             ;   in Loop: Header=BB4_6216 Depth=3
	v_bfe_u32 v2, v8, 20, 1
	v_add_co_u32_e64 v2, s[28:29], v8, v2
	v_add_co_u32_e64 v12, s[28:29], -1, v2
; %bb.6477:                             ;   in Loop: Header=BB4_6216 Depth=3
	s_or_b64 exec, exec, s[38:39]
	v_add_u32_e32 v2, 0xffffff81, v6
	v_mov_b32_e32 v6, 0xffffff82
	v_cndmask_b32_e32 v2, v2, v6, vcc
	v_lshrrev_b32_e32 v6, 23, v8
	v_add3_u32 v14, v14, v2, v6
	v_add_u32_e32 v13, 6, v14
	v_and_b32_e32 v2, 0xfffff, v12
	v_add_u32_e32 v2, v2, v8
	v_cmp_ne_u32_e32 vcc, 0, v13
                                        ; implicit-def: $vgpr8_vgpr9
                                        ; implicit-def: $vgpr6
	s_and_saveexec_b64 s[28:29], vcc
	s_xor_b64 s[28:29], exec, s[28:29]
; %bb.6478:                             ;   in Loop: Header=BB4_6216 Depth=3
	v_cmp_lt_u64_e32 vcc, s[74:75], v[2:3]
	v_add_u32_e32 v6, 7, v14
	v_cndmask_b32_e64 v8, 0, 1, vcc
	v_cndmask_b32_e32 v6, v13, v6, vcc
	v_lshrrev_b64 v[8:9], v8, v[2:3]
; %bb.6479:                             ;   in Loop: Header=BB4_6216 Depth=3
	s_andn2_saveexec_b64 s[28:29], s[28:29]
; %bb.6480:                             ;   in Loop: Header=BB4_6216 Depth=3
	v_mov_b32_e32 v9, v3
	v_mov_b32_e32 v8, v2
	v_bfe_u32 v6, v2, 23, 1
; %bb.6481:                             ;   in Loop: Header=BB4_6216 Depth=3
	s_or_b64 exec, exec, s[28:29]
	v_lshrrev_b64 v[8:9], 20, v[8:9]
	v_cmp_gt_i32_e32 vcc, 16, v6
	v_cndmask_b32_e32 v9, 0, v9, vcc
	v_cndmask_b32_e32 v8, 7, v8, vcc
	v_min_i32_e32 v2, 15, v6
	v_cmp_eq_u64_e64 s[28:29], 0, v[8:9]
	v_lshlrev_b32_e32 v2, 3, v2
	v_cmp_eq_u32_e32 vcc, 0, v6
	v_and_b32_e32 v2, 0xf8, v2
	v_and_or_b32 v2, v8, 7, v2
	s_and_b64 s[28:29], vcc, s[28:29]
	v_cndmask_b32_e64 v2, v2, 0, s[28:29]
	v_or_b32_e32 v36, v2, v1
.LBB4_6482:                             ;   in Loop: Header=BB4_6216 Depth=3
	s_or_b64 exec, exec, s[36:37]
                                        ; implicit-def: $vgpr1
.LBB4_6483:                             ;   in Loop: Header=BB4_6216 Depth=3
	s_andn2_saveexec_b64 s[28:29], s[34:35]
; %bb.6484:                             ;   in Loop: Header=BB4_6216 Depth=3
	v_or_b32_e32 v36, 0x7e, v1
; %bb.6485:                             ;   in Loop: Header=BB4_6216 Depth=3
	s_or_b64 exec, exec, s[28:29]
                                        ; implicit-def: $vgpr6
.LBB4_6486:                             ;   in Loop: Header=BB4_6216 Depth=3
	s_andn2_saveexec_b64 s[28:29], s[30:31]
; %bb.6487:                             ;   in Loop: Header=BB4_6216 Depth=3
	v_or_b32_sdwa v36, v6, s68 dst_sel:DWORD dst_unused:UNUSED_PAD src0_sel:BYTE_3 src1_sel:DWORD
; %bb.6488:                             ;   in Loop: Header=BB4_6216 Depth=3
	s_or_b64 exec, exec, s[28:29]
	v_mov_b32_e32 v2, v11
	v_cmp_ne_u16_sdwa vcc, v11, v3 src0_sel:BYTE_0 src1_sel:DWORD
	v_mov_b32_e32 v1, 0
	s_and_saveexec_b64 s[28:29], vcc
	s_cbranch_execz .LBB4_6494
; %bb.6489:                             ;   in Loop: Header=BB4_6216 Depth=3
	v_cmp_ne_u16_sdwa vcc, v11, s70 src0_sel:BYTE_0 src1_sel:DWORD
	v_bfrev_b32_e32 v1, 1
	s_and_saveexec_b64 s[30:31], vcc
	s_cbranch_execz .LBB4_6493
; %bb.6490:                             ;   in Loop: Header=BB4_6216 Depth=3
	v_and_b32_e32 v6, 0x7f, v11
	v_cmp_ne_u32_e32 vcc, s68, v6
	v_mov_b32_e32 v1, 0x7f800001
	s_and_saveexec_b64 s[34:35], vcc
	s_cbranch_execz .LBB4_6492
; %bb.6491:                             ;   in Loop: Header=BB4_6216 Depth=3
	v_and_b32_e32 v1, 7, v11
	v_ffbh_u32_e32 v1, v1
	v_min_u32_e32 v1, 32, v1
	v_lshrrev_b32_e32 v8, 3, v6
	v_cmp_gt_u32_e32 vcc, 8, v6
	v_subrev_u32_e32 v6, 28, v1
	v_sub_u32_e32 v1, 29, v1
	v_cndmask_b32_e32 v6, 0, v6, vcc
	v_cndmask_b32_e32 v1, v8, v1, vcc
	v_lshlrev_b64 v[8:9], v6, v[2:3]
	v_lshl_add_u32 v1, v1, 23, v5
	v_lshlrev_b32_e32 v6, 20, v8
	v_lshlrev_b32_e32 v8, 24, v2
	v_and_b32_e32 v6, 0x700000, v6
	v_and_b32_e32 v8, 0x80000000, v8
	v_or3_b32 v1, v8, v1, v6
.LBB4_6492:                             ;   in Loop: Header=BB4_6216 Depth=3
	s_or_b64 exec, exec, s[34:35]
.LBB4_6493:                             ;   in Loop: Header=BB4_6216 Depth=3
	s_or_b64 exec, exec, s[30:31]
.LBB4_6494:                             ;   in Loop: Header=BB4_6216 Depth=3
	s_or_b64 exec, exec, s[28:29]
	v_mul_f32_e32 v6, v15, v1
	v_and_b32_e32 v8, 0x7f800000, v6
	v_mov_b32_e32 v9, v3
	v_cmp_ne_u64_e32 vcc, s[62:63], v[8:9]
                                        ; implicit-def: $vgpr34
	s_and_saveexec_b64 s[28:29], vcc
	s_xor_b64 s[30:31], exec, s[28:29]
	s_cbranch_execz .LBB4_6508
; %bb.6495:                             ;   in Loop: Header=BB4_6216 Depth=3
	v_and_b32_e32 v8, 0x7fffffff, v6
	v_mov_b32_e32 v9, v3
	v_cmp_gt_u64_e32 vcc, s[72:73], v[8:9]
	v_and_b32_sdwa v1, v6, s70 dst_sel:DWORD dst_unused:UNUSED_PAD src0_sel:BYTE_3 src1_sel:DWORD
                                        ; implicit-def: $vgpr34
	s_and_saveexec_b64 s[28:29], vcc
	s_xor_b64 s[34:35], exec, s[28:29]
	s_cbranch_execz .LBB4_6505
; %bb.6496:                             ;   in Loop: Header=BB4_6216 Depth=3
	v_mov_b32_e32 v34, 0
	v_cmp_ne_u32_e32 vcc, 0, v6
	s_and_saveexec_b64 s[36:37], vcc
	s_cbranch_execz .LBB4_6504
; %bb.6497:                             ;   in Loop: Header=BB4_6216 Depth=3
	v_and_b32_e32 v8, 0x7fffff, v6
	v_bfe_u32 v6, v6, 23, 8
	v_cmp_gt_u32_e64 s[28:29], s71, v6
	v_sub_u32_e32 v9, 0x79, v6
	v_cmp_eq_u32_e32 vcc, 0, v6
	v_cndmask_b32_e64 v9, 0, v9, s[28:29]
	v_mov_b32_e32 v13, 0x78
	v_or_b32_e32 v12, 0x800000, v8
	v_cndmask_b32_e32 v14, v9, v13, vcc
	v_cndmask_b32_e32 v8, v12, v8, vcc
	v_add_u32_e32 v12, 20, v14
	v_lshlrev_b64 v[12:13], v12, -1
	v_mov_b32_e32 v9, v3
	v_add_u32_e32 v16, 19, v14
	v_bfi_b32 v12, v12, 0, v8
	v_lshlrev_b64 v[20:21], v16, 1
	v_lshrrev_b64 v[8:9], v14, v[8:9]
	v_bfi_b32 v13, v13, 0, 0
	v_cmp_eq_u64_e64 s[28:29], v[12:13], v[20:21]
	v_mov_b32_e32 v13, v9
	v_mov_b32_e32 v12, v8
	s_and_saveexec_b64 s[38:39], s[28:29]
; %bb.6498:                             ;   in Loop: Header=BB4_6216 Depth=3
	v_bfe_u32 v9, v8, 20, 1
	v_add_co_u32_e64 v9, s[28:29], v8, v9
	v_add_co_u32_e64 v12, s[28:29], -1, v9
; %bb.6499:                             ;   in Loop: Header=BB4_6216 Depth=3
	s_or_b64 exec, exec, s[38:39]
	v_add_u32_e32 v6, 0xffffff81, v6
	v_mov_b32_e32 v9, 0xffffff82
	v_cndmask_b32_e32 v6, v6, v9, vcc
	v_lshrrev_b32_e32 v9, 23, v8
	v_add3_u32 v14, v14, v6, v9
	v_add_u32_e32 v13, 6, v14
	v_and_b32_e32 v6, 0xfffff, v12
	v_add_u32_e32 v8, v6, v8
	v_mov_b32_e32 v9, v3
	v_cmp_ne_u32_e32 vcc, 0, v13
                                        ; implicit-def: $vgpr6
	s_and_saveexec_b64 s[28:29], vcc
	s_xor_b64 s[28:29], exec, s[28:29]
; %bb.6500:                             ;   in Loop: Header=BB4_6216 Depth=3
	v_cmp_lt_u64_e32 vcc, s[74:75], v[8:9]
	v_add_u32_e32 v6, 7, v14
	v_cndmask_b32_e64 v12, 0, 1, vcc
	v_cndmask_b32_e32 v6, v13, v6, vcc
	v_lshrrev_b64 v[8:9], v12, v[8:9]
; %bb.6501:                             ;   in Loop: Header=BB4_6216 Depth=3
	s_andn2_saveexec_b64 s[28:29], s[28:29]
; %bb.6502:                             ;   in Loop: Header=BB4_6216 Depth=3
	v_bfe_u32 v6, v8, 23, 1
; %bb.6503:                             ;   in Loop: Header=BB4_6216 Depth=3
	s_or_b64 exec, exec, s[28:29]
	v_lshrrev_b64 v[8:9], 20, v[8:9]
	v_cmp_gt_i32_e32 vcc, 16, v6
	v_cndmask_b32_e32 v9, 0, v9, vcc
	v_cndmask_b32_e32 v8, 7, v8, vcc
	v_cmp_eq_u32_e32 vcc, 0, v6
	v_min_i32_e32 v6, 15, v6
	v_cmp_eq_u64_e64 s[28:29], 0, v[8:9]
	v_lshlrev_b32_e32 v6, 3, v6
	v_and_b32_e32 v6, 0xf8, v6
	v_and_or_b32 v6, v8, 7, v6
	s_and_b64 s[28:29], vcc, s[28:29]
	v_cndmask_b32_e64 v6, v6, 0, s[28:29]
	v_or_b32_e32 v34, v6, v1
.LBB4_6504:                             ;   in Loop: Header=BB4_6216 Depth=3
	s_or_b64 exec, exec, s[36:37]
                                        ; implicit-def: $vgpr1
.LBB4_6505:                             ;   in Loop: Header=BB4_6216 Depth=3
	s_andn2_saveexec_b64 s[28:29], s[34:35]
; %bb.6506:                             ;   in Loop: Header=BB4_6216 Depth=3
	v_or_b32_e32 v34, 0x7e, v1
; %bb.6507:                             ;   in Loop: Header=BB4_6216 Depth=3
	s_or_b64 exec, exec, s[28:29]
                                        ; implicit-def: $vgpr6
.LBB4_6508:                             ;   in Loop: Header=BB4_6216 Depth=3
	s_andn2_saveexec_b64 s[28:29], s[30:31]
; %bb.6509:                             ;   in Loop: Header=BB4_6216 Depth=3
	v_or_b32_sdwa v34, v6, s68 dst_sel:DWORD dst_unused:UNUSED_PAD src0_sel:BYTE_3 src1_sel:DWORD
; %bb.6510:                             ;   in Loop: Header=BB4_6216 Depth=3
	s_or_b64 exec, exec, s[28:29]
	v_lshrrev_b16_e32 v8, 8, v2
	v_cmp_ne_u16_e32 vcc, 0, v8
	v_mov_b32_e32 v1, 0
	s_and_saveexec_b64 s[28:29], vcc
	s_cbranch_execz .LBB4_6516
; %bb.6511:                             ;   in Loop: Header=BB4_6216 Depth=3
	v_cmp_ne_u16_e32 vcc, s70, v8
	v_bfrev_b32_e32 v1, 1
	s_and_saveexec_b64 s[30:31], vcc
	s_cbranch_execz .LBB4_6515
; %bb.6512:                             ;   in Loop: Header=BB4_6216 Depth=3
	v_and_b32_e32 v6, 0x7f, v8
	v_cmp_ne_u32_e32 vcc, s68, v6
	v_mov_b32_e32 v1, 0x7f800001
	s_and_saveexec_b64 s[34:35], vcc
	s_cbranch_execz .LBB4_6514
; %bb.6513:                             ;   in Loop: Header=BB4_6216 Depth=3
	v_and_b32_e32 v1, 7, v8
	v_lshrrev_b32_e32 v12, 3, v6
	v_cmp_gt_u32_e32 vcc, 8, v6
	v_ffbh_u32_e32 v6, v1
	v_min_u32_e32 v6, 32, v6
	v_subrev_u32_e32 v9, 28, v6
	v_lshlrev_b64 v[8:9], v9, v[8:9]
	v_sub_u32_e32 v6, 29, v6
	v_and_b32_e32 v8, 7, v8
	v_cndmask_b32_e32 v6, v12, v6, vcc
	v_cndmask_b32_e32 v1, v1, v8, vcc
	v_lshlrev_b32_e32 v2, 16, v2
	v_lshlrev_b32_e32 v1, 20, v1
	v_and_b32_e32 v2, 0x80000000, v2
	v_lshl_add_u32 v6, v6, 23, v5
	v_or3_b32 v1, v2, v6, v1
.LBB4_6514:                             ;   in Loop: Header=BB4_6216 Depth=3
	s_or_b64 exec, exec, s[34:35]
.LBB4_6515:                             ;   in Loop: Header=BB4_6216 Depth=3
	s_or_b64 exec, exec, s[30:31]
.LBB4_6516:                             ;   in Loop: Header=BB4_6216 Depth=3
	s_or_b64 exec, exec, s[28:29]
	v_mul_f32_e32 v6, v15, v1
	v_and_b32_e32 v2, 0x7f800000, v6
	v_cmp_ne_u64_e32 vcc, s[62:63], v[2:3]
                                        ; implicit-def: $vgpr21
	s_and_saveexec_b64 s[28:29], vcc
	s_xor_b64 s[30:31], exec, s[28:29]
	s_cbranch_execz .LBB4_6530
; %bb.6517:                             ;   in Loop: Header=BB4_6216 Depth=3
	v_and_b32_e32 v2, 0x7fffffff, v6
	v_cmp_gt_u64_e32 vcc, s[72:73], v[2:3]
	v_and_b32_sdwa v1, v6, s70 dst_sel:DWORD dst_unused:UNUSED_PAD src0_sel:BYTE_3 src1_sel:DWORD
                                        ; implicit-def: $vgpr21
	s_and_saveexec_b64 s[28:29], vcc
	s_xor_b64 s[34:35], exec, s[28:29]
	s_cbranch_execz .LBB4_6527
; %bb.6518:                             ;   in Loop: Header=BB4_6216 Depth=3
	v_mov_b32_e32 v21, 0
	v_cmp_ne_u32_e32 vcc, 0, v6
	s_and_saveexec_b64 s[36:37], vcc
	s_cbranch_execz .LBB4_6526
; %bb.6519:                             ;   in Loop: Header=BB4_6216 Depth=3
	v_and_b32_e32 v2, 0x7fffff, v6
	v_bfe_u32 v6, v6, 23, 8
	v_cmp_gt_u32_e64 s[28:29], s71, v6
	v_sub_u32_e32 v8, 0x79, v6
	v_cmp_eq_u32_e32 vcc, 0, v6
	v_cndmask_b32_e64 v8, 0, v8, s[28:29]
	v_mov_b32_e32 v12, 0x78
	v_cndmask_b32_e32 v14, v8, v12, vcc
	v_or_b32_e32 v9, 0x800000, v2
	v_add_u32_e32 v8, 20, v14
	v_cndmask_b32_e32 v2, v9, v2, vcc
	v_lshlrev_b64 v[8:9], v8, -1
	v_add_u32_e32 v12, 19, v14
	v_lshlrev_b64 v[12:13], v12, 1
	v_bfi_b32 v9, v9, 0, 0
	v_bfi_b32 v8, v8, 0, v2
	v_cmp_eq_u64_e64 s[28:29], v[8:9], v[12:13]
	v_lshrrev_b64 v[8:9], v14, v[2:3]
	v_mov_b32_e32 v13, v9
	v_mov_b32_e32 v12, v8
	s_and_saveexec_b64 s[38:39], s[28:29]
; %bb.6520:                             ;   in Loop: Header=BB4_6216 Depth=3
	v_bfe_u32 v2, v8, 20, 1
	v_add_co_u32_e64 v2, s[28:29], v8, v2
	v_add_co_u32_e64 v12, s[28:29], -1, v2
; %bb.6521:                             ;   in Loop: Header=BB4_6216 Depth=3
	s_or_b64 exec, exec, s[38:39]
	v_add_u32_e32 v2, 0xffffff81, v6
	v_mov_b32_e32 v6, 0xffffff82
	v_cndmask_b32_e32 v2, v2, v6, vcc
	v_lshrrev_b32_e32 v6, 23, v8
	v_add3_u32 v14, v14, v2, v6
	v_add_u32_e32 v13, 6, v14
	v_and_b32_e32 v2, 0xfffff, v12
	v_add_u32_e32 v2, v2, v8
	v_cmp_ne_u32_e32 vcc, 0, v13
                                        ; implicit-def: $vgpr8_vgpr9
                                        ; implicit-def: $vgpr6
	s_and_saveexec_b64 s[28:29], vcc
	s_xor_b64 s[28:29], exec, s[28:29]
; %bb.6522:                             ;   in Loop: Header=BB4_6216 Depth=3
	v_cmp_lt_u64_e32 vcc, s[74:75], v[2:3]
	v_add_u32_e32 v6, 7, v14
	v_cndmask_b32_e64 v8, 0, 1, vcc
	v_cndmask_b32_e32 v6, v13, v6, vcc
	v_lshrrev_b64 v[8:9], v8, v[2:3]
; %bb.6523:                             ;   in Loop: Header=BB4_6216 Depth=3
	s_andn2_saveexec_b64 s[28:29], s[28:29]
; %bb.6524:                             ;   in Loop: Header=BB4_6216 Depth=3
	v_mov_b32_e32 v9, v3
	v_mov_b32_e32 v8, v2
	v_bfe_u32 v6, v2, 23, 1
; %bb.6525:                             ;   in Loop: Header=BB4_6216 Depth=3
	s_or_b64 exec, exec, s[28:29]
	v_lshrrev_b64 v[8:9], 20, v[8:9]
	v_cmp_gt_i32_e32 vcc, 16, v6
	v_cndmask_b32_e32 v9, 0, v9, vcc
	v_cndmask_b32_e32 v8, 7, v8, vcc
	v_min_i32_e32 v2, 15, v6
	v_cmp_eq_u64_e64 s[28:29], 0, v[8:9]
	v_lshlrev_b32_e32 v2, 3, v2
	v_cmp_eq_u32_e32 vcc, 0, v6
	v_and_b32_e32 v2, 0xf8, v2
	v_and_or_b32 v2, v8, 7, v2
	s_and_b64 s[28:29], vcc, s[28:29]
	v_cndmask_b32_e64 v2, v2, 0, s[28:29]
	v_or_b32_e32 v21, v2, v1
.LBB4_6526:                             ;   in Loop: Header=BB4_6216 Depth=3
	s_or_b64 exec, exec, s[36:37]
                                        ; implicit-def: $vgpr1
.LBB4_6527:                             ;   in Loop: Header=BB4_6216 Depth=3
	s_andn2_saveexec_b64 s[28:29], s[34:35]
; %bb.6528:                             ;   in Loop: Header=BB4_6216 Depth=3
	v_or_b32_e32 v21, 0x7e, v1
; %bb.6529:                             ;   in Loop: Header=BB4_6216 Depth=3
	s_or_b64 exec, exec, s[28:29]
                                        ; implicit-def: $vgpr6
.LBB4_6530:                             ;   in Loop: Header=BB4_6216 Depth=3
	s_andn2_saveexec_b64 s[28:29], s[30:31]
; %bb.6531:                             ;   in Loop: Header=BB4_6216 Depth=3
	v_or_b32_sdwa v21, v6, s68 dst_sel:DWORD dst_unused:UNUSED_PAD src0_sel:BYTE_3 src1_sel:DWORD
; %bb.6532:                             ;   in Loop: Header=BB4_6216 Depth=3
	s_or_b64 exec, exec, s[28:29]
	v_lshrrev_b32_e32 v2, 16, v11
	v_cmp_ne_u16_sdwa vcc, v2, v3 src0_sel:BYTE_0 src1_sel:DWORD
	v_mov_b32_e32 v1, 0
	s_and_saveexec_b64 s[28:29], vcc
	s_cbranch_execz .LBB4_6538
; %bb.6533:                             ;   in Loop: Header=BB4_6216 Depth=3
	v_cmp_ne_u16_sdwa vcc, v2, s70 src0_sel:BYTE_0 src1_sel:DWORD
	v_bfrev_b32_e32 v1, 1
	s_and_saveexec_b64 s[30:31], vcc
	s_cbranch_execz .LBB4_6537
; %bb.6534:                             ;   in Loop: Header=BB4_6216 Depth=3
	v_bfe_u32 v6, v11, 16, 7
	v_cmp_ne_u32_e32 vcc, s68, v6
	v_mov_b32_e32 v1, 0x7f800001
	s_and_saveexec_b64 s[34:35], vcc
	s_cbranch_execz .LBB4_6536
; %bb.6535:                             ;   in Loop: Header=BB4_6216 Depth=3
	v_and_b32_e32 v1, 7, v2
	v_lshrrev_b32_e32 v12, 3, v6
	v_cmp_gt_u32_e32 vcc, 8, v6
	v_ffbh_u32_e32 v6, v1
	v_min_u32_e32 v6, 32, v6
	v_subrev_u32_e32 v8, 28, v6
	v_lshlrev_b64 v[8:9], v8, v[2:3]
	v_sub_u32_e32 v6, 29, v6
	v_and_b32_e32 v8, 7, v8
	v_cndmask_b32_e32 v6, v12, v6, vcc
	v_cndmask_b32_e32 v1, v1, v8, vcc
	v_lshlrev_b32_e32 v2, 24, v2
	v_lshlrev_b32_e32 v1, 20, v1
	v_and_b32_e32 v2, 0x80000000, v2
	v_lshl_add_u32 v6, v6, 23, v5
	v_or3_b32 v1, v2, v6, v1
.LBB4_6536:                             ;   in Loop: Header=BB4_6216 Depth=3
	s_or_b64 exec, exec, s[34:35]
.LBB4_6537:                             ;   in Loop: Header=BB4_6216 Depth=3
	s_or_b64 exec, exec, s[30:31]
.LBB4_6538:                             ;   in Loop: Header=BB4_6216 Depth=3
	s_or_b64 exec, exec, s[28:29]
	v_mul_f32_e32 v6, v15, v1
	v_and_b32_e32 v2, 0x7f800000, v6
	v_cmp_ne_u64_e32 vcc, s[62:63], v[2:3]
                                        ; implicit-def: $vgpr41
	s_and_saveexec_b64 s[28:29], vcc
	s_xor_b64 s[30:31], exec, s[28:29]
	s_cbranch_execz .LBB4_6552
; %bb.6539:                             ;   in Loop: Header=BB4_6216 Depth=3
	v_and_b32_e32 v2, 0x7fffffff, v6
	v_cmp_gt_u64_e32 vcc, s[72:73], v[2:3]
	v_and_b32_sdwa v1, v6, s70 dst_sel:DWORD dst_unused:UNUSED_PAD src0_sel:BYTE_3 src1_sel:DWORD
                                        ; implicit-def: $vgpr41
	s_and_saveexec_b64 s[28:29], vcc
	s_xor_b64 s[34:35], exec, s[28:29]
	s_cbranch_execz .LBB4_6549
; %bb.6540:                             ;   in Loop: Header=BB4_6216 Depth=3
	v_mov_b32_e32 v41, 0
	v_cmp_ne_u32_e32 vcc, 0, v6
	s_and_saveexec_b64 s[36:37], vcc
	s_cbranch_execz .LBB4_6548
; %bb.6541:                             ;   in Loop: Header=BB4_6216 Depth=3
	v_and_b32_e32 v2, 0x7fffff, v6
	v_bfe_u32 v6, v6, 23, 8
	v_cmp_gt_u32_e64 s[28:29], s71, v6
	v_sub_u32_e32 v8, 0x79, v6
	v_cmp_eq_u32_e32 vcc, 0, v6
	v_cndmask_b32_e64 v8, 0, v8, s[28:29]
	v_mov_b32_e32 v12, 0x78
	v_cndmask_b32_e32 v14, v8, v12, vcc
	v_or_b32_e32 v9, 0x800000, v2
	v_add_u32_e32 v8, 20, v14
	v_cndmask_b32_e32 v2, v9, v2, vcc
	v_lshlrev_b64 v[8:9], v8, -1
	v_add_u32_e32 v12, 19, v14
	v_lshlrev_b64 v[12:13], v12, 1
	v_bfi_b32 v9, v9, 0, 0
	v_bfi_b32 v8, v8, 0, v2
	v_cmp_eq_u64_e64 s[28:29], v[8:9], v[12:13]
	v_lshrrev_b64 v[8:9], v14, v[2:3]
	v_mov_b32_e32 v13, v9
	v_mov_b32_e32 v12, v8
	s_and_saveexec_b64 s[38:39], s[28:29]
; %bb.6542:                             ;   in Loop: Header=BB4_6216 Depth=3
	v_bfe_u32 v2, v8, 20, 1
	v_add_co_u32_e64 v2, s[28:29], v8, v2
	v_add_co_u32_e64 v12, s[28:29], -1, v2
; %bb.6543:                             ;   in Loop: Header=BB4_6216 Depth=3
	s_or_b64 exec, exec, s[38:39]
	v_add_u32_e32 v2, 0xffffff81, v6
	v_mov_b32_e32 v6, 0xffffff82
	v_cndmask_b32_e32 v2, v2, v6, vcc
	v_lshrrev_b32_e32 v6, 23, v8
	v_add3_u32 v14, v14, v2, v6
	v_add_u32_e32 v13, 6, v14
	v_and_b32_e32 v2, 0xfffff, v12
	v_add_u32_e32 v2, v2, v8
	v_cmp_ne_u32_e32 vcc, 0, v13
                                        ; implicit-def: $vgpr8_vgpr9
                                        ; implicit-def: $vgpr6
	s_and_saveexec_b64 s[28:29], vcc
	s_xor_b64 s[28:29], exec, s[28:29]
; %bb.6544:                             ;   in Loop: Header=BB4_6216 Depth=3
	v_cmp_lt_u64_e32 vcc, s[74:75], v[2:3]
	v_add_u32_e32 v6, 7, v14
	v_cndmask_b32_e64 v8, 0, 1, vcc
	v_cndmask_b32_e32 v6, v13, v6, vcc
	v_lshrrev_b64 v[8:9], v8, v[2:3]
; %bb.6545:                             ;   in Loop: Header=BB4_6216 Depth=3
	s_andn2_saveexec_b64 s[28:29], s[28:29]
; %bb.6546:                             ;   in Loop: Header=BB4_6216 Depth=3
	v_mov_b32_e32 v9, v3
	v_mov_b32_e32 v8, v2
	v_bfe_u32 v6, v2, 23, 1
; %bb.6547:                             ;   in Loop: Header=BB4_6216 Depth=3
	s_or_b64 exec, exec, s[28:29]
	v_lshrrev_b64 v[8:9], 20, v[8:9]
	v_cmp_gt_i32_e32 vcc, 16, v6
	v_cndmask_b32_e32 v9, 0, v9, vcc
	v_cndmask_b32_e32 v8, 7, v8, vcc
	v_min_i32_e32 v2, 15, v6
	v_cmp_eq_u64_e64 s[28:29], 0, v[8:9]
	v_lshlrev_b32_e32 v2, 3, v2
	v_cmp_eq_u32_e32 vcc, 0, v6
	v_and_b32_e32 v2, 0xf8, v2
	v_and_or_b32 v2, v8, 7, v2
	s_and_b64 s[28:29], vcc, s[28:29]
	v_cndmask_b32_e64 v2, v2, 0, s[28:29]
	v_or_b32_e32 v41, v2, v1
.LBB4_6548:                             ;   in Loop: Header=BB4_6216 Depth=3
	s_or_b64 exec, exec, s[36:37]
                                        ; implicit-def: $vgpr1
.LBB4_6549:                             ;   in Loop: Header=BB4_6216 Depth=3
	s_andn2_saveexec_b64 s[28:29], s[34:35]
; %bb.6550:                             ;   in Loop: Header=BB4_6216 Depth=3
	v_or_b32_e32 v41, 0x7e, v1
; %bb.6551:                             ;   in Loop: Header=BB4_6216 Depth=3
	s_or_b64 exec, exec, s[28:29]
                                        ; implicit-def: $vgpr6
.LBB4_6552:                             ;   in Loop: Header=BB4_6216 Depth=3
	s_andn2_saveexec_b64 s[28:29], s[30:31]
; %bb.6553:                             ;   in Loop: Header=BB4_6216 Depth=3
	v_or_b32_sdwa v41, v6, s68 dst_sel:DWORD dst_unused:UNUSED_PAD src0_sel:BYTE_3 src1_sel:DWORD
; %bb.6554:                             ;   in Loop: Header=BB4_6216 Depth=3
	s_or_b64 exec, exec, s[28:29]
	v_cmp_lt_u64_e32 vcc, s[56:57], v[10:11]
	v_mov_b32_e32 v1, 0
	s_and_saveexec_b64 s[28:29], vcc
	s_cbranch_execz .LBB4_6560
; %bb.6555:                             ;   in Loop: Header=BB4_6216 Depth=3
	v_lshrrev_b32_e32 v2, 24, v11
	v_cmp_ne_u32_e32 vcc, s70, v2
	v_bfrev_b32_e32 v1, 1
	s_and_saveexec_b64 s[30:31], vcc
	s_cbranch_execz .LBB4_6559
; %bb.6556:                             ;   in Loop: Header=BB4_6216 Depth=3
	v_bfe_u32 v6, v11, 24, 7
	v_cmp_ne_u32_e32 vcc, s68, v6
	v_mov_b32_e32 v1, 0x7f800001
	s_and_saveexec_b64 s[34:35], vcc
	s_cbranch_execz .LBB4_6558
; %bb.6557:                             ;   in Loop: Header=BB4_6216 Depth=3
	v_and_b32_e32 v1, 7, v2
	v_lshrrev_b32_e32 v10, 3, v6
	v_cmp_gt_u32_e32 vcc, 8, v6
	v_ffbh_u32_e32 v6, v1
	v_min_u32_e32 v6, 32, v6
	v_subrev_u32_e32 v8, 28, v6
	v_lshlrev_b64 v[8:9], v8, v[2:3]
	v_sub_u32_e32 v6, 29, v6
	v_and_b32_e32 v8, 7, v8
	v_cndmask_b32_e32 v6, v10, v6, vcc
	v_cndmask_b32_e32 v1, v1, v8, vcc
	v_lshlrev_b32_e32 v2, 24, v2
	v_lshlrev_b32_e32 v1, 20, v1
	v_and_b32_e32 v2, 0x80000000, v2
	v_lshl_add_u32 v6, v6, 23, v5
	v_or3_b32 v1, v2, v6, v1
.LBB4_6558:                             ;   in Loop: Header=BB4_6216 Depth=3
	s_or_b64 exec, exec, s[34:35]
.LBB4_6559:                             ;   in Loop: Header=BB4_6216 Depth=3
	s_or_b64 exec, exec, s[30:31]
.LBB4_6560:                             ;   in Loop: Header=BB4_6216 Depth=3
	s_or_b64 exec, exec, s[28:29]
	v_mul_f32_e32 v6, v15, v1
	v_and_b32_e32 v2, 0x7f800000, v6
	v_cmp_ne_u64_e32 vcc, s[62:63], v[2:3]
                                        ; implicit-def: $vgpr48
	s_and_saveexec_b64 s[28:29], vcc
	s_xor_b64 s[30:31], exec, s[28:29]
	s_cbranch_execz .LBB4_6574
; %bb.6561:                             ;   in Loop: Header=BB4_6216 Depth=3
	v_and_b32_e32 v2, 0x7fffffff, v6
	v_cmp_gt_u64_e32 vcc, s[72:73], v[2:3]
	v_and_b32_sdwa v1, v6, s70 dst_sel:DWORD dst_unused:UNUSED_PAD src0_sel:BYTE_3 src1_sel:DWORD
                                        ; implicit-def: $vgpr48
	s_and_saveexec_b64 s[28:29], vcc
	s_xor_b64 s[34:35], exec, s[28:29]
	s_cbranch_execz .LBB4_6571
; %bb.6562:                             ;   in Loop: Header=BB4_6216 Depth=3
	v_mov_b32_e32 v48, 0
	v_cmp_ne_u32_e32 vcc, 0, v6
	s_and_saveexec_b64 s[36:37], vcc
	s_cbranch_execz .LBB4_6570
; %bb.6563:                             ;   in Loop: Header=BB4_6216 Depth=3
	v_and_b32_e32 v2, 0x7fffff, v6
	v_bfe_u32 v6, v6, 23, 8
	v_cmp_gt_u32_e64 s[28:29], s71, v6
	v_sub_u32_e32 v8, 0x79, v6
	v_cmp_eq_u32_e32 vcc, 0, v6
	v_cndmask_b32_e64 v8, 0, v8, s[28:29]
	v_mov_b32_e32 v10, 0x78
	v_cndmask_b32_e32 v11, v8, v10, vcc
	v_or_b32_e32 v9, 0x800000, v2
	v_add_u32_e32 v8, 20, v11
	v_cndmask_b32_e32 v2, v9, v2, vcc
	v_lshlrev_b64 v[8:9], v8, -1
	v_add_u32_e32 v10, 19, v11
	v_lshlrev_b64 v[12:13], v10, 1
	v_bfi_b32 v9, v9, 0, 0
	v_bfi_b32 v8, v8, 0, v2
	v_cmp_eq_u64_e64 s[28:29], v[8:9], v[12:13]
	v_lshrrev_b64 v[8:9], v11, v[2:3]
	v_mov_b32_e32 v10, v9
	v_mov_b32_e32 v9, v8
	s_and_saveexec_b64 s[38:39], s[28:29]
; %bb.6564:                             ;   in Loop: Header=BB4_6216 Depth=3
	v_bfe_u32 v2, v8, 20, 1
	v_add_co_u32_e64 v2, s[28:29], v8, v2
	v_add_co_u32_e64 v9, s[28:29], -1, v2
; %bb.6565:                             ;   in Loop: Header=BB4_6216 Depth=3
	s_or_b64 exec, exec, s[38:39]
	v_add_u32_e32 v2, 0xffffff81, v6
	v_mov_b32_e32 v6, 0xffffff82
	v_cndmask_b32_e32 v2, v2, v6, vcc
	v_lshrrev_b32_e32 v6, 23, v8
	v_add3_u32 v11, v11, v2, v6
	v_add_u32_e32 v10, 6, v11
	v_and_b32_e32 v2, 0xfffff, v9
	v_add_u32_e32 v2, v2, v8
	v_cmp_ne_u32_e32 vcc, 0, v10
                                        ; implicit-def: $vgpr8_vgpr9
                                        ; implicit-def: $vgpr6
	s_and_saveexec_b64 s[28:29], vcc
	s_xor_b64 s[28:29], exec, s[28:29]
; %bb.6566:                             ;   in Loop: Header=BB4_6216 Depth=3
	v_cmp_lt_u64_e32 vcc, s[74:75], v[2:3]
	v_add_u32_e32 v6, 7, v11
	v_cndmask_b32_e64 v8, 0, 1, vcc
	v_cndmask_b32_e32 v6, v10, v6, vcc
	v_lshrrev_b64 v[8:9], v8, v[2:3]
; %bb.6567:                             ;   in Loop: Header=BB4_6216 Depth=3
	s_andn2_saveexec_b64 s[28:29], s[28:29]
; %bb.6568:                             ;   in Loop: Header=BB4_6216 Depth=3
	v_mov_b32_e32 v9, v3
	v_mov_b32_e32 v8, v2
	v_bfe_u32 v6, v2, 23, 1
; %bb.6569:                             ;   in Loop: Header=BB4_6216 Depth=3
	s_or_b64 exec, exec, s[28:29]
	v_lshrrev_b64 v[8:9], 20, v[8:9]
	v_cmp_gt_i32_e32 vcc, 16, v6
	v_cndmask_b32_e32 v9, 0, v9, vcc
	v_cndmask_b32_e32 v8, 7, v8, vcc
	v_min_i32_e32 v2, 15, v6
	v_cmp_eq_u64_e64 s[28:29], 0, v[8:9]
	v_lshlrev_b32_e32 v2, 3, v2
	v_cmp_eq_u32_e32 vcc, 0, v6
	v_and_b32_e32 v2, 0xf8, v2
	v_and_or_b32 v2, v8, 7, v2
	s_and_b64 s[28:29], vcc, s[28:29]
	v_cndmask_b32_e64 v2, v2, 0, s[28:29]
	v_or_b32_e32 v48, v2, v1
.LBB4_6570:                             ;   in Loop: Header=BB4_6216 Depth=3
	s_or_b64 exec, exec, s[36:37]
                                        ; implicit-def: $vgpr1
.LBB4_6571:                             ;   in Loop: Header=BB4_6216 Depth=3
	s_andn2_saveexec_b64 s[28:29], s[34:35]
; %bb.6572:                             ;   in Loop: Header=BB4_6216 Depth=3
	v_or_b32_e32 v48, 0x7e, v1
; %bb.6573:                             ;   in Loop: Header=BB4_6216 Depth=3
	s_or_b64 exec, exec, s[28:29]
                                        ; implicit-def: $vgpr6
.LBB4_6574:                             ;   in Loop: Header=BB4_6216 Depth=3
	s_andn2_saveexec_b64 s[28:29], s[30:31]
; %bb.6575:                             ;   in Loop: Header=BB4_6216 Depth=3
	v_or_b32_sdwa v48, v6, s68 dst_sel:DWORD dst_unused:UNUSED_PAD src0_sel:BYTE_3 src1_sel:DWORD
; %bb.6576:                             ;   in Loop: Header=BB4_6216 Depth=3
	s_or_b64 exec, exec, s[28:29]
	global_load_dwordx4 v[8:11], v[55:56], off offset:1024 glc slc
	v_mov_b32_e32 v1, 0
	s_waitcnt vmcnt(0)
	v_cmp_ne_u16_sdwa vcc, v8, v3 src0_sel:BYTE_0 src1_sel:DWORD
	s_and_saveexec_b64 s[28:29], vcc
	s_cbranch_execz .LBB4_6582
; %bb.6577:                             ;   in Loop: Header=BB4_6216 Depth=3
	v_cmp_ne_u16_sdwa vcc, v8, s70 src0_sel:BYTE_0 src1_sel:DWORD
	v_bfrev_b32_e32 v1, 1
	s_and_saveexec_b64 s[30:31], vcc
	s_cbranch_execz .LBB4_6581
; %bb.6578:                             ;   in Loop: Header=BB4_6216 Depth=3
	v_and_b32_e32 v2, 0x7f, v8
	v_cmp_ne_u32_e32 vcc, s68, v2
	v_mov_b32_e32 v1, 0x7f800001
	s_and_saveexec_b64 s[34:35], vcc
	s_cbranch_execz .LBB4_6580
; %bb.6579:                             ;   in Loop: Header=BB4_6216 Depth=3
	v_and_b32_e32 v1, 7, v8
	v_ffbh_u32_e32 v1, v1
	v_min_u32_e32 v1, 32, v1
	v_lshrrev_b32_e32 v6, 3, v2
	v_cmp_gt_u32_e32 vcc, 8, v2
	v_subrev_u32_e32 v2, 28, v1
	v_sub_u32_e32 v1, 29, v1
	v_cndmask_b32_e32 v6, v6, v1, vcc
	v_cndmask_b32_e32 v1, 0, v2, vcc
	v_lshlrev_b64 v[1:2], v1, v[8:9]
	v_lshlrev_b32_e32 v2, 24, v8
	v_lshlrev_b32_e32 v1, 20, v1
	v_and_b32_e32 v1, 0x700000, v1
	v_and_b32_e32 v2, 0x80000000, v2
	v_lshl_add_u32 v6, v6, 23, v5
	v_or3_b32 v1, v2, v6, v1
.LBB4_6580:                             ;   in Loop: Header=BB4_6216 Depth=3
	s_or_b64 exec, exec, s[34:35]
.LBB4_6581:                             ;   in Loop: Header=BB4_6216 Depth=3
	s_or_b64 exec, exec, s[30:31]
.LBB4_6582:                             ;   in Loop: Header=BB4_6216 Depth=3
	s_or_b64 exec, exec, s[28:29]
	v_mul_f32_e32 v6, v15, v1
	v_and_b32_e32 v2, 0x7f800000, v6
	v_cmp_ne_u64_e32 vcc, s[62:63], v[2:3]
                                        ; implicit-def: $vgpr35
	s_and_saveexec_b64 s[28:29], vcc
	s_xor_b64 s[30:31], exec, s[28:29]
	s_cbranch_execz .LBB4_6596
; %bb.6583:                             ;   in Loop: Header=BB4_6216 Depth=3
	v_and_b32_e32 v2, 0x7fffffff, v6
	v_cmp_gt_u64_e32 vcc, s[72:73], v[2:3]
	v_and_b32_sdwa v1, v6, s70 dst_sel:DWORD dst_unused:UNUSED_PAD src0_sel:BYTE_3 src1_sel:DWORD
                                        ; implicit-def: $vgpr35
	s_and_saveexec_b64 s[28:29], vcc
	s_xor_b64 s[34:35], exec, s[28:29]
	s_cbranch_execz .LBB4_6593
; %bb.6584:                             ;   in Loop: Header=BB4_6216 Depth=3
	v_mov_b32_e32 v35, 0
	v_cmp_ne_u32_e32 vcc, 0, v6
	s_and_saveexec_b64 s[36:37], vcc
	s_cbranch_execz .LBB4_6592
; %bb.6585:                             ;   in Loop: Header=BB4_6216 Depth=3
	v_and_b32_e32 v2, 0x7fffff, v6
	v_bfe_u32 v6, v6, 23, 8
	v_cmp_gt_u32_e64 s[28:29], s71, v6
	v_sub_u32_e32 v12, 0x79, v6
	v_cmp_eq_u32_e32 vcc, 0, v6
	v_cndmask_b32_e64 v12, 0, v12, s[28:29]
	v_mov_b32_e32 v14, 0x78
	v_cndmask_b32_e32 v16, v12, v14, vcc
	v_or_b32_e32 v13, 0x800000, v2
	v_add_u32_e32 v12, 20, v16
	v_cndmask_b32_e32 v2, v13, v2, vcc
	v_lshlrev_b64 v[12:13], v12, -1
	v_add_u32_e32 v14, 19, v16
	v_lshlrev_b64 v[29:30], v14, 1
	v_bfi_b32 v13, v13, 0, 0
	v_bfi_b32 v12, v12, 0, v2
	v_cmp_eq_u64_e64 s[28:29], v[12:13], v[29:30]
	v_lshrrev_b64 v[12:13], v16, v[2:3]
	v_mov_b32_e32 v14, v13
	v_mov_b32_e32 v13, v12
	s_and_saveexec_b64 s[38:39], s[28:29]
; %bb.6586:                             ;   in Loop: Header=BB4_6216 Depth=3
	v_bfe_u32 v2, v12, 20, 1
	v_add_co_u32_e64 v2, s[28:29], v12, v2
	v_add_co_u32_e64 v13, s[28:29], -1, v2
; %bb.6587:                             ;   in Loop: Header=BB4_6216 Depth=3
	s_or_b64 exec, exec, s[38:39]
	v_add_u32_e32 v2, 0xffffff81, v6
	v_mov_b32_e32 v6, 0xffffff82
	v_cndmask_b32_e32 v2, v2, v6, vcc
	v_lshrrev_b32_e32 v6, 23, v12
	v_add3_u32 v16, v16, v2, v6
	v_add_u32_e32 v14, 6, v16
	v_and_b32_e32 v2, 0xfffff, v13
	v_add_u32_e32 v2, v2, v12
	v_cmp_ne_u32_e32 vcc, 0, v14
                                        ; implicit-def: $vgpr12_vgpr13
                                        ; implicit-def: $vgpr6
	s_and_saveexec_b64 s[28:29], vcc
	s_xor_b64 s[28:29], exec, s[28:29]
; %bb.6588:                             ;   in Loop: Header=BB4_6216 Depth=3
	v_cmp_lt_u64_e32 vcc, s[74:75], v[2:3]
	v_add_u32_e32 v6, 7, v16
	v_cndmask_b32_e64 v12, 0, 1, vcc
	v_lshrrev_b64 v[12:13], v12, v[2:3]
	v_cndmask_b32_e32 v6, v14, v6, vcc
; %bb.6589:                             ;   in Loop: Header=BB4_6216 Depth=3
	s_andn2_saveexec_b64 s[28:29], s[28:29]
; %bb.6590:                             ;   in Loop: Header=BB4_6216 Depth=3
	v_mov_b32_e32 v13, v3
	v_mov_b32_e32 v12, v2
	v_bfe_u32 v6, v2, 23, 1
; %bb.6591:                             ;   in Loop: Header=BB4_6216 Depth=3
	s_or_b64 exec, exec, s[28:29]
	v_lshrrev_b64 v[12:13], 20, v[12:13]
	v_cmp_gt_i32_e32 vcc, 16, v6
	v_cndmask_b32_e32 v13, 0, v13, vcc
	v_cndmask_b32_e32 v12, 7, v12, vcc
	v_min_i32_e32 v2, 15, v6
	v_cmp_eq_u64_e64 s[28:29], 0, v[12:13]
	v_lshlrev_b32_e32 v2, 3, v2
	v_cmp_eq_u32_e32 vcc, 0, v6
	v_and_b32_e32 v2, 0xf8, v2
	v_and_or_b32 v2, v12, 7, v2
	s_and_b64 s[28:29], vcc, s[28:29]
	v_cndmask_b32_e64 v2, v2, 0, s[28:29]
	v_or_b32_e32 v35, v2, v1
.LBB4_6592:                             ;   in Loop: Header=BB4_6216 Depth=3
	s_or_b64 exec, exec, s[36:37]
                                        ; implicit-def: $vgpr1
.LBB4_6593:                             ;   in Loop: Header=BB4_6216 Depth=3
	s_andn2_saveexec_b64 s[28:29], s[34:35]
; %bb.6594:                             ;   in Loop: Header=BB4_6216 Depth=3
	v_or_b32_e32 v35, 0x7e, v1
; %bb.6595:                             ;   in Loop: Header=BB4_6216 Depth=3
	s_or_b64 exec, exec, s[28:29]
                                        ; implicit-def: $vgpr6
.LBB4_6596:                             ;   in Loop: Header=BB4_6216 Depth=3
	s_andn2_saveexec_b64 s[28:29], s[30:31]
; %bb.6597:                             ;   in Loop: Header=BB4_6216 Depth=3
	v_or_b32_sdwa v35, v6, s68 dst_sel:DWORD dst_unused:UNUSED_PAD src0_sel:BYTE_3 src1_sel:DWORD
; %bb.6598:                             ;   in Loop: Header=BB4_6216 Depth=3
	s_or_b64 exec, exec, s[28:29]
	v_lshrrev_b16_e32 v2, 8, v8
	v_cmp_ne_u16_e32 vcc, 0, v2
	v_mov_b32_e32 v1, 0
	s_and_saveexec_b64 s[28:29], vcc
	s_cbranch_execz .LBB4_6604
; %bb.6599:                             ;   in Loop: Header=BB4_6216 Depth=3
	v_cmp_ne_u16_e32 vcc, s70, v2
	v_bfrev_b32_e32 v1, 1
	s_and_saveexec_b64 s[30:31], vcc
	s_cbranch_execz .LBB4_6603
; %bb.6600:                             ;   in Loop: Header=BB4_6216 Depth=3
	v_and_b32_e32 v6, 0x7f, v2
	v_cmp_ne_u32_e32 vcc, s68, v6
	v_mov_b32_e32 v1, 0x7f800001
	s_and_saveexec_b64 s[34:35], vcc
	s_cbranch_execz .LBB4_6602
; %bb.6601:                             ;   in Loop: Header=BB4_6216 Depth=3
	v_and_b32_e32 v12, 7, v2
	v_ffbh_u32_e32 v1, v12
	v_lshrrev_b32_e32 v13, 3, v6
	v_cmp_gt_u32_e32 vcc, 8, v6
	v_min_u32_e32 v6, 32, v1
	v_subrev_u32_e32 v1, 28, v6
	v_lshlrev_b64 v[1:2], v1, v[2:3]
	v_sub_u32_e32 v2, 29, v6
	v_and_b32_e32 v1, 7, v1
	v_cndmask_b32_e32 v2, v13, v2, vcc
	v_cndmask_b32_e32 v1, v12, v1, vcc
	v_lshlrev_b32_e32 v6, 16, v8
	v_lshlrev_b32_e32 v1, 20, v1
	v_and_b32_e32 v6, 0x80000000, v6
	v_lshl_add_u32 v2, v2, 23, v5
	v_or3_b32 v1, v6, v2, v1
.LBB4_6602:                             ;   in Loop: Header=BB4_6216 Depth=3
	s_or_b64 exec, exec, s[34:35]
.LBB4_6603:                             ;   in Loop: Header=BB4_6216 Depth=3
	s_or_b64 exec, exec, s[30:31]
.LBB4_6604:                             ;   in Loop: Header=BB4_6216 Depth=3
	s_or_b64 exec, exec, s[28:29]
	v_mul_f32_e32 v6, v15, v1
	v_and_b32_e32 v2, 0x7f800000, v6
	v_cmp_ne_u64_e32 vcc, s[62:63], v[2:3]
                                        ; implicit-def: $vgpr27
	s_and_saveexec_b64 s[28:29], vcc
	s_xor_b64 s[30:31], exec, s[28:29]
	s_cbranch_execz .LBB4_6618
; %bb.6605:                             ;   in Loop: Header=BB4_6216 Depth=3
	v_and_b32_e32 v2, 0x7fffffff, v6
	v_cmp_gt_u64_e32 vcc, s[72:73], v[2:3]
	v_and_b32_sdwa v1, v6, s70 dst_sel:DWORD dst_unused:UNUSED_PAD src0_sel:BYTE_3 src1_sel:DWORD
                                        ; implicit-def: $vgpr27
	s_and_saveexec_b64 s[28:29], vcc
	s_xor_b64 s[34:35], exec, s[28:29]
	s_cbranch_execz .LBB4_6615
; %bb.6606:                             ;   in Loop: Header=BB4_6216 Depth=3
	v_mov_b32_e32 v27, 0
	v_cmp_ne_u32_e32 vcc, 0, v6
	s_and_saveexec_b64 s[36:37], vcc
	s_cbranch_execz .LBB4_6614
; %bb.6607:                             ;   in Loop: Header=BB4_6216 Depth=3
	v_and_b32_e32 v2, 0x7fffff, v6
	v_bfe_u32 v6, v6, 23, 8
	v_cmp_gt_u32_e64 s[28:29], s71, v6
	v_sub_u32_e32 v12, 0x79, v6
	v_cmp_eq_u32_e32 vcc, 0, v6
	v_cndmask_b32_e64 v12, 0, v12, s[28:29]
	v_mov_b32_e32 v14, 0x78
	v_cndmask_b32_e32 v16, v12, v14, vcc
	v_or_b32_e32 v13, 0x800000, v2
	v_add_u32_e32 v12, 20, v16
	v_cndmask_b32_e32 v2, v13, v2, vcc
	v_lshlrev_b64 v[12:13], v12, -1
	v_add_u32_e32 v14, 19, v16
	v_lshlrev_b64 v[29:30], v14, 1
	v_bfi_b32 v13, v13, 0, 0
	v_bfi_b32 v12, v12, 0, v2
	v_cmp_eq_u64_e64 s[28:29], v[12:13], v[29:30]
	v_lshrrev_b64 v[12:13], v16, v[2:3]
	v_mov_b32_e32 v14, v13
	v_mov_b32_e32 v13, v12
	s_and_saveexec_b64 s[38:39], s[28:29]
; %bb.6608:                             ;   in Loop: Header=BB4_6216 Depth=3
	v_bfe_u32 v2, v12, 20, 1
	v_add_co_u32_e64 v2, s[28:29], v12, v2
	v_add_co_u32_e64 v13, s[28:29], -1, v2
; %bb.6609:                             ;   in Loop: Header=BB4_6216 Depth=3
	s_or_b64 exec, exec, s[38:39]
	v_add_u32_e32 v2, 0xffffff81, v6
	v_mov_b32_e32 v6, 0xffffff82
	v_cndmask_b32_e32 v2, v2, v6, vcc
	v_lshrrev_b32_e32 v6, 23, v12
	v_add3_u32 v16, v16, v2, v6
	v_add_u32_e32 v14, 6, v16
	v_and_b32_e32 v2, 0xfffff, v13
	v_add_u32_e32 v2, v2, v12
	v_cmp_ne_u32_e32 vcc, 0, v14
                                        ; implicit-def: $vgpr12_vgpr13
                                        ; implicit-def: $vgpr6
	s_and_saveexec_b64 s[28:29], vcc
	s_xor_b64 s[28:29], exec, s[28:29]
; %bb.6610:                             ;   in Loop: Header=BB4_6216 Depth=3
	v_cmp_lt_u64_e32 vcc, s[74:75], v[2:3]
	v_add_u32_e32 v6, 7, v16
	v_cndmask_b32_e64 v12, 0, 1, vcc
	v_lshrrev_b64 v[12:13], v12, v[2:3]
	v_cndmask_b32_e32 v6, v14, v6, vcc
; %bb.6611:                             ;   in Loop: Header=BB4_6216 Depth=3
	s_andn2_saveexec_b64 s[28:29], s[28:29]
; %bb.6612:                             ;   in Loop: Header=BB4_6216 Depth=3
	v_mov_b32_e32 v13, v3
	v_mov_b32_e32 v12, v2
	v_bfe_u32 v6, v2, 23, 1
; %bb.6613:                             ;   in Loop: Header=BB4_6216 Depth=3
	s_or_b64 exec, exec, s[28:29]
	v_lshrrev_b64 v[12:13], 20, v[12:13]
	v_cmp_gt_i32_e32 vcc, 16, v6
	v_cndmask_b32_e32 v13, 0, v13, vcc
	v_cndmask_b32_e32 v12, 7, v12, vcc
	v_min_i32_e32 v2, 15, v6
	v_cmp_eq_u64_e64 s[28:29], 0, v[12:13]
	v_lshlrev_b32_e32 v2, 3, v2
	v_cmp_eq_u32_e32 vcc, 0, v6
	v_and_b32_e32 v2, 0xf8, v2
	v_and_or_b32 v2, v12, 7, v2
	s_and_b64 s[28:29], vcc, s[28:29]
	v_cndmask_b32_e64 v2, v2, 0, s[28:29]
	v_or_b32_e32 v27, v2, v1
.LBB4_6614:                             ;   in Loop: Header=BB4_6216 Depth=3
	s_or_b64 exec, exec, s[36:37]
                                        ; implicit-def: $vgpr1
.LBB4_6615:                             ;   in Loop: Header=BB4_6216 Depth=3
	s_andn2_saveexec_b64 s[28:29], s[34:35]
; %bb.6616:                             ;   in Loop: Header=BB4_6216 Depth=3
	v_or_b32_e32 v27, 0x7e, v1
; %bb.6617:                             ;   in Loop: Header=BB4_6216 Depth=3
	s_or_b64 exec, exec, s[28:29]
                                        ; implicit-def: $vgpr6
.LBB4_6618:                             ;   in Loop: Header=BB4_6216 Depth=3
	s_andn2_saveexec_b64 s[28:29], s[30:31]
; %bb.6619:                             ;   in Loop: Header=BB4_6216 Depth=3
	v_or_b32_sdwa v27, v6, s68 dst_sel:DWORD dst_unused:UNUSED_PAD src0_sel:BYTE_3 src1_sel:DWORD
; %bb.6620:                             ;   in Loop: Header=BB4_6216 Depth=3
	s_or_b64 exec, exec, s[28:29]
	v_lshrrev_b32_e32 v2, 16, v8
	v_cmp_ne_u16_sdwa vcc, v2, v3 src0_sel:BYTE_0 src1_sel:DWORD
	v_mov_b32_e32 v1, 0
	s_and_saveexec_b64 s[28:29], vcc
	s_cbranch_execz .LBB4_6626
; %bb.6621:                             ;   in Loop: Header=BB4_6216 Depth=3
	v_cmp_ne_u16_sdwa vcc, v2, s70 src0_sel:BYTE_0 src1_sel:DWORD
	v_bfrev_b32_e32 v1, 1
	s_and_saveexec_b64 s[30:31], vcc
	s_cbranch_execz .LBB4_6625
; %bb.6622:                             ;   in Loop: Header=BB4_6216 Depth=3
	v_bfe_u32 v6, v8, 16, 7
	v_cmp_ne_u32_e32 vcc, s68, v6
	v_mov_b32_e32 v1, 0x7f800001
	s_and_saveexec_b64 s[34:35], vcc
	s_cbranch_execz .LBB4_6624
; %bb.6623:                             ;   in Loop: Header=BB4_6216 Depth=3
	v_and_b32_e32 v1, 7, v2
	v_lshrrev_b32_e32 v14, 3, v6
	v_cmp_gt_u32_e32 vcc, 8, v6
	v_ffbh_u32_e32 v6, v1
	v_min_u32_e32 v6, 32, v6
	v_subrev_u32_e32 v12, 28, v6
	v_lshlrev_b64 v[12:13], v12, v[2:3]
	v_sub_u32_e32 v6, 29, v6
	v_and_b32_e32 v12, 7, v12
	v_cndmask_b32_e32 v6, v14, v6, vcc
	v_cndmask_b32_e32 v1, v1, v12, vcc
	v_lshlrev_b32_e32 v2, 24, v2
	v_lshlrev_b32_e32 v1, 20, v1
	v_and_b32_e32 v2, 0x80000000, v2
	v_lshl_add_u32 v6, v6, 23, v5
	v_or3_b32 v1, v2, v6, v1
.LBB4_6624:                             ;   in Loop: Header=BB4_6216 Depth=3
	s_or_b64 exec, exec, s[34:35]
.LBB4_6625:                             ;   in Loop: Header=BB4_6216 Depth=3
	s_or_b64 exec, exec, s[30:31]
.LBB4_6626:                             ;   in Loop: Header=BB4_6216 Depth=3
	s_or_b64 exec, exec, s[28:29]
	v_mul_f32_e32 v6, v15, v1
	v_and_b32_e32 v2, 0x7f800000, v6
	v_cmp_ne_u64_e32 vcc, s[62:63], v[2:3]
                                        ; implicit-def: $vgpr43
	s_and_saveexec_b64 s[28:29], vcc
	s_xor_b64 s[30:31], exec, s[28:29]
	s_cbranch_execz .LBB4_6640
; %bb.6627:                             ;   in Loop: Header=BB4_6216 Depth=3
	v_and_b32_e32 v2, 0x7fffffff, v6
	v_cmp_gt_u64_e32 vcc, s[72:73], v[2:3]
	v_and_b32_sdwa v1, v6, s70 dst_sel:DWORD dst_unused:UNUSED_PAD src0_sel:BYTE_3 src1_sel:DWORD
                                        ; implicit-def: $vgpr43
	s_and_saveexec_b64 s[28:29], vcc
	s_xor_b64 s[34:35], exec, s[28:29]
	s_cbranch_execz .LBB4_6637
; %bb.6628:                             ;   in Loop: Header=BB4_6216 Depth=3
	v_mov_b32_e32 v43, 0
	v_cmp_ne_u32_e32 vcc, 0, v6
	s_and_saveexec_b64 s[36:37], vcc
	s_cbranch_execz .LBB4_6636
; %bb.6629:                             ;   in Loop: Header=BB4_6216 Depth=3
	v_and_b32_e32 v2, 0x7fffff, v6
	v_bfe_u32 v6, v6, 23, 8
	v_cmp_gt_u32_e64 s[28:29], s71, v6
	v_sub_u32_e32 v12, 0x79, v6
	v_cmp_eq_u32_e32 vcc, 0, v6
	v_cndmask_b32_e64 v12, 0, v12, s[28:29]
	v_mov_b32_e32 v14, 0x78
	v_cndmask_b32_e32 v16, v12, v14, vcc
	v_or_b32_e32 v13, 0x800000, v2
	v_add_u32_e32 v12, 20, v16
	v_cndmask_b32_e32 v2, v13, v2, vcc
	v_lshlrev_b64 v[12:13], v12, -1
	v_add_u32_e32 v14, 19, v16
	v_lshlrev_b64 v[29:30], v14, 1
	v_bfi_b32 v13, v13, 0, 0
	v_bfi_b32 v12, v12, 0, v2
	v_cmp_eq_u64_e64 s[28:29], v[12:13], v[29:30]
	v_lshrrev_b64 v[12:13], v16, v[2:3]
	v_mov_b32_e32 v14, v13
	v_mov_b32_e32 v13, v12
	s_and_saveexec_b64 s[38:39], s[28:29]
; %bb.6630:                             ;   in Loop: Header=BB4_6216 Depth=3
	v_bfe_u32 v2, v12, 20, 1
	v_add_co_u32_e64 v2, s[28:29], v12, v2
	v_add_co_u32_e64 v13, s[28:29], -1, v2
; %bb.6631:                             ;   in Loop: Header=BB4_6216 Depth=3
	s_or_b64 exec, exec, s[38:39]
	v_add_u32_e32 v2, 0xffffff81, v6
	v_mov_b32_e32 v6, 0xffffff82
	v_cndmask_b32_e32 v2, v2, v6, vcc
	v_lshrrev_b32_e32 v6, 23, v12
	v_add3_u32 v16, v16, v2, v6
	v_add_u32_e32 v14, 6, v16
	v_and_b32_e32 v2, 0xfffff, v13
	v_add_u32_e32 v2, v2, v12
	v_cmp_ne_u32_e32 vcc, 0, v14
                                        ; implicit-def: $vgpr12_vgpr13
                                        ; implicit-def: $vgpr6
	s_and_saveexec_b64 s[28:29], vcc
	s_xor_b64 s[28:29], exec, s[28:29]
; %bb.6632:                             ;   in Loop: Header=BB4_6216 Depth=3
	v_cmp_lt_u64_e32 vcc, s[74:75], v[2:3]
	v_add_u32_e32 v6, 7, v16
	v_cndmask_b32_e64 v12, 0, 1, vcc
	v_lshrrev_b64 v[12:13], v12, v[2:3]
	v_cndmask_b32_e32 v6, v14, v6, vcc
; %bb.6633:                             ;   in Loop: Header=BB4_6216 Depth=3
	s_andn2_saveexec_b64 s[28:29], s[28:29]
; %bb.6634:                             ;   in Loop: Header=BB4_6216 Depth=3
	v_mov_b32_e32 v13, v3
	v_mov_b32_e32 v12, v2
	v_bfe_u32 v6, v2, 23, 1
; %bb.6635:                             ;   in Loop: Header=BB4_6216 Depth=3
	s_or_b64 exec, exec, s[28:29]
	v_lshrrev_b64 v[12:13], 20, v[12:13]
	v_cmp_gt_i32_e32 vcc, 16, v6
	v_cndmask_b32_e32 v13, 0, v13, vcc
	v_cndmask_b32_e32 v12, 7, v12, vcc
	v_min_i32_e32 v2, 15, v6
	v_cmp_eq_u64_e64 s[28:29], 0, v[12:13]
	v_lshlrev_b32_e32 v2, 3, v2
	v_cmp_eq_u32_e32 vcc, 0, v6
	v_and_b32_e32 v2, 0xf8, v2
	v_and_or_b32 v2, v12, 7, v2
	s_and_b64 s[28:29], vcc, s[28:29]
	v_cndmask_b32_e64 v2, v2, 0, s[28:29]
	v_or_b32_e32 v43, v2, v1
.LBB4_6636:                             ;   in Loop: Header=BB4_6216 Depth=3
	s_or_b64 exec, exec, s[36:37]
                                        ; implicit-def: $vgpr1
.LBB4_6637:                             ;   in Loop: Header=BB4_6216 Depth=3
	s_andn2_saveexec_b64 s[28:29], s[34:35]
; %bb.6638:                             ;   in Loop: Header=BB4_6216 Depth=3
	v_or_b32_e32 v43, 0x7e, v1
; %bb.6639:                             ;   in Loop: Header=BB4_6216 Depth=3
	s_or_b64 exec, exec, s[28:29]
                                        ; implicit-def: $vgpr6
.LBB4_6640:                             ;   in Loop: Header=BB4_6216 Depth=3
	s_andn2_saveexec_b64 s[28:29], s[30:31]
; %bb.6641:                             ;   in Loop: Header=BB4_6216 Depth=3
	v_or_b32_sdwa v43, v6, s68 dst_sel:DWORD dst_unused:UNUSED_PAD src0_sel:BYTE_3 src1_sel:DWORD
; %bb.6642:                             ;   in Loop: Header=BB4_6216 Depth=3
	s_or_b64 exec, exec, s[28:29]
	v_cmp_lt_u32_e32 vcc, s57, v8
	v_mov_b32_e32 v1, 0
	s_and_saveexec_b64 s[28:29], vcc
	s_cbranch_execz .LBB4_6648
; %bb.6643:                             ;   in Loop: Header=BB4_6216 Depth=3
	v_lshrrev_b32_e32 v2, 24, v8
	v_cmp_ne_u32_e32 vcc, s70, v2
	v_bfrev_b32_e32 v1, 1
	s_and_saveexec_b64 s[30:31], vcc
	s_cbranch_execz .LBB4_6647
; %bb.6644:                             ;   in Loop: Header=BB4_6216 Depth=3
	v_bfe_u32 v6, v8, 24, 7
	v_cmp_ne_u32_e32 vcc, s68, v6
	v_mov_b32_e32 v1, 0x7f800001
	s_and_saveexec_b64 s[34:35], vcc
	s_cbranch_execz .LBB4_6646
; %bb.6645:                             ;   in Loop: Header=BB4_6216 Depth=3
	v_and_b32_e32 v1, 7, v2
	v_lshrrev_b32_e32 v14, 3, v6
	v_cmp_gt_u32_e32 vcc, 8, v6
	v_ffbh_u32_e32 v6, v1
	v_min_u32_e32 v6, 32, v6
	v_subrev_u32_e32 v12, 28, v6
	v_lshlrev_b64 v[12:13], v12, v[2:3]
	v_sub_u32_e32 v6, 29, v6
	v_and_b32_e32 v12, 7, v12
	v_cndmask_b32_e32 v6, v14, v6, vcc
	v_cndmask_b32_e32 v1, v1, v12, vcc
	v_lshlrev_b32_e32 v2, 24, v2
	v_lshlrev_b32_e32 v1, 20, v1
	v_and_b32_e32 v2, 0x80000000, v2
	v_lshl_add_u32 v6, v6, 23, v5
	v_or3_b32 v1, v2, v6, v1
.LBB4_6646:                             ;   in Loop: Header=BB4_6216 Depth=3
	s_or_b64 exec, exec, s[34:35]
.LBB4_6647:                             ;   in Loop: Header=BB4_6216 Depth=3
	s_or_b64 exec, exec, s[30:31]
.LBB4_6648:                             ;   in Loop: Header=BB4_6216 Depth=3
	s_or_b64 exec, exec, s[28:29]
	v_mul_f32_e32 v12, v15, v1
	v_and_b32_e32 v2, 0x7f800000, v12
	v_cmp_ne_u64_e32 vcc, s[62:63], v[2:3]
                                        ; implicit-def: $vgpr1
	s_and_saveexec_b64 s[28:29], vcc
	s_xor_b64 s[30:31], exec, s[28:29]
	s_cbranch_execz .LBB4_6662
; %bb.6649:                             ;   in Loop: Header=BB4_6216 Depth=3
	v_and_b32_e32 v2, 0x7fffffff, v12
	v_cmp_gt_u64_e32 vcc, s[72:73], v[2:3]
	v_and_b32_sdwa v6, v12, s70 dst_sel:DWORD dst_unused:UNUSED_PAD src0_sel:BYTE_3 src1_sel:DWORD
                                        ; implicit-def: $vgpr1
	s_and_saveexec_b64 s[28:29], vcc
	s_xor_b64 s[34:35], exec, s[28:29]
	s_cbranch_execz .LBB4_6659
; %bb.6650:                             ;   in Loop: Header=BB4_6216 Depth=3
	v_mov_b32_e32 v1, 0
	v_cmp_ne_u32_e32 vcc, 0, v12
	s_and_saveexec_b64 s[36:37], vcc
	s_cbranch_execz .LBB4_6658
; %bb.6651:                             ;   in Loop: Header=BB4_6216 Depth=3
	v_bfe_u32 v1, v12, 23, 8
	v_and_b32_e32 v2, 0x7fffff, v12
	v_cmp_gt_u32_e64 s[28:29], s71, v1
	v_sub_u32_e32 v12, 0x79, v1
	v_cmp_eq_u32_e32 vcc, 0, v1
	v_cndmask_b32_e64 v12, 0, v12, s[28:29]
	v_mov_b32_e32 v14, 0x78
	v_cndmask_b32_e32 v16, v12, v14, vcc
	v_or_b32_e32 v13, 0x800000, v2
	v_add_u32_e32 v12, 20, v16
	v_cndmask_b32_e32 v2, v13, v2, vcc
	v_lshlrev_b64 v[12:13], v12, -1
	v_add_u32_e32 v14, 19, v16
	v_lshlrev_b64 v[29:30], v14, 1
	v_bfi_b32 v13, v13, 0, 0
	v_bfi_b32 v12, v12, 0, v2
	v_cmp_eq_u64_e64 s[28:29], v[12:13], v[29:30]
	v_lshrrev_b64 v[12:13], v16, v[2:3]
	v_mov_b32_e32 v14, v13
	v_mov_b32_e32 v13, v12
	s_and_saveexec_b64 s[38:39], s[28:29]
; %bb.6652:                             ;   in Loop: Header=BB4_6216 Depth=3
	v_bfe_u32 v2, v12, 20, 1
	v_add_co_u32_e64 v2, s[28:29], v12, v2
	v_add_co_u32_e64 v13, s[28:29], -1, v2
; %bb.6653:                             ;   in Loop: Header=BB4_6216 Depth=3
	s_or_b64 exec, exec, s[38:39]
	v_add_u32_e32 v1, 0xffffff81, v1
	v_mov_b32_e32 v2, 0xffffff82
	v_cndmask_b32_e32 v1, v1, v2, vcc
	v_lshrrev_b32_e32 v2, 23, v12
	v_add3_u32 v16, v16, v1, v2
	v_add_u32_e32 v14, 6, v16
	v_and_b32_e32 v1, 0xfffff, v13
	v_add_u32_e32 v2, v1, v12
	v_cmp_ne_u32_e32 vcc, 0, v14
                                        ; implicit-def: $vgpr12_vgpr13
                                        ; implicit-def: $vgpr1
	s_and_saveexec_b64 s[28:29], vcc
	s_xor_b64 s[28:29], exec, s[28:29]
; %bb.6654:                             ;   in Loop: Header=BB4_6216 Depth=3
	v_cmp_lt_u64_e32 vcc, s[74:75], v[2:3]
	v_add_u32_e32 v1, 7, v16
	v_cndmask_b32_e64 v12, 0, 1, vcc
	v_lshrrev_b64 v[12:13], v12, v[2:3]
	v_cndmask_b32_e32 v1, v14, v1, vcc
; %bb.6655:                             ;   in Loop: Header=BB4_6216 Depth=3
	s_andn2_saveexec_b64 s[28:29], s[28:29]
; %bb.6656:                             ;   in Loop: Header=BB4_6216 Depth=3
	v_mov_b32_e32 v13, v3
	v_mov_b32_e32 v12, v2
	v_bfe_u32 v1, v2, 23, 1
; %bb.6657:                             ;   in Loop: Header=BB4_6216 Depth=3
	s_or_b64 exec, exec, s[28:29]
	v_lshrrev_b64 v[12:13], 20, v[12:13]
	v_cmp_gt_i32_e32 vcc, 16, v1
	v_cndmask_b32_e32 v13, 0, v13, vcc
	v_cndmask_b32_e32 v12, 7, v12, vcc
	v_cmp_eq_u32_e32 vcc, 0, v1
	v_min_i32_e32 v1, 15, v1
	v_cmp_eq_u64_e64 s[28:29], 0, v[12:13]
	v_lshlrev_b32_e32 v1, 3, v1
	v_and_b32_e32 v1, 0xf8, v1
	v_and_or_b32 v1, v12, 7, v1
	s_and_b64 s[28:29], vcc, s[28:29]
	v_cndmask_b32_e64 v1, v1, 0, s[28:29]
	v_or_b32_e32 v1, v1, v6
.LBB4_6658:                             ;   in Loop: Header=BB4_6216 Depth=3
	s_or_b64 exec, exec, s[36:37]
                                        ; implicit-def: $vgpr6
.LBB4_6659:                             ;   in Loop: Header=BB4_6216 Depth=3
	s_andn2_saveexec_b64 s[28:29], s[34:35]
; %bb.6660:                             ;   in Loop: Header=BB4_6216 Depth=3
	v_or_b32_e32 v1, 0x7e, v6
; %bb.6661:                             ;   in Loop: Header=BB4_6216 Depth=3
	s_or_b64 exec, exec, s[28:29]
                                        ; implicit-def: $vgpr12
.LBB4_6662:                             ;   in Loop: Header=BB4_6216 Depth=3
	s_andn2_saveexec_b64 s[28:29], s[30:31]
; %bb.6663:                             ;   in Loop: Header=BB4_6216 Depth=3
	v_or_b32_sdwa v1, v12, s68 dst_sel:DWORD dst_unused:UNUSED_PAD src0_sel:BYTE_3 src1_sel:DWORD
; %bb.6664:                             ;   in Loop: Header=BB4_6216 Depth=3
	s_or_b64 exec, exec, s[28:29]
	v_mov_b32_e32 v2, v9
	v_cmp_ne_u16_sdwa vcc, v9, v3 src0_sel:BYTE_0 src1_sel:DWORD
	v_mov_b32_e32 v6, 0
	s_and_saveexec_b64 s[28:29], vcc
	s_cbranch_execz .LBB4_6670
; %bb.6665:                             ;   in Loop: Header=BB4_6216 Depth=3
	v_cmp_ne_u16_sdwa vcc, v9, s70 src0_sel:BYTE_0 src1_sel:DWORD
	v_bfrev_b32_e32 v6, 1
	s_and_saveexec_b64 s[30:31], vcc
	s_cbranch_execz .LBB4_6669
; %bb.6666:                             ;   in Loop: Header=BB4_6216 Depth=3
	v_and_b32_e32 v12, 0x7f, v9
	v_cmp_ne_u32_e32 vcc, s68, v12
	v_mov_b32_e32 v6, 0x7f800001
	s_and_saveexec_b64 s[34:35], vcc
	s_cbranch_execz .LBB4_6668
; %bb.6667:                             ;   in Loop: Header=BB4_6216 Depth=3
	v_and_b32_e32 v6, 7, v9
	v_ffbh_u32_e32 v6, v6
	v_min_u32_e32 v6, 32, v6
	v_lshrrev_b32_e32 v13, 3, v12
	v_cmp_gt_u32_e32 vcc, 8, v12
	v_subrev_u32_e32 v12, 28, v6
	v_sub_u32_e32 v6, 29, v6
	v_cndmask_b32_e32 v12, 0, v12, vcc
	v_cndmask_b32_e32 v6, v13, v6, vcc
	v_lshlrev_b64 v[12:13], v12, v[2:3]
	v_lshlrev_b32_e32 v13, 24, v2
	v_lshlrev_b32_e32 v12, 20, v12
	v_and_b32_e32 v12, 0x700000, v12
	v_and_b32_e32 v13, 0x80000000, v13
	v_lshl_add_u32 v6, v6, 23, v5
	v_or3_b32 v6, v13, v6, v12
.LBB4_6668:                             ;   in Loop: Header=BB4_6216 Depth=3
	s_or_b64 exec, exec, s[34:35]
.LBB4_6669:                             ;   in Loop: Header=BB4_6216 Depth=3
	s_or_b64 exec, exec, s[30:31]
.LBB4_6670:                             ;   in Loop: Header=BB4_6216 Depth=3
	s_or_b64 exec, exec, s[28:29]
	v_mul_f32_e32 v12, v15, v6
	v_and_b32_e32 v13, 0x7f800000, v12
	v_mov_b32_e32 v14, v3
	v_cmp_ne_u64_e32 vcc, s[62:63], v[13:14]
                                        ; implicit-def: $vgpr20
	s_and_saveexec_b64 s[28:29], vcc
	s_xor_b64 s[30:31], exec, s[28:29]
	s_cbranch_execz .LBB4_6684
; %bb.6671:                             ;   in Loop: Header=BB4_6216 Depth=3
	v_and_b32_e32 v13, 0x7fffffff, v12
	v_mov_b32_e32 v14, v3
	v_cmp_gt_u64_e32 vcc, s[72:73], v[13:14]
	v_and_b32_sdwa v6, v12, s70 dst_sel:DWORD dst_unused:UNUSED_PAD src0_sel:BYTE_3 src1_sel:DWORD
                                        ; implicit-def: $vgpr20
	s_and_saveexec_b64 s[28:29], vcc
	s_xor_b64 s[34:35], exec, s[28:29]
	s_cbranch_execz .LBB4_6681
; %bb.6672:                             ;   in Loop: Header=BB4_6216 Depth=3
	v_mov_b32_e32 v20, 0
	v_cmp_ne_u32_e32 vcc, 0, v12
	s_and_saveexec_b64 s[36:37], vcc
	s_cbranch_execz .LBB4_6680
; %bb.6673:                             ;   in Loop: Header=BB4_6216 Depth=3
	v_bfe_u32 v16, v12, 23, 8
	v_and_b32_e32 v13, 0x7fffff, v12
	v_cmp_gt_u32_e64 s[28:29], s71, v16
	v_sub_u32_e32 v12, 0x79, v16
	v_cmp_eq_u32_e32 vcc, 0, v16
	v_cndmask_b32_e64 v12, 0, v12, s[28:29]
	v_mov_b32_e32 v20, 0x78
	v_or_b32_e32 v14, 0x800000, v13
	v_cndmask_b32_e32 v20, v12, v20, vcc
	v_cndmask_b32_e32 v12, v14, v13, vcc
	v_add_u32_e32 v14, 20, v20
	v_lshlrev_b64 v[29:30], v14, -1
	v_mov_b32_e32 v13, v3
	v_add_u32_e32 v14, 19, v20
	v_bfi_b32 v29, v29, 0, v12
	v_lshlrev_b64 v[49:50], v14, 1
	v_lshrrev_b64 v[12:13], v20, v[12:13]
	v_bfi_b32 v30, v30, 0, 0
	v_cmp_eq_u64_e64 s[28:29], v[29:30], v[49:50]
	v_mov_b32_e32 v14, v13
	v_mov_b32_e32 v13, v12
	s_and_saveexec_b64 s[38:39], s[28:29]
; %bb.6674:                             ;   in Loop: Header=BB4_6216 Depth=3
	v_bfe_u32 v13, v12, 20, 1
	v_add_co_u32_e64 v13, s[28:29], v12, v13
	v_add_co_u32_e64 v13, s[28:29], -1, v13
; %bb.6675:                             ;   in Loop: Header=BB4_6216 Depth=3
	s_or_b64 exec, exec, s[38:39]
	v_add_u32_e32 v14, 0xffffff81, v16
	v_mov_b32_e32 v16, 0xffffff82
	v_cndmask_b32_e32 v14, v14, v16, vcc
	v_lshrrev_b32_e32 v16, 23, v12
	v_add3_u32 v20, v20, v14, v16
	v_add_u32_e32 v16, 6, v20
	v_and_b32_e32 v13, 0xfffff, v13
	v_add_u32_e32 v12, v13, v12
	v_mov_b32_e32 v13, v3
	v_cmp_ne_u32_e32 vcc, 0, v16
                                        ; implicit-def: $vgpr14
	s_and_saveexec_b64 s[28:29], vcc
	s_xor_b64 s[28:29], exec, s[28:29]
; %bb.6676:                             ;   in Loop: Header=BB4_6216 Depth=3
	v_cmp_lt_u64_e32 vcc, s[74:75], v[12:13]
	v_add_u32_e32 v14, 7, v20
	v_cndmask_b32_e32 v14, v16, v14, vcc
	v_cndmask_b32_e64 v16, 0, 1, vcc
	v_lshrrev_b64 v[12:13], v16, v[12:13]
; %bb.6677:                             ;   in Loop: Header=BB4_6216 Depth=3
	s_andn2_saveexec_b64 s[28:29], s[28:29]
; %bb.6678:                             ;   in Loop: Header=BB4_6216 Depth=3
	v_bfe_u32 v14, v12, 23, 1
; %bb.6679:                             ;   in Loop: Header=BB4_6216 Depth=3
	s_or_b64 exec, exec, s[28:29]
	v_lshrrev_b64 v[12:13], 20, v[12:13]
	v_cmp_gt_i32_e32 vcc, 16, v14
	v_cndmask_b32_e32 v13, 0, v13, vcc
	v_cndmask_b32_e32 v12, 7, v12, vcc
	v_cmp_eq_u64_e64 s[28:29], 0, v[12:13]
	v_min_i32_e32 v13, 15, v14
	v_lshlrev_b32_e32 v13, 3, v13
	v_cmp_eq_u32_e32 vcc, 0, v14
	v_and_b32_e32 v13, 0xf8, v13
	v_and_or_b32 v12, v12, 7, v13
	s_and_b64 s[28:29], vcc, s[28:29]
	v_cndmask_b32_e64 v12, v12, 0, s[28:29]
	v_or_b32_e32 v20, v12, v6
.LBB4_6680:                             ;   in Loop: Header=BB4_6216 Depth=3
	s_or_b64 exec, exec, s[36:37]
                                        ; implicit-def: $vgpr6
.LBB4_6681:                             ;   in Loop: Header=BB4_6216 Depth=3
	s_andn2_saveexec_b64 s[28:29], s[34:35]
; %bb.6682:                             ;   in Loop: Header=BB4_6216 Depth=3
	v_or_b32_e32 v20, 0x7e, v6
; %bb.6683:                             ;   in Loop: Header=BB4_6216 Depth=3
	s_or_b64 exec, exec, s[28:29]
                                        ; implicit-def: $vgpr12
.LBB4_6684:                             ;   in Loop: Header=BB4_6216 Depth=3
	s_andn2_saveexec_b64 s[28:29], s[30:31]
; %bb.6685:                             ;   in Loop: Header=BB4_6216 Depth=3
	v_or_b32_sdwa v20, v12, s68 dst_sel:DWORD dst_unused:UNUSED_PAD src0_sel:BYTE_3 src1_sel:DWORD
; %bb.6686:                             ;   in Loop: Header=BB4_6216 Depth=3
	s_or_b64 exec, exec, s[28:29]
	v_lshrrev_b16_e32 v12, 8, v2
	v_cmp_ne_u16_e32 vcc, 0, v12
	v_mov_b32_e32 v6, 0
	s_and_saveexec_b64 s[28:29], vcc
	s_cbranch_execz .LBB4_6692
; %bb.6687:                             ;   in Loop: Header=BB4_6216 Depth=3
	v_cmp_ne_u16_e32 vcc, s70, v12
	v_bfrev_b32_e32 v6, 1
	s_and_saveexec_b64 s[30:31], vcc
	s_cbranch_execz .LBB4_6691
; %bb.6688:                             ;   in Loop: Header=BB4_6216 Depth=3
	v_and_b32_e32 v13, 0x7f, v12
	v_cmp_ne_u32_e32 vcc, s68, v13
	v_mov_b32_e32 v6, 0x7f800001
	s_and_saveexec_b64 s[34:35], vcc
	s_cbranch_execz .LBB4_6690
; %bb.6689:                             ;   in Loop: Header=BB4_6216 Depth=3
	v_and_b32_e32 v6, 7, v12
	v_lshrrev_b32_e32 v14, 3, v13
	v_cmp_gt_u32_e32 vcc, 8, v13
	v_ffbh_u32_e32 v13, v6
	v_min_u32_e32 v16, 32, v13
	v_subrev_u32_e32 v13, 28, v16
	v_lshlrev_b64 v[12:13], v13, v[12:13]
	v_sub_u32_e32 v13, 29, v16
	v_and_b32_e32 v12, 7, v12
	v_cndmask_b32_e32 v13, v14, v13, vcc
	v_cndmask_b32_e32 v6, v6, v12, vcc
	v_lshlrev_b32_e32 v2, 16, v2
	v_lshlrev_b32_e32 v6, 20, v6
	v_and_b32_e32 v2, 0x80000000, v2
	v_lshl_add_u32 v12, v13, 23, v5
	v_or3_b32 v6, v2, v12, v6
.LBB4_6690:                             ;   in Loop: Header=BB4_6216 Depth=3
	s_or_b64 exec, exec, s[34:35]
.LBB4_6691:                             ;   in Loop: Header=BB4_6216 Depth=3
	s_or_b64 exec, exec, s[30:31]
.LBB4_6692:                             ;   in Loop: Header=BB4_6216 Depth=3
	s_or_b64 exec, exec, s[28:29]
	v_mul_f32_e32 v12, v15, v6
	v_and_b32_e32 v2, 0x7f800000, v12
	v_cmp_ne_u64_e32 vcc, s[62:63], v[2:3]
                                        ; implicit-def: $vgpr2
                                        ; kill: killed $vgpr2
	s_and_saveexec_b64 s[28:29], vcc
	s_xor_b64 s[30:31], exec, s[28:29]
	s_cbranch_execz .LBB4_6706
; %bb.6693:                             ;   in Loop: Header=BB4_6216 Depth=3
	v_and_b32_e32 v2, 0x7fffffff, v12
	v_cmp_gt_u64_e32 vcc, s[72:73], v[2:3]
	v_and_b32_sdwa v6, v12, s70 dst_sel:DWORD dst_unused:UNUSED_PAD src0_sel:BYTE_3 src1_sel:DWORD
                                        ; implicit-def: $vgpr2
                                        ; kill: killed $vgpr2
	s_and_saveexec_b64 s[28:29], vcc
	s_xor_b64 s[34:35], exec, s[28:29]
	s_cbranch_execz .LBB4_6703
; %bb.6694:                             ;   in Loop: Header=BB4_6216 Depth=3
	v_mov_b32_e32 v2, 0
	v_cmp_ne_u32_e32 vcc, 0, v12
	buffer_store_dword v2, off, s[0:3], s33 offset:220 ; 4-byte Folded Spill
	s_and_saveexec_b64 s[36:37], vcc
	s_cbranch_execz .LBB4_6702
; %bb.6695:                             ;   in Loop: Header=BB4_6216 Depth=3
	v_bfe_u32 v16, v12, 23, 8
	v_and_b32_e32 v2, 0x7fffff, v12
	v_cmp_gt_u32_e64 s[28:29], s71, v16
	v_sub_u32_e32 v12, 0x79, v16
	v_cmp_eq_u32_e32 vcc, 0, v16
	v_cndmask_b32_e64 v12, 0, v12, s[28:29]
	v_mov_b32_e32 v14, 0x78
	v_cndmask_b32_e32 v24, v12, v14, vcc
	v_or_b32_e32 v13, 0x800000, v2
	v_add_u32_e32 v12, 20, v24
	v_cndmask_b32_e32 v2, v13, v2, vcc
	v_lshlrev_b64 v[12:13], v12, -1
	v_add_u32_e32 v14, 19, v24
	v_lshlrev_b64 v[29:30], v14, 1
	v_bfi_b32 v13, v13, 0, 0
	v_bfi_b32 v12, v12, 0, v2
	v_cmp_eq_u64_e64 s[28:29], v[12:13], v[29:30]
	v_lshrrev_b64 v[12:13], v24, v[2:3]
	v_mov_b32_e32 v14, v13
	v_mov_b32_e32 v13, v12
	s_and_saveexec_b64 s[38:39], s[28:29]
; %bb.6696:                             ;   in Loop: Header=BB4_6216 Depth=3
	v_bfe_u32 v2, v12, 20, 1
	v_add_co_u32_e64 v2, s[28:29], v12, v2
	v_add_co_u32_e64 v13, s[28:29], -1, v2
; %bb.6697:                             ;   in Loop: Header=BB4_6216 Depth=3
	s_or_b64 exec, exec, s[38:39]
	v_add_u32_e32 v2, 0xffffff81, v16
	v_mov_b32_e32 v14, 0xffffff82
	v_cndmask_b32_e32 v2, v2, v14, vcc
	v_lshrrev_b32_e32 v14, 23, v12
	v_add3_u32 v24, v24, v2, v14
	v_add_u32_e32 v16, 6, v24
	v_and_b32_e32 v2, 0xfffff, v13
	v_add_u32_e32 v2, v2, v12
	v_cmp_ne_u32_e32 vcc, 0, v16
                                        ; implicit-def: $vgpr12_vgpr13
                                        ; implicit-def: $vgpr14
	s_and_saveexec_b64 s[28:29], vcc
	s_xor_b64 s[28:29], exec, s[28:29]
; %bb.6698:                             ;   in Loop: Header=BB4_6216 Depth=3
	v_cmp_lt_u64_e32 vcc, s[74:75], v[2:3]
	v_add_u32_e32 v12, 7, v24
	v_cndmask_b32_e32 v14, v16, v12, vcc
	v_cndmask_b32_e64 v12, 0, 1, vcc
	v_lshrrev_b64 v[12:13], v12, v[2:3]
; %bb.6699:                             ;   in Loop: Header=BB4_6216 Depth=3
	s_andn2_saveexec_b64 s[28:29], s[28:29]
; %bb.6700:                             ;   in Loop: Header=BB4_6216 Depth=3
	v_mov_b32_e32 v13, v3
	v_mov_b32_e32 v12, v2
	v_bfe_u32 v14, v2, 23, 1
; %bb.6701:                             ;   in Loop: Header=BB4_6216 Depth=3
	s_or_b64 exec, exec, s[28:29]
	v_lshrrev_b64 v[12:13], 20, v[12:13]
	v_cmp_gt_i32_e32 vcc, 16, v14
	v_cndmask_b32_e32 v13, 0, v13, vcc
	v_cndmask_b32_e32 v12, 7, v12, vcc
	v_min_i32_e32 v2, 15, v14
	v_cmp_eq_u64_e64 s[28:29], 0, v[12:13]
	v_lshlrev_b32_e32 v2, 3, v2
	v_cmp_eq_u32_e32 vcc, 0, v14
	v_and_b32_e32 v2, 0xf8, v2
	v_and_or_b32 v2, v12, 7, v2
	s_and_b64 s[28:29], vcc, s[28:29]
	v_cndmask_b32_e64 v2, v2, 0, s[28:29]
	v_or_b32_e32 v2, v2, v6
	buffer_store_dword v2, off, s[0:3], s33 offset:220 ; 4-byte Folded Spill
.LBB4_6702:                             ;   in Loop: Header=BB4_6216 Depth=3
	s_or_b64 exec, exec, s[36:37]
                                        ; implicit-def: $vgpr6
.LBB4_6703:                             ;   in Loop: Header=BB4_6216 Depth=3
	s_andn2_saveexec_b64 s[28:29], s[34:35]
	s_cbranch_execz .LBB4_6705
; %bb.6704:                             ;   in Loop: Header=BB4_6216 Depth=3
	v_or_b32_e32 v2, 0x7e, v6
	buffer_store_dword v2, off, s[0:3], s33 offset:220 ; 4-byte Folded Spill
.LBB4_6705:                             ;   in Loop: Header=BB4_6216 Depth=3
	s_or_b64 exec, exec, s[28:29]
                                        ; implicit-def: $vgpr12
.LBB4_6706:                             ;   in Loop: Header=BB4_6216 Depth=3
	s_andn2_saveexec_b64 s[28:29], s[30:31]
	s_cbranch_execz .LBB4_6708
; %bb.6707:                             ;   in Loop: Header=BB4_6216 Depth=3
	v_or_b32_sdwa v2, v12, s68 dst_sel:DWORD dst_unused:UNUSED_PAD src0_sel:BYTE_3 src1_sel:DWORD
	buffer_store_dword v2, off, s[0:3], s33 offset:220 ; 4-byte Folded Spill
.LBB4_6708:                             ;   in Loop: Header=BB4_6216 Depth=3
	s_or_b64 exec, exec, s[28:29]
	v_lshrrev_b32_e32 v2, 16, v9
	v_cmp_ne_u16_sdwa vcc, v2, v3 src0_sel:BYTE_0 src1_sel:DWORD
	v_mov_b32_e32 v6, 0
	s_and_saveexec_b64 s[28:29], vcc
	s_cbranch_execz .LBB4_6714
; %bb.6709:                             ;   in Loop: Header=BB4_6216 Depth=3
	v_cmp_ne_u16_sdwa vcc, v2, s70 src0_sel:BYTE_0 src1_sel:DWORD
	v_bfrev_b32_e32 v6, 1
	s_and_saveexec_b64 s[30:31], vcc
	s_cbranch_execz .LBB4_6713
; %bb.6710:                             ;   in Loop: Header=BB4_6216 Depth=3
	v_bfe_u32 v12, v9, 16, 7
	v_cmp_ne_u32_e32 vcc, s68, v12
	v_mov_b32_e32 v6, 0x7f800001
	s_and_saveexec_b64 s[34:35], vcc
	s_cbranch_execz .LBB4_6712
; %bb.6711:                             ;   in Loop: Header=BB4_6216 Depth=3
	v_and_b32_e32 v6, 7, v2
	v_lshrrev_b32_e32 v14, 3, v12
	v_cmp_gt_u32_e32 vcc, 8, v12
	v_ffbh_u32_e32 v12, v6
	v_min_u32_e32 v16, 32, v12
	v_subrev_u32_e32 v12, 28, v16
	v_lshlrev_b64 v[12:13], v12, v[2:3]
	v_sub_u32_e32 v13, 29, v16
	v_and_b32_e32 v12, 7, v12
	v_cndmask_b32_e32 v13, v14, v13, vcc
	v_cndmask_b32_e32 v6, v6, v12, vcc
	v_lshlrev_b32_e32 v2, 24, v2
	v_lshlrev_b32_e32 v6, 20, v6
	v_and_b32_e32 v2, 0x80000000, v2
	v_lshl_add_u32 v12, v13, 23, v5
	v_or3_b32 v6, v2, v12, v6
.LBB4_6712:                             ;   in Loop: Header=BB4_6216 Depth=3
	s_or_b64 exec, exec, s[34:35]
.LBB4_6713:                             ;   in Loop: Header=BB4_6216 Depth=3
	s_or_b64 exec, exec, s[30:31]
.LBB4_6714:                             ;   in Loop: Header=BB4_6216 Depth=3
	s_or_b64 exec, exec, s[28:29]
	v_mul_f32_e32 v12, v15, v6
	v_and_b32_e32 v2, 0x7f800000, v12
	v_cmp_ne_u64_e32 vcc, s[62:63], v[2:3]
                                        ; implicit-def: $vgpr31
	s_and_saveexec_b64 s[28:29], vcc
	s_xor_b64 s[30:31], exec, s[28:29]
	s_cbranch_execz .LBB4_6728
; %bb.6715:                             ;   in Loop: Header=BB4_6216 Depth=3
	v_and_b32_e32 v2, 0x7fffffff, v12
	v_cmp_gt_u64_e32 vcc, s[72:73], v[2:3]
	v_and_b32_sdwa v6, v12, s70 dst_sel:DWORD dst_unused:UNUSED_PAD src0_sel:BYTE_3 src1_sel:DWORD
                                        ; implicit-def: $vgpr31
	s_and_saveexec_b64 s[28:29], vcc
	s_xor_b64 s[34:35], exec, s[28:29]
	s_cbranch_execz .LBB4_6725
; %bb.6716:                             ;   in Loop: Header=BB4_6216 Depth=3
	v_mov_b32_e32 v31, 0
	v_cmp_ne_u32_e32 vcc, 0, v12
	s_and_saveexec_b64 s[36:37], vcc
	s_cbranch_execz .LBB4_6724
; %bb.6717:                             ;   in Loop: Header=BB4_6216 Depth=3
	v_bfe_u32 v16, v12, 23, 8
	v_and_b32_e32 v2, 0x7fffff, v12
	v_cmp_gt_u32_e64 s[28:29], s71, v16
	v_sub_u32_e32 v12, 0x79, v16
	v_cmp_eq_u32_e32 vcc, 0, v16
	v_cndmask_b32_e64 v12, 0, v12, s[28:29]
	v_mov_b32_e32 v14, 0x78
	v_cndmask_b32_e32 v24, v12, v14, vcc
	v_or_b32_e32 v13, 0x800000, v2
	v_add_u32_e32 v12, 20, v24
	v_cndmask_b32_e32 v2, v13, v2, vcc
	v_lshlrev_b64 v[12:13], v12, -1
	v_add_u32_e32 v14, 19, v24
	v_lshlrev_b64 v[29:30], v14, 1
	v_bfi_b32 v13, v13, 0, 0
	v_bfi_b32 v12, v12, 0, v2
	v_cmp_eq_u64_e64 s[28:29], v[12:13], v[29:30]
	v_lshrrev_b64 v[12:13], v24, v[2:3]
	v_mov_b32_e32 v14, v13
	v_mov_b32_e32 v13, v12
	s_and_saveexec_b64 s[38:39], s[28:29]
; %bb.6718:                             ;   in Loop: Header=BB4_6216 Depth=3
	v_bfe_u32 v2, v12, 20, 1
	v_add_co_u32_e64 v2, s[28:29], v12, v2
	v_add_co_u32_e64 v13, s[28:29], -1, v2
; %bb.6719:                             ;   in Loop: Header=BB4_6216 Depth=3
	s_or_b64 exec, exec, s[38:39]
	v_add_u32_e32 v2, 0xffffff81, v16
	v_mov_b32_e32 v14, 0xffffff82
	v_cndmask_b32_e32 v2, v2, v14, vcc
	v_lshrrev_b32_e32 v14, 23, v12
	v_add3_u32 v24, v24, v2, v14
	v_add_u32_e32 v16, 6, v24
	v_and_b32_e32 v2, 0xfffff, v13
	v_add_u32_e32 v2, v2, v12
	v_cmp_ne_u32_e32 vcc, 0, v16
                                        ; implicit-def: $vgpr12_vgpr13
                                        ; implicit-def: $vgpr14
	s_and_saveexec_b64 s[28:29], vcc
	s_xor_b64 s[28:29], exec, s[28:29]
; %bb.6720:                             ;   in Loop: Header=BB4_6216 Depth=3
	v_cmp_lt_u64_e32 vcc, s[74:75], v[2:3]
	v_add_u32_e32 v12, 7, v24
	v_cndmask_b32_e32 v14, v16, v12, vcc
	v_cndmask_b32_e64 v12, 0, 1, vcc
	v_lshrrev_b64 v[12:13], v12, v[2:3]
; %bb.6721:                             ;   in Loop: Header=BB4_6216 Depth=3
	s_andn2_saveexec_b64 s[28:29], s[28:29]
; %bb.6722:                             ;   in Loop: Header=BB4_6216 Depth=3
	v_mov_b32_e32 v13, v3
	v_mov_b32_e32 v12, v2
	v_bfe_u32 v14, v2, 23, 1
; %bb.6723:                             ;   in Loop: Header=BB4_6216 Depth=3
	s_or_b64 exec, exec, s[28:29]
	v_lshrrev_b64 v[12:13], 20, v[12:13]
	v_cmp_gt_i32_e32 vcc, 16, v14
	v_cndmask_b32_e32 v13, 0, v13, vcc
	v_cndmask_b32_e32 v12, 7, v12, vcc
	v_min_i32_e32 v2, 15, v14
	v_cmp_eq_u64_e64 s[28:29], 0, v[12:13]
	v_lshlrev_b32_e32 v2, 3, v2
	v_cmp_eq_u32_e32 vcc, 0, v14
	v_and_b32_e32 v2, 0xf8, v2
	v_and_or_b32 v2, v12, 7, v2
	s_and_b64 s[28:29], vcc, s[28:29]
	v_cndmask_b32_e64 v2, v2, 0, s[28:29]
	v_or_b32_e32 v31, v2, v6
.LBB4_6724:                             ;   in Loop: Header=BB4_6216 Depth=3
	s_or_b64 exec, exec, s[36:37]
                                        ; implicit-def: $vgpr6
.LBB4_6725:                             ;   in Loop: Header=BB4_6216 Depth=3
	s_andn2_saveexec_b64 s[28:29], s[34:35]
; %bb.6726:                             ;   in Loop: Header=BB4_6216 Depth=3
	v_or_b32_e32 v31, 0x7e, v6
; %bb.6727:                             ;   in Loop: Header=BB4_6216 Depth=3
	s_or_b64 exec, exec, s[28:29]
                                        ; implicit-def: $vgpr12
.LBB4_6728:                             ;   in Loop: Header=BB4_6216 Depth=3
	s_andn2_saveexec_b64 s[28:29], s[30:31]
; %bb.6729:                             ;   in Loop: Header=BB4_6216 Depth=3
	v_or_b32_sdwa v31, v12, s68 dst_sel:DWORD dst_unused:UNUSED_PAD src0_sel:BYTE_3 src1_sel:DWORD
; %bb.6730:                             ;   in Loop: Header=BB4_6216 Depth=3
	s_or_b64 exec, exec, s[28:29]
	v_cmp_lt_u64_e32 vcc, s[56:57], v[8:9]
	v_mov_b32_e32 v6, 0
	s_and_saveexec_b64 s[28:29], vcc
	s_cbranch_execz .LBB4_6736
; %bb.6731:                             ;   in Loop: Header=BB4_6216 Depth=3
	v_lshrrev_b32_e32 v2, 24, v9
	v_cmp_ne_u32_e32 vcc, s70, v2
	v_bfrev_b32_e32 v6, 1
	s_and_saveexec_b64 s[30:31], vcc
	s_cbranch_execz .LBB4_6735
; %bb.6732:                             ;   in Loop: Header=BB4_6216 Depth=3
	v_bfe_u32 v8, v9, 24, 7
	v_cmp_ne_u32_e32 vcc, s68, v8
	v_mov_b32_e32 v6, 0x7f800001
	s_and_saveexec_b64 s[34:35], vcc
	s_cbranch_execz .LBB4_6734
; %bb.6733:                             ;   in Loop: Header=BB4_6216 Depth=3
	v_and_b32_e32 v6, 7, v2
	v_lshrrev_b32_e32 v12, 3, v8
	v_cmp_gt_u32_e32 vcc, 8, v8
	v_ffbh_u32_e32 v8, v6
	v_min_u32_e32 v13, 32, v8
	v_subrev_u32_e32 v8, 28, v13
	v_lshlrev_b64 v[8:9], v8, v[2:3]
	v_sub_u32_e32 v9, 29, v13
	v_and_b32_e32 v8, 7, v8
	v_cndmask_b32_e32 v9, v12, v9, vcc
	v_cndmask_b32_e32 v6, v6, v8, vcc
	v_lshlrev_b32_e32 v2, 24, v2
	v_lshlrev_b32_e32 v6, 20, v6
	v_and_b32_e32 v2, 0x80000000, v2
	v_lshl_add_u32 v8, v9, 23, v5
	v_or3_b32 v6, v2, v8, v6
.LBB4_6734:                             ;   in Loop: Header=BB4_6216 Depth=3
	s_or_b64 exec, exec, s[34:35]
.LBB4_6735:                             ;   in Loop: Header=BB4_6216 Depth=3
	s_or_b64 exec, exec, s[30:31]
.LBB4_6736:                             ;   in Loop: Header=BB4_6216 Depth=3
	s_or_b64 exec, exec, s[28:29]
	v_mul_f32_e32 v8, v15, v6
	v_and_b32_e32 v2, 0x7f800000, v8
	v_cmp_ne_u64_e32 vcc, s[62:63], v[2:3]
                                        ; implicit-def: $vgpr40
	s_and_saveexec_b64 s[28:29], vcc
	s_xor_b64 s[30:31], exec, s[28:29]
	s_cbranch_execz .LBB4_6750
; %bb.6737:                             ;   in Loop: Header=BB4_6216 Depth=3
	v_and_b32_e32 v2, 0x7fffffff, v8
	v_cmp_gt_u64_e32 vcc, s[72:73], v[2:3]
	v_and_b32_sdwa v6, v8, s70 dst_sel:DWORD dst_unused:UNUSED_PAD src0_sel:BYTE_3 src1_sel:DWORD
                                        ; implicit-def: $vgpr40
	s_and_saveexec_b64 s[28:29], vcc
	s_xor_b64 s[34:35], exec, s[28:29]
	s_cbranch_execz .LBB4_6747
; %bb.6738:                             ;   in Loop: Header=BB4_6216 Depth=3
	v_mov_b32_e32 v40, 0
	v_cmp_ne_u32_e32 vcc, 0, v8
	s_and_saveexec_b64 s[36:37], vcc
	s_cbranch_execz .LBB4_6746
; %bb.6739:                             ;   in Loop: Header=BB4_6216 Depth=3
	v_bfe_u32 v14, v8, 23, 8
	v_and_b32_e32 v2, 0x7fffff, v8
	v_cmp_gt_u32_e64 s[28:29], s71, v14
	v_sub_u32_e32 v8, 0x79, v14
	v_cmp_eq_u32_e32 vcc, 0, v14
	v_cndmask_b32_e64 v8, 0, v8, s[28:29]
	v_mov_b32_e32 v12, 0x78
	v_cndmask_b32_e32 v16, v8, v12, vcc
	v_or_b32_e32 v9, 0x800000, v2
	v_add_u32_e32 v8, 20, v16
	v_cndmask_b32_e32 v2, v9, v2, vcc
	v_lshlrev_b64 v[8:9], v8, -1
	v_add_u32_e32 v12, 19, v16
	v_lshlrev_b64 v[12:13], v12, 1
	v_bfi_b32 v9, v9, 0, 0
	v_bfi_b32 v8, v8, 0, v2
	v_cmp_eq_u64_e64 s[28:29], v[8:9], v[12:13]
	v_lshrrev_b64 v[8:9], v16, v[2:3]
	v_mov_b32_e32 v13, v9
	v_mov_b32_e32 v12, v8
	s_and_saveexec_b64 s[38:39], s[28:29]
; %bb.6740:                             ;   in Loop: Header=BB4_6216 Depth=3
	v_bfe_u32 v2, v8, 20, 1
	v_add_co_u32_e64 v2, s[28:29], v8, v2
	v_add_co_u32_e64 v12, s[28:29], -1, v2
; %bb.6741:                             ;   in Loop: Header=BB4_6216 Depth=3
	s_or_b64 exec, exec, s[38:39]
	v_add_u32_e32 v2, 0xffffff81, v14
	v_mov_b32_e32 v9, 0xffffff82
	v_cndmask_b32_e32 v2, v2, v9, vcc
	v_lshrrev_b32_e32 v9, 23, v8
	v_add3_u32 v14, v16, v2, v9
	v_add_u32_e32 v13, 6, v14
	v_and_b32_e32 v2, 0xfffff, v12
	v_add_u32_e32 v2, v2, v8
	v_cmp_ne_u32_e32 vcc, 0, v13
                                        ; implicit-def: $vgpr8_vgpr9
                                        ; implicit-def: $vgpr12
	s_and_saveexec_b64 s[28:29], vcc
	s_xor_b64 s[28:29], exec, s[28:29]
; %bb.6742:                             ;   in Loop: Header=BB4_6216 Depth=3
	v_cmp_lt_u64_e32 vcc, s[74:75], v[2:3]
	v_add_u32_e32 v8, 7, v14
	v_cndmask_b32_e32 v12, v13, v8, vcc
	v_cndmask_b32_e64 v8, 0, 1, vcc
	v_lshrrev_b64 v[8:9], v8, v[2:3]
; %bb.6743:                             ;   in Loop: Header=BB4_6216 Depth=3
	s_andn2_saveexec_b64 s[28:29], s[28:29]
; %bb.6744:                             ;   in Loop: Header=BB4_6216 Depth=3
	v_mov_b32_e32 v9, v3
	v_mov_b32_e32 v8, v2
	v_bfe_u32 v12, v2, 23, 1
; %bb.6745:                             ;   in Loop: Header=BB4_6216 Depth=3
	s_or_b64 exec, exec, s[28:29]
	v_lshrrev_b64 v[8:9], 20, v[8:9]
	v_cmp_gt_i32_e32 vcc, 16, v12
	v_cndmask_b32_e32 v9, 0, v9, vcc
	v_cndmask_b32_e32 v8, 7, v8, vcc
	v_min_i32_e32 v2, 15, v12
	v_cmp_eq_u64_e64 s[28:29], 0, v[8:9]
	v_lshlrev_b32_e32 v2, 3, v2
	v_cmp_eq_u32_e32 vcc, 0, v12
	v_and_b32_e32 v2, 0xf8, v2
	v_and_or_b32 v2, v8, 7, v2
	s_and_b64 s[28:29], vcc, s[28:29]
	v_cndmask_b32_e64 v2, v2, 0, s[28:29]
	v_or_b32_e32 v40, v2, v6
.LBB4_6746:                             ;   in Loop: Header=BB4_6216 Depth=3
	s_or_b64 exec, exec, s[36:37]
                                        ; implicit-def: $vgpr6
.LBB4_6747:                             ;   in Loop: Header=BB4_6216 Depth=3
	s_andn2_saveexec_b64 s[28:29], s[34:35]
; %bb.6748:                             ;   in Loop: Header=BB4_6216 Depth=3
	v_or_b32_e32 v40, 0x7e, v6
; %bb.6749:                             ;   in Loop: Header=BB4_6216 Depth=3
	s_or_b64 exec, exec, s[28:29]
                                        ; implicit-def: $vgpr8
.LBB4_6750:                             ;   in Loop: Header=BB4_6216 Depth=3
	s_andn2_saveexec_b64 s[28:29], s[30:31]
; %bb.6751:                             ;   in Loop: Header=BB4_6216 Depth=3
	v_or_b32_sdwa v40, v8, s68 dst_sel:DWORD dst_unused:UNUSED_PAD src0_sel:BYTE_3 src1_sel:DWORD
; %bb.6752:                             ;   in Loop: Header=BB4_6216 Depth=3
	s_or_b64 exec, exec, s[28:29]
	v_cmp_ne_u16_sdwa vcc, v10, v3 src0_sel:BYTE_0 src1_sel:DWORD
	v_mov_b32_e32 v2, 0
	s_and_saveexec_b64 s[28:29], vcc
	s_cbranch_execz .LBB4_6758
; %bb.6753:                             ;   in Loop: Header=BB4_6216 Depth=3
	v_cmp_ne_u16_sdwa vcc, v10, s70 src0_sel:BYTE_0 src1_sel:DWORD
	v_bfrev_b32_e32 v2, 1
	s_and_saveexec_b64 s[30:31], vcc
	s_cbranch_execz .LBB4_6757
; %bb.6754:                             ;   in Loop: Header=BB4_6216 Depth=3
	v_and_b32_e32 v6, 0x7f, v10
	v_cmp_ne_u32_e32 vcc, s68, v6
	v_mov_b32_e32 v2, 0x7f800001
	s_and_saveexec_b64 s[34:35], vcc
	s_cbranch_execz .LBB4_6756
; %bb.6755:                             ;   in Loop: Header=BB4_6216 Depth=3
	v_and_b32_e32 v2, 7, v10
	v_ffbh_u32_e32 v2, v2
	v_min_u32_e32 v2, 32, v2
	v_lshrrev_b32_e32 v8, 3, v6
	v_cmp_gt_u32_e32 vcc, 8, v6
	v_subrev_u32_e32 v6, 28, v2
	v_sub_u32_e32 v2, 29, v2
	v_cndmask_b32_e32 v6, 0, v6, vcc
	v_cndmask_b32_e32 v2, v8, v2, vcc
	v_lshlrev_b64 v[8:9], v6, v[10:11]
	v_lshl_add_u32 v2, v2, 23, v5
	v_lshlrev_b32_e32 v6, 20, v8
	v_lshlrev_b32_e32 v8, 24, v10
	v_and_b32_e32 v6, 0x700000, v6
	v_and_b32_e32 v8, 0x80000000, v8
	v_or3_b32 v2, v8, v2, v6
.LBB4_6756:                             ;   in Loop: Header=BB4_6216 Depth=3
	s_or_b64 exec, exec, s[34:35]
.LBB4_6757:                             ;   in Loop: Header=BB4_6216 Depth=3
	s_or_b64 exec, exec, s[30:31]
.LBB4_6758:                             ;   in Loop: Header=BB4_6216 Depth=3
	s_or_b64 exec, exec, s[28:29]
	v_mul_f32_e32 v8, v15, v2
	v_and_b32_e32 v2, 0x7f800000, v8
	v_cmp_ne_u64_e32 vcc, s[62:63], v[2:3]
                                        ; implicit-def: $vgpr16
	s_and_saveexec_b64 s[28:29], vcc
	s_xor_b64 s[30:31], exec, s[28:29]
	s_cbranch_execz .LBB4_6772
; %bb.6759:                             ;   in Loop: Header=BB4_6216 Depth=3
	v_and_b32_e32 v2, 0x7fffffff, v8
	v_cmp_gt_u64_e32 vcc, s[72:73], v[2:3]
	v_and_b32_sdwa v6, v8, s70 dst_sel:DWORD dst_unused:UNUSED_PAD src0_sel:BYTE_3 src1_sel:DWORD
                                        ; implicit-def: $vgpr16
	s_and_saveexec_b64 s[28:29], vcc
	s_xor_b64 s[34:35], exec, s[28:29]
	s_cbranch_execz .LBB4_6769
; %bb.6760:                             ;   in Loop: Header=BB4_6216 Depth=3
	v_mov_b32_e32 v16, 0
	v_cmp_ne_u32_e32 vcc, 0, v8
	s_and_saveexec_b64 s[36:37], vcc
	s_cbranch_execz .LBB4_6768
; %bb.6761:                             ;   in Loop: Header=BB4_6216 Depth=3
	v_bfe_u32 v14, v8, 23, 8
	v_and_b32_e32 v2, 0x7fffff, v8
	v_cmp_gt_u32_e64 s[28:29], s71, v14
	v_sub_u32_e32 v8, 0x79, v14
	v_cmp_eq_u32_e32 vcc, 0, v14
	v_cndmask_b32_e64 v8, 0, v8, s[28:29]
	v_mov_b32_e32 v12, 0x78
	v_cndmask_b32_e32 v16, v8, v12, vcc
	v_or_b32_e32 v9, 0x800000, v2
	v_add_u32_e32 v8, 20, v16
	v_cndmask_b32_e32 v2, v9, v2, vcc
	v_lshlrev_b64 v[8:9], v8, -1
	v_add_u32_e32 v12, 19, v16
	v_lshlrev_b64 v[12:13], v12, 1
	v_bfi_b32 v9, v9, 0, 0
	v_bfi_b32 v8, v8, 0, v2
	v_cmp_eq_u64_e64 s[28:29], v[8:9], v[12:13]
	v_lshrrev_b64 v[8:9], v16, v[2:3]
	v_mov_b32_e32 v13, v9
	v_mov_b32_e32 v12, v8
	s_and_saveexec_b64 s[38:39], s[28:29]
; %bb.6762:                             ;   in Loop: Header=BB4_6216 Depth=3
	v_bfe_u32 v2, v8, 20, 1
	v_add_co_u32_e64 v2, s[28:29], v8, v2
	v_add_co_u32_e64 v12, s[28:29], -1, v2
; %bb.6763:                             ;   in Loop: Header=BB4_6216 Depth=3
	s_or_b64 exec, exec, s[38:39]
	v_add_u32_e32 v2, 0xffffff81, v14
	v_mov_b32_e32 v9, 0xffffff82
	v_cndmask_b32_e32 v2, v2, v9, vcc
	v_lshrrev_b32_e32 v9, 23, v8
	v_add3_u32 v14, v16, v2, v9
	v_add_u32_e32 v13, 6, v14
	v_and_b32_e32 v2, 0xfffff, v12
	v_add_u32_e32 v2, v2, v8
	v_cmp_ne_u32_e32 vcc, 0, v13
                                        ; implicit-def: $vgpr8_vgpr9
                                        ; implicit-def: $vgpr12
	s_and_saveexec_b64 s[28:29], vcc
	s_xor_b64 s[28:29], exec, s[28:29]
; %bb.6764:                             ;   in Loop: Header=BB4_6216 Depth=3
	v_cmp_lt_u64_e32 vcc, s[74:75], v[2:3]
	v_add_u32_e32 v8, 7, v14
	v_cndmask_b32_e32 v12, v13, v8, vcc
	v_cndmask_b32_e64 v8, 0, 1, vcc
	v_lshrrev_b64 v[8:9], v8, v[2:3]
; %bb.6765:                             ;   in Loop: Header=BB4_6216 Depth=3
	s_andn2_saveexec_b64 s[28:29], s[28:29]
; %bb.6766:                             ;   in Loop: Header=BB4_6216 Depth=3
	v_mov_b32_e32 v9, v3
	v_mov_b32_e32 v8, v2
	v_bfe_u32 v12, v2, 23, 1
; %bb.6767:                             ;   in Loop: Header=BB4_6216 Depth=3
	s_or_b64 exec, exec, s[28:29]
	v_lshrrev_b64 v[8:9], 20, v[8:9]
	v_cmp_gt_i32_e32 vcc, 16, v12
	v_cndmask_b32_e32 v9, 0, v9, vcc
	v_cndmask_b32_e32 v8, 7, v8, vcc
	v_min_i32_e32 v2, 15, v12
	v_cmp_eq_u64_e64 s[28:29], 0, v[8:9]
	v_lshlrev_b32_e32 v2, 3, v2
	v_cmp_eq_u32_e32 vcc, 0, v12
	v_and_b32_e32 v2, 0xf8, v2
	v_and_or_b32 v2, v8, 7, v2
	s_and_b64 s[28:29], vcc, s[28:29]
	v_cndmask_b32_e64 v2, v2, 0, s[28:29]
	v_or_b32_e32 v16, v2, v6
.LBB4_6768:                             ;   in Loop: Header=BB4_6216 Depth=3
	s_or_b64 exec, exec, s[36:37]
                                        ; implicit-def: $vgpr6
.LBB4_6769:                             ;   in Loop: Header=BB4_6216 Depth=3
	s_andn2_saveexec_b64 s[28:29], s[34:35]
; %bb.6770:                             ;   in Loop: Header=BB4_6216 Depth=3
	v_or_b32_e32 v16, 0x7e, v6
; %bb.6771:                             ;   in Loop: Header=BB4_6216 Depth=3
	s_or_b64 exec, exec, s[28:29]
                                        ; implicit-def: $vgpr8
.LBB4_6772:                             ;   in Loop: Header=BB4_6216 Depth=3
	s_andn2_saveexec_b64 s[28:29], s[30:31]
; %bb.6773:                             ;   in Loop: Header=BB4_6216 Depth=3
	v_or_b32_sdwa v16, v8, s68 dst_sel:DWORD dst_unused:UNUSED_PAD src0_sel:BYTE_3 src1_sel:DWORD
; %bb.6774:                             ;   in Loop: Header=BB4_6216 Depth=3
	s_or_b64 exec, exec, s[28:29]
	v_lshrrev_b16_e32 v2, 8, v10
	v_cmp_ne_u16_e32 vcc, 0, v2
	v_mov_b32_e32 v6, 0
	s_and_saveexec_b64 s[28:29], vcc
	s_cbranch_execz .LBB4_6780
; %bb.6775:                             ;   in Loop: Header=BB4_6216 Depth=3
	v_cmp_ne_u16_e32 vcc, s70, v2
	v_bfrev_b32_e32 v6, 1
	s_and_saveexec_b64 s[30:31], vcc
	s_cbranch_execz .LBB4_6779
; %bb.6776:                             ;   in Loop: Header=BB4_6216 Depth=3
	v_and_b32_e32 v8, 0x7f, v2
	v_cmp_ne_u32_e32 vcc, s68, v8
	v_mov_b32_e32 v6, 0x7f800001
	s_and_saveexec_b64 s[34:35], vcc
	s_cbranch_execz .LBB4_6778
; %bb.6777:                             ;   in Loop: Header=BB4_6216 Depth=3
	v_and_b32_e32 v6, 7, v2
	v_lshrrev_b32_e32 v12, 3, v8
	v_cmp_gt_u32_e32 vcc, 8, v8
	v_ffbh_u32_e32 v8, v6
	v_min_u32_e32 v13, 32, v8
	v_subrev_u32_e32 v8, 28, v13
	v_lshlrev_b64 v[8:9], v8, v[2:3]
	v_sub_u32_e32 v2, 29, v13
	v_and_b32_e32 v8, 7, v8
	v_cndmask_b32_e32 v2, v12, v2, vcc
	v_cndmask_b32_e32 v6, v6, v8, vcc
	v_lshlrev_b32_e32 v8, 16, v10
	v_lshlrev_b32_e32 v6, 20, v6
	v_and_b32_e32 v8, 0x80000000, v8
	v_lshl_add_u32 v2, v2, 23, v5
	v_or3_b32 v6, v8, v2, v6
.LBB4_6778:                             ;   in Loop: Header=BB4_6216 Depth=3
	s_or_b64 exec, exec, s[34:35]
.LBB4_6779:                             ;   in Loop: Header=BB4_6216 Depth=3
	s_or_b64 exec, exec, s[30:31]
.LBB4_6780:                             ;   in Loop: Header=BB4_6216 Depth=3
	s_or_b64 exec, exec, s[28:29]
	v_mul_f32_e32 v8, v15, v6
	v_and_b32_e32 v2, 0x7f800000, v8
	v_cmp_ne_u64_e32 vcc, s[62:63], v[2:3]
                                        ; implicit-def: $vgpr2
                                        ; kill: killed $vgpr2
	s_and_saveexec_b64 s[28:29], vcc
	s_xor_b64 s[30:31], exec, s[28:29]
	s_cbranch_execz .LBB4_6794
; %bb.6781:                             ;   in Loop: Header=BB4_6216 Depth=3
	v_and_b32_e32 v2, 0x7fffffff, v8
	v_cmp_gt_u64_e32 vcc, s[72:73], v[2:3]
	v_and_b32_sdwa v6, v8, s70 dst_sel:DWORD dst_unused:UNUSED_PAD src0_sel:BYTE_3 src1_sel:DWORD
                                        ; implicit-def: $vgpr2
                                        ; kill: killed $vgpr2
	s_and_saveexec_b64 s[28:29], vcc
	s_xor_b64 s[34:35], exec, s[28:29]
	s_cbranch_execz .LBB4_6791
; %bb.6782:                             ;   in Loop: Header=BB4_6216 Depth=3
	v_mov_b32_e32 v2, 0
	v_cmp_ne_u32_e32 vcc, 0, v8
	buffer_store_dword v2, off, s[0:3], s33 offset:148 ; 4-byte Folded Spill
	s_and_saveexec_b64 s[36:37], vcc
	s_cbranch_execz .LBB4_6790
; %bb.6783:                             ;   in Loop: Header=BB4_6216 Depth=3
	v_bfe_u32 v14, v8, 23, 8
	v_and_b32_e32 v2, 0x7fffff, v8
	v_cmp_gt_u32_e64 s[28:29], s71, v14
	v_sub_u32_e32 v8, 0x79, v14
	v_cmp_eq_u32_e32 vcc, 0, v14
	v_cndmask_b32_e64 v8, 0, v8, s[28:29]
	v_mov_b32_e32 v12, 0x78
	v_cndmask_b32_e32 v24, v8, v12, vcc
	v_or_b32_e32 v9, 0x800000, v2
	v_add_u32_e32 v8, 20, v24
	v_cndmask_b32_e32 v2, v9, v2, vcc
	v_lshlrev_b64 v[8:9], v8, -1
	v_add_u32_e32 v12, 19, v24
	v_lshlrev_b64 v[12:13], v12, 1
	v_bfi_b32 v9, v9, 0, 0
	v_bfi_b32 v8, v8, 0, v2
	v_cmp_eq_u64_e64 s[28:29], v[8:9], v[12:13]
	v_lshrrev_b64 v[8:9], v24, v[2:3]
	v_mov_b32_e32 v13, v9
	v_mov_b32_e32 v12, v8
	s_and_saveexec_b64 s[38:39], s[28:29]
; %bb.6784:                             ;   in Loop: Header=BB4_6216 Depth=3
	v_bfe_u32 v2, v8, 20, 1
	v_add_co_u32_e64 v2, s[28:29], v8, v2
	v_add_co_u32_e64 v12, s[28:29], -1, v2
; %bb.6785:                             ;   in Loop: Header=BB4_6216 Depth=3
	s_or_b64 exec, exec, s[38:39]
	v_add_u32_e32 v2, 0xffffff81, v14
	v_mov_b32_e32 v9, 0xffffff82
	v_cndmask_b32_e32 v2, v2, v9, vcc
	v_lshrrev_b32_e32 v9, 23, v8
	v_add3_u32 v14, v24, v2, v9
	v_add_u32_e32 v13, 6, v14
	v_and_b32_e32 v2, 0xfffff, v12
	v_add_u32_e32 v2, v2, v8
	v_cmp_ne_u32_e32 vcc, 0, v13
                                        ; implicit-def: $vgpr8_vgpr9
                                        ; implicit-def: $vgpr12
	s_and_saveexec_b64 s[28:29], vcc
	s_xor_b64 s[28:29], exec, s[28:29]
; %bb.6786:                             ;   in Loop: Header=BB4_6216 Depth=3
	v_cmp_lt_u64_e32 vcc, s[74:75], v[2:3]
	v_add_u32_e32 v8, 7, v14
	v_cndmask_b32_e32 v12, v13, v8, vcc
	v_cndmask_b32_e64 v8, 0, 1, vcc
	v_lshrrev_b64 v[8:9], v8, v[2:3]
; %bb.6787:                             ;   in Loop: Header=BB4_6216 Depth=3
	s_andn2_saveexec_b64 s[28:29], s[28:29]
; %bb.6788:                             ;   in Loop: Header=BB4_6216 Depth=3
	v_mov_b32_e32 v9, v3
	v_mov_b32_e32 v8, v2
	v_bfe_u32 v12, v2, 23, 1
; %bb.6789:                             ;   in Loop: Header=BB4_6216 Depth=3
	s_or_b64 exec, exec, s[28:29]
	v_lshrrev_b64 v[8:9], 20, v[8:9]
	v_cmp_gt_i32_e32 vcc, 16, v12
	v_cndmask_b32_e32 v9, 0, v9, vcc
	v_cndmask_b32_e32 v8, 7, v8, vcc
	v_min_i32_e32 v2, 15, v12
	v_cmp_eq_u64_e64 s[28:29], 0, v[8:9]
	v_lshlrev_b32_e32 v2, 3, v2
	v_cmp_eq_u32_e32 vcc, 0, v12
	v_and_b32_e32 v2, 0xf8, v2
	v_and_or_b32 v2, v8, 7, v2
	s_and_b64 s[28:29], vcc, s[28:29]
	v_cndmask_b32_e64 v2, v2, 0, s[28:29]
	v_or_b32_e32 v2, v2, v6
	buffer_store_dword v2, off, s[0:3], s33 offset:148 ; 4-byte Folded Spill
.LBB4_6790:                             ;   in Loop: Header=BB4_6216 Depth=3
	s_or_b64 exec, exec, s[36:37]
                                        ; implicit-def: $vgpr6
.LBB4_6791:                             ;   in Loop: Header=BB4_6216 Depth=3
	s_andn2_saveexec_b64 s[28:29], s[34:35]
	s_cbranch_execz .LBB4_6793
; %bb.6792:                             ;   in Loop: Header=BB4_6216 Depth=3
	v_or_b32_e32 v2, 0x7e, v6
	buffer_store_dword v2, off, s[0:3], s33 offset:148 ; 4-byte Folded Spill
.LBB4_6793:                             ;   in Loop: Header=BB4_6216 Depth=3
	s_or_b64 exec, exec, s[28:29]
                                        ; implicit-def: $vgpr8
.LBB4_6794:                             ;   in Loop: Header=BB4_6216 Depth=3
	s_andn2_saveexec_b64 s[28:29], s[30:31]
	s_cbranch_execz .LBB4_6796
; %bb.6795:                             ;   in Loop: Header=BB4_6216 Depth=3
	v_or_b32_sdwa v2, v8, s68 dst_sel:DWORD dst_unused:UNUSED_PAD src0_sel:BYTE_3 src1_sel:DWORD
	buffer_store_dword v2, off, s[0:3], s33 offset:148 ; 4-byte Folded Spill
.LBB4_6796:                             ;   in Loop: Header=BB4_6216 Depth=3
	s_or_b64 exec, exec, s[28:29]
	v_lshrrev_b32_e32 v2, 16, v10
	v_cmp_ne_u16_sdwa vcc, v2, v3 src0_sel:BYTE_0 src1_sel:DWORD
	v_mov_b32_e32 v6, 0
	s_and_saveexec_b64 s[28:29], vcc
	s_cbranch_execz .LBB4_6802
; %bb.6797:                             ;   in Loop: Header=BB4_6216 Depth=3
	v_cmp_ne_u16_sdwa vcc, v2, s70 src0_sel:BYTE_0 src1_sel:DWORD
	v_bfrev_b32_e32 v6, 1
	s_and_saveexec_b64 s[30:31], vcc
	s_cbranch_execz .LBB4_6801
; %bb.6798:                             ;   in Loop: Header=BB4_6216 Depth=3
	v_bfe_u32 v8, v10, 16, 7
	v_cmp_ne_u32_e32 vcc, s68, v8
	v_mov_b32_e32 v6, 0x7f800001
	s_and_saveexec_b64 s[34:35], vcc
	s_cbranch_execz .LBB4_6800
; %bb.6799:                             ;   in Loop: Header=BB4_6216 Depth=3
	v_and_b32_e32 v6, 7, v2
	v_lshrrev_b32_e32 v12, 3, v8
	v_cmp_gt_u32_e32 vcc, 8, v8
	v_ffbh_u32_e32 v8, v6
	v_min_u32_e32 v13, 32, v8
	v_subrev_u32_e32 v8, 28, v13
	v_lshlrev_b64 v[8:9], v8, v[2:3]
	v_sub_u32_e32 v9, 29, v13
	v_and_b32_e32 v8, 7, v8
	v_cndmask_b32_e32 v9, v12, v9, vcc
	v_cndmask_b32_e32 v6, v6, v8, vcc
	v_lshlrev_b32_e32 v2, 24, v2
	v_lshlrev_b32_e32 v6, 20, v6
	v_and_b32_e32 v2, 0x80000000, v2
	v_lshl_add_u32 v8, v9, 23, v5
	v_or3_b32 v6, v2, v8, v6
.LBB4_6800:                             ;   in Loop: Header=BB4_6216 Depth=3
	s_or_b64 exec, exec, s[34:35]
.LBB4_6801:                             ;   in Loop: Header=BB4_6216 Depth=3
	s_or_b64 exec, exec, s[30:31]
.LBB4_6802:                             ;   in Loop: Header=BB4_6216 Depth=3
	s_or_b64 exec, exec, s[28:29]
	v_mul_f32_e32 v8, v15, v6
	v_and_b32_e32 v2, 0x7f800000, v8
	v_cmp_ne_u64_e32 vcc, s[62:63], v[2:3]
                                        ; implicit-def: $vgpr51
	s_and_saveexec_b64 s[28:29], vcc
	s_xor_b64 s[30:31], exec, s[28:29]
	s_cbranch_execz .LBB4_6816
; %bb.6803:                             ;   in Loop: Header=BB4_6216 Depth=3
	v_and_b32_e32 v2, 0x7fffffff, v8
	v_cmp_gt_u64_e32 vcc, s[72:73], v[2:3]
	v_and_b32_sdwa v6, v8, s70 dst_sel:DWORD dst_unused:UNUSED_PAD src0_sel:BYTE_3 src1_sel:DWORD
                                        ; implicit-def: $vgpr51
	s_and_saveexec_b64 s[28:29], vcc
	s_xor_b64 s[34:35], exec, s[28:29]
	s_cbranch_execz .LBB4_6813
; %bb.6804:                             ;   in Loop: Header=BB4_6216 Depth=3
	v_mov_b32_e32 v51, 0
	v_cmp_ne_u32_e32 vcc, 0, v8
	s_and_saveexec_b64 s[36:37], vcc
	s_cbranch_execz .LBB4_6812
; %bb.6805:                             ;   in Loop: Header=BB4_6216 Depth=3
	v_bfe_u32 v14, v8, 23, 8
	v_and_b32_e32 v2, 0x7fffff, v8
	v_cmp_gt_u32_e64 s[28:29], s71, v14
	v_sub_u32_e32 v8, 0x79, v14
	v_cmp_eq_u32_e32 vcc, 0, v14
	v_cndmask_b32_e64 v8, 0, v8, s[28:29]
	v_mov_b32_e32 v12, 0x78
	v_cndmask_b32_e32 v24, v8, v12, vcc
	v_or_b32_e32 v9, 0x800000, v2
	v_add_u32_e32 v8, 20, v24
	v_cndmask_b32_e32 v2, v9, v2, vcc
	v_lshlrev_b64 v[8:9], v8, -1
	v_add_u32_e32 v12, 19, v24
	v_lshlrev_b64 v[12:13], v12, 1
	v_bfi_b32 v9, v9, 0, 0
	v_bfi_b32 v8, v8, 0, v2
	v_cmp_eq_u64_e64 s[28:29], v[8:9], v[12:13]
	v_lshrrev_b64 v[8:9], v24, v[2:3]
	v_mov_b32_e32 v13, v9
	v_mov_b32_e32 v12, v8
	s_and_saveexec_b64 s[38:39], s[28:29]
; %bb.6806:                             ;   in Loop: Header=BB4_6216 Depth=3
	v_bfe_u32 v2, v8, 20, 1
	v_add_co_u32_e64 v2, s[28:29], v8, v2
	v_add_co_u32_e64 v12, s[28:29], -1, v2
; %bb.6807:                             ;   in Loop: Header=BB4_6216 Depth=3
	s_or_b64 exec, exec, s[38:39]
	v_add_u32_e32 v2, 0xffffff81, v14
	v_mov_b32_e32 v9, 0xffffff82
	v_cndmask_b32_e32 v2, v2, v9, vcc
	v_lshrrev_b32_e32 v9, 23, v8
	v_add3_u32 v14, v24, v2, v9
	v_add_u32_e32 v13, 6, v14
	v_and_b32_e32 v2, 0xfffff, v12
	v_add_u32_e32 v2, v2, v8
	v_cmp_ne_u32_e32 vcc, 0, v13
                                        ; implicit-def: $vgpr8_vgpr9
                                        ; implicit-def: $vgpr12
	s_and_saveexec_b64 s[28:29], vcc
	s_xor_b64 s[28:29], exec, s[28:29]
; %bb.6808:                             ;   in Loop: Header=BB4_6216 Depth=3
	v_cmp_lt_u64_e32 vcc, s[74:75], v[2:3]
	v_add_u32_e32 v8, 7, v14
	v_cndmask_b32_e32 v12, v13, v8, vcc
	v_cndmask_b32_e64 v8, 0, 1, vcc
	v_lshrrev_b64 v[8:9], v8, v[2:3]
; %bb.6809:                             ;   in Loop: Header=BB4_6216 Depth=3
	s_andn2_saveexec_b64 s[28:29], s[28:29]
; %bb.6810:                             ;   in Loop: Header=BB4_6216 Depth=3
	v_mov_b32_e32 v9, v3
	v_mov_b32_e32 v8, v2
	v_bfe_u32 v12, v2, 23, 1
; %bb.6811:                             ;   in Loop: Header=BB4_6216 Depth=3
	s_or_b64 exec, exec, s[28:29]
	v_lshrrev_b64 v[8:9], 20, v[8:9]
	v_cmp_gt_i32_e32 vcc, 16, v12
	v_cndmask_b32_e32 v9, 0, v9, vcc
	v_cndmask_b32_e32 v8, 7, v8, vcc
	v_min_i32_e32 v2, 15, v12
	v_cmp_eq_u64_e64 s[28:29], 0, v[8:9]
	v_lshlrev_b32_e32 v2, 3, v2
	v_cmp_eq_u32_e32 vcc, 0, v12
	v_and_b32_e32 v2, 0xf8, v2
	v_and_or_b32 v2, v8, 7, v2
	s_and_b64 s[28:29], vcc, s[28:29]
	v_cndmask_b32_e64 v2, v2, 0, s[28:29]
	v_or_b32_e32 v51, v2, v6
.LBB4_6812:                             ;   in Loop: Header=BB4_6216 Depth=3
	s_or_b64 exec, exec, s[36:37]
                                        ; implicit-def: $vgpr6
.LBB4_6813:                             ;   in Loop: Header=BB4_6216 Depth=3
	s_andn2_saveexec_b64 s[28:29], s[34:35]
; %bb.6814:                             ;   in Loop: Header=BB4_6216 Depth=3
	v_or_b32_e32 v51, 0x7e, v6
; %bb.6815:                             ;   in Loop: Header=BB4_6216 Depth=3
	s_or_b64 exec, exec, s[28:29]
                                        ; implicit-def: $vgpr8
.LBB4_6816:                             ;   in Loop: Header=BB4_6216 Depth=3
	s_andn2_saveexec_b64 s[28:29], s[30:31]
; %bb.6817:                             ;   in Loop: Header=BB4_6216 Depth=3
	v_or_b32_sdwa v51, v8, s68 dst_sel:DWORD dst_unused:UNUSED_PAD src0_sel:BYTE_3 src1_sel:DWORD
; %bb.6818:                             ;   in Loop: Header=BB4_6216 Depth=3
	s_or_b64 exec, exec, s[28:29]
	v_cmp_lt_u32_e32 vcc, s57, v10
	v_mov_b32_e32 v6, 0
	s_and_saveexec_b64 s[28:29], vcc
	s_cbranch_execz .LBB4_6824
; %bb.6819:                             ;   in Loop: Header=BB4_6216 Depth=3
	v_lshrrev_b32_e32 v2, 24, v10
	v_cmp_ne_u32_e32 vcc, s70, v2
	v_bfrev_b32_e32 v6, 1
	s_and_saveexec_b64 s[30:31], vcc
	s_cbranch_execz .LBB4_6823
; %bb.6820:                             ;   in Loop: Header=BB4_6216 Depth=3
	v_bfe_u32 v8, v10, 24, 7
	v_cmp_ne_u32_e32 vcc, s68, v8
	v_mov_b32_e32 v6, 0x7f800001
	s_and_saveexec_b64 s[34:35], vcc
	s_cbranch_execz .LBB4_6822
; %bb.6821:                             ;   in Loop: Header=BB4_6216 Depth=3
	v_and_b32_e32 v6, 7, v2
	v_lshrrev_b32_e32 v12, 3, v8
	v_cmp_gt_u32_e32 vcc, 8, v8
	v_ffbh_u32_e32 v8, v6
	v_min_u32_e32 v13, 32, v8
	v_subrev_u32_e32 v8, 28, v13
	v_lshlrev_b64 v[8:9], v8, v[2:3]
	v_sub_u32_e32 v9, 29, v13
	v_and_b32_e32 v8, 7, v8
	v_cndmask_b32_e32 v9, v12, v9, vcc
	v_cndmask_b32_e32 v6, v6, v8, vcc
	v_lshlrev_b32_e32 v2, 24, v2
	v_lshlrev_b32_e32 v6, 20, v6
	v_and_b32_e32 v2, 0x80000000, v2
	v_lshl_add_u32 v8, v9, 23, v5
	v_or3_b32 v6, v2, v8, v6
.LBB4_6822:                             ;   in Loop: Header=BB4_6216 Depth=3
	s_or_b64 exec, exec, s[34:35]
.LBB4_6823:                             ;   in Loop: Header=BB4_6216 Depth=3
	s_or_b64 exec, exec, s[30:31]
.LBB4_6824:                             ;   in Loop: Header=BB4_6216 Depth=3
	s_or_b64 exec, exec, s[28:29]
	v_mul_f32_e32 v8, v15, v6
	v_and_b32_e32 v2, 0x7f800000, v8
	v_cmp_ne_u64_e32 vcc, s[62:63], v[2:3]
                                        ; implicit-def: $vgpr50
	s_and_saveexec_b64 s[28:29], vcc
	s_xor_b64 s[30:31], exec, s[28:29]
	s_cbranch_execz .LBB4_6838
; %bb.6825:                             ;   in Loop: Header=BB4_6216 Depth=3
	v_and_b32_e32 v2, 0x7fffffff, v8
	v_cmp_gt_u64_e32 vcc, s[72:73], v[2:3]
	v_and_b32_sdwa v6, v8, s70 dst_sel:DWORD dst_unused:UNUSED_PAD src0_sel:BYTE_3 src1_sel:DWORD
                                        ; implicit-def: $vgpr50
	s_and_saveexec_b64 s[28:29], vcc
	s_xor_b64 s[34:35], exec, s[28:29]
	s_cbranch_execz .LBB4_6835
; %bb.6826:                             ;   in Loop: Header=BB4_6216 Depth=3
	v_mov_b32_e32 v50, 0
	v_cmp_ne_u32_e32 vcc, 0, v8
	s_and_saveexec_b64 s[36:37], vcc
	s_cbranch_execz .LBB4_6834
; %bb.6827:                             ;   in Loop: Header=BB4_6216 Depth=3
	v_bfe_u32 v14, v8, 23, 8
	v_and_b32_e32 v2, 0x7fffff, v8
	v_cmp_gt_u32_e64 s[28:29], s71, v14
	v_sub_u32_e32 v8, 0x79, v14
	v_cmp_eq_u32_e32 vcc, 0, v14
	v_cndmask_b32_e64 v8, 0, v8, s[28:29]
	v_mov_b32_e32 v12, 0x78
	v_cndmask_b32_e32 v24, v8, v12, vcc
	v_or_b32_e32 v9, 0x800000, v2
	v_add_u32_e32 v8, 20, v24
	v_cndmask_b32_e32 v2, v9, v2, vcc
	v_lshlrev_b64 v[8:9], v8, -1
	v_add_u32_e32 v12, 19, v24
	v_lshlrev_b64 v[12:13], v12, 1
	v_bfi_b32 v9, v9, 0, 0
	v_bfi_b32 v8, v8, 0, v2
	v_cmp_eq_u64_e64 s[28:29], v[8:9], v[12:13]
	v_lshrrev_b64 v[8:9], v24, v[2:3]
	v_mov_b32_e32 v13, v9
	v_mov_b32_e32 v12, v8
	s_and_saveexec_b64 s[38:39], s[28:29]
; %bb.6828:                             ;   in Loop: Header=BB4_6216 Depth=3
	v_bfe_u32 v2, v8, 20, 1
	v_add_co_u32_e64 v2, s[28:29], v8, v2
	v_add_co_u32_e64 v12, s[28:29], -1, v2
; %bb.6829:                             ;   in Loop: Header=BB4_6216 Depth=3
	s_or_b64 exec, exec, s[38:39]
	v_add_u32_e32 v2, 0xffffff81, v14
	v_mov_b32_e32 v9, 0xffffff82
	v_cndmask_b32_e32 v2, v2, v9, vcc
	v_lshrrev_b32_e32 v9, 23, v8
	v_add3_u32 v14, v24, v2, v9
	v_add_u32_e32 v13, 6, v14
	v_and_b32_e32 v2, 0xfffff, v12
	v_add_u32_e32 v2, v2, v8
	v_cmp_ne_u32_e32 vcc, 0, v13
                                        ; implicit-def: $vgpr8_vgpr9
                                        ; implicit-def: $vgpr12
	s_and_saveexec_b64 s[28:29], vcc
	s_xor_b64 s[28:29], exec, s[28:29]
; %bb.6830:                             ;   in Loop: Header=BB4_6216 Depth=3
	v_cmp_lt_u64_e32 vcc, s[74:75], v[2:3]
	v_add_u32_e32 v8, 7, v14
	v_cndmask_b32_e32 v12, v13, v8, vcc
	v_cndmask_b32_e64 v8, 0, 1, vcc
	v_lshrrev_b64 v[8:9], v8, v[2:3]
; %bb.6831:                             ;   in Loop: Header=BB4_6216 Depth=3
	s_andn2_saveexec_b64 s[28:29], s[28:29]
; %bb.6832:                             ;   in Loop: Header=BB4_6216 Depth=3
	v_mov_b32_e32 v9, v3
	v_mov_b32_e32 v8, v2
	v_bfe_u32 v12, v2, 23, 1
; %bb.6833:                             ;   in Loop: Header=BB4_6216 Depth=3
	s_or_b64 exec, exec, s[28:29]
	v_lshrrev_b64 v[8:9], 20, v[8:9]
	v_cmp_gt_i32_e32 vcc, 16, v12
	v_cndmask_b32_e32 v9, 0, v9, vcc
	v_cndmask_b32_e32 v8, 7, v8, vcc
	v_min_i32_e32 v2, 15, v12
	v_cmp_eq_u64_e64 s[28:29], 0, v[8:9]
	v_lshlrev_b32_e32 v2, 3, v2
	v_cmp_eq_u32_e32 vcc, 0, v12
	v_and_b32_e32 v2, 0xf8, v2
	v_and_or_b32 v2, v8, 7, v2
	s_and_b64 s[28:29], vcc, s[28:29]
	v_cndmask_b32_e64 v2, v2, 0, s[28:29]
	v_or_b32_e32 v50, v2, v6
.LBB4_6834:                             ;   in Loop: Header=BB4_6216 Depth=3
	s_or_b64 exec, exec, s[36:37]
                                        ; implicit-def: $vgpr6
.LBB4_6835:                             ;   in Loop: Header=BB4_6216 Depth=3
	s_andn2_saveexec_b64 s[28:29], s[34:35]
; %bb.6836:                             ;   in Loop: Header=BB4_6216 Depth=3
	v_or_b32_e32 v50, 0x7e, v6
; %bb.6837:                             ;   in Loop: Header=BB4_6216 Depth=3
	s_or_b64 exec, exec, s[28:29]
                                        ; implicit-def: $vgpr8
.LBB4_6838:                             ;   in Loop: Header=BB4_6216 Depth=3
	s_andn2_saveexec_b64 s[28:29], s[30:31]
; %bb.6839:                             ;   in Loop: Header=BB4_6216 Depth=3
	v_or_b32_sdwa v50, v8, s68 dst_sel:DWORD dst_unused:UNUSED_PAD src0_sel:BYTE_3 src1_sel:DWORD
; %bb.6840:                             ;   in Loop: Header=BB4_6216 Depth=3
	s_or_b64 exec, exec, s[28:29]
	v_mov_b32_e32 v2, v11
	v_cmp_ne_u16_sdwa vcc, v11, v3 src0_sel:BYTE_0 src1_sel:DWORD
	v_mov_b32_e32 v6, 0
	s_and_saveexec_b64 s[28:29], vcc
	s_cbranch_execz .LBB4_6846
; %bb.6841:                             ;   in Loop: Header=BB4_6216 Depth=3
	v_cmp_ne_u16_sdwa vcc, v11, s70 src0_sel:BYTE_0 src1_sel:DWORD
	v_bfrev_b32_e32 v6, 1
	s_and_saveexec_b64 s[30:31], vcc
	s_cbranch_execz .LBB4_6845
; %bb.6842:                             ;   in Loop: Header=BB4_6216 Depth=3
	v_and_b32_e32 v8, 0x7f, v11
	v_cmp_ne_u32_e32 vcc, s68, v8
	v_mov_b32_e32 v6, 0x7f800001
	s_and_saveexec_b64 s[34:35], vcc
	s_cbranch_execz .LBB4_6844
; %bb.6843:                             ;   in Loop: Header=BB4_6216 Depth=3
	v_and_b32_e32 v6, 7, v11
	v_ffbh_u32_e32 v6, v6
	v_min_u32_e32 v6, 32, v6
	v_lshrrev_b32_e32 v9, 3, v8
	v_cmp_gt_u32_e32 vcc, 8, v8
	v_subrev_u32_e32 v8, 28, v6
	v_sub_u32_e32 v6, 29, v6
	v_cndmask_b32_e32 v8, 0, v8, vcc
	v_cndmask_b32_e32 v6, v9, v6, vcc
	v_lshlrev_b64 v[8:9], v8, v[2:3]
	v_lshlrev_b32_e32 v9, 24, v2
	v_lshlrev_b32_e32 v8, 20, v8
	v_and_b32_e32 v8, 0x700000, v8
	v_and_b32_e32 v9, 0x80000000, v9
	v_lshl_add_u32 v6, v6, 23, v5
	v_or3_b32 v6, v9, v6, v8
.LBB4_6844:                             ;   in Loop: Header=BB4_6216 Depth=3
	s_or_b64 exec, exec, s[34:35]
.LBB4_6845:                             ;   in Loop: Header=BB4_6216 Depth=3
	s_or_b64 exec, exec, s[30:31]
.LBB4_6846:                             ;   in Loop: Header=BB4_6216 Depth=3
	s_or_b64 exec, exec, s[28:29]
	v_mul_f32_e32 v8, v15, v6
	v_and_b32_e32 v12, 0x7f800000, v8
	v_mov_b32_e32 v13, v3
	v_cmp_ne_u64_e32 vcc, s[62:63], v[12:13]
                                        ; implicit-def: $vgpr6
	s_and_saveexec_b64 s[28:29], vcc
	s_xor_b64 s[30:31], exec, s[28:29]
	s_cbranch_execz .LBB4_6860
; %bb.6847:                             ;   in Loop: Header=BB4_6216 Depth=3
	v_and_b32_e32 v12, 0x7fffffff, v8
	v_mov_b32_e32 v13, v3
	v_cmp_gt_u64_e32 vcc, s[72:73], v[12:13]
	v_and_b32_sdwa v14, v8, s70 dst_sel:DWORD dst_unused:UNUSED_PAD src0_sel:BYTE_3 src1_sel:DWORD
                                        ; implicit-def: $vgpr6
	s_and_saveexec_b64 s[28:29], vcc
	s_xor_b64 s[34:35], exec, s[28:29]
	s_cbranch_execz .LBB4_6857
; %bb.6848:                             ;   in Loop: Header=BB4_6216 Depth=3
	v_mov_b32_e32 v6, 0
	v_cmp_ne_u32_e32 vcc, 0, v8
	s_and_saveexec_b64 s[36:37], vcc
	s_cbranch_execz .LBB4_6856
; %bb.6849:                             ;   in Loop: Header=BB4_6216 Depth=3
	v_bfe_u32 v6, v8, 23, 8
	v_and_b32_e32 v9, 0x7fffff, v8
	v_cmp_gt_u32_e64 s[28:29], s71, v6
	v_sub_u32_e32 v8, 0x79, v6
	v_cmp_eq_u32_e32 vcc, 0, v6
	v_cndmask_b32_e64 v8, 0, v8, s[28:29]
	v_mov_b32_e32 v13, 0x78
	v_or_b32_e32 v12, 0x800000, v9
	v_cndmask_b32_e32 v24, v8, v13, vcc
	v_cndmask_b32_e32 v8, v12, v9, vcc
	v_add_u32_e32 v12, 20, v24
	v_lshlrev_b64 v[12:13], v12, -1
	v_mov_b32_e32 v9, v3
	v_add_u32_e32 v22, 19, v24
	v_bfi_b32 v12, v12, 0, v8
	v_lshlrev_b64 v[29:30], v22, 1
	v_lshrrev_b64 v[8:9], v24, v[8:9]
	v_bfi_b32 v13, v13, 0, 0
	v_cmp_eq_u64_e64 s[28:29], v[12:13], v[29:30]
	v_mov_b32_e32 v13, v9
	v_mov_b32_e32 v12, v8
	s_and_saveexec_b64 s[38:39], s[28:29]
; %bb.6850:                             ;   in Loop: Header=BB4_6216 Depth=3
	v_bfe_u32 v9, v8, 20, 1
	v_add_co_u32_e64 v9, s[28:29], v8, v9
	v_add_co_u32_e64 v12, s[28:29], -1, v9
; %bb.6851:                             ;   in Loop: Header=BB4_6216 Depth=3
	s_or_b64 exec, exec, s[38:39]
	v_add_u32_e32 v6, 0xffffff81, v6
	v_mov_b32_e32 v9, 0xffffff82
	v_cndmask_b32_e32 v6, v6, v9, vcc
	v_lshrrev_b32_e32 v9, 23, v8
	v_add3_u32 v24, v24, v6, v9
	v_add_u32_e32 v13, 6, v24
	v_and_b32_e32 v6, 0xfffff, v12
	v_add_u32_e32 v8, v6, v8
	v_mov_b32_e32 v9, v3
	v_cmp_ne_u32_e32 vcc, 0, v13
                                        ; implicit-def: $vgpr6
	s_and_saveexec_b64 s[28:29], vcc
	s_xor_b64 s[28:29], exec, s[28:29]
; %bb.6852:                             ;   in Loop: Header=BB4_6216 Depth=3
	v_cmp_lt_u64_e32 vcc, s[74:75], v[8:9]
	v_add_u32_e32 v6, 7, v24
	v_cndmask_b32_e64 v12, 0, 1, vcc
	v_lshrrev_b64 v[8:9], v12, v[8:9]
	v_cndmask_b32_e32 v6, v13, v6, vcc
; %bb.6853:                             ;   in Loop: Header=BB4_6216 Depth=3
	s_andn2_saveexec_b64 s[28:29], s[28:29]
; %bb.6854:                             ;   in Loop: Header=BB4_6216 Depth=3
	v_bfe_u32 v6, v8, 23, 1
; %bb.6855:                             ;   in Loop: Header=BB4_6216 Depth=3
	s_or_b64 exec, exec, s[28:29]
	v_lshrrev_b64 v[8:9], 20, v[8:9]
	v_cmp_gt_i32_e32 vcc, 16, v6
	v_cndmask_b32_e32 v9, 0, v9, vcc
	v_cndmask_b32_e32 v8, 7, v8, vcc
	v_cmp_eq_u32_e32 vcc, 0, v6
	v_min_i32_e32 v6, 15, v6
	v_cmp_eq_u64_e64 s[28:29], 0, v[8:9]
	v_lshlrev_b32_e32 v6, 3, v6
	v_and_b32_e32 v6, 0xf8, v6
	v_and_or_b32 v6, v8, 7, v6
	s_and_b64 s[28:29], vcc, s[28:29]
	v_cndmask_b32_e64 v6, v6, 0, s[28:29]
	v_or_b32_e32 v6, v6, v14
.LBB4_6856:                             ;   in Loop: Header=BB4_6216 Depth=3
	s_or_b64 exec, exec, s[36:37]
                                        ; implicit-def: $vgpr14
.LBB4_6857:                             ;   in Loop: Header=BB4_6216 Depth=3
	s_andn2_saveexec_b64 s[28:29], s[34:35]
; %bb.6858:                             ;   in Loop: Header=BB4_6216 Depth=3
	v_or_b32_e32 v6, 0x7e, v14
; %bb.6859:                             ;   in Loop: Header=BB4_6216 Depth=3
	s_or_b64 exec, exec, s[28:29]
                                        ; implicit-def: $vgpr8
.LBB4_6860:                             ;   in Loop: Header=BB4_6216 Depth=3
	s_andn2_saveexec_b64 s[28:29], s[30:31]
; %bb.6861:                             ;   in Loop: Header=BB4_6216 Depth=3
	v_or_b32_sdwa v6, v8, s68 dst_sel:DWORD dst_unused:UNUSED_PAD src0_sel:BYTE_3 src1_sel:DWORD
; %bb.6862:                             ;   in Loop: Header=BB4_6216 Depth=3
	s_or_b64 exec, exec, s[28:29]
	v_lshrrev_b16_e32 v8, 8, v2
	v_cmp_ne_u16_e32 vcc, 0, v8
	v_mov_b32_e32 v9, 0
	s_and_saveexec_b64 s[28:29], vcc
	s_cbranch_execz .LBB4_6868
; %bb.6863:                             ;   in Loop: Header=BB4_6216 Depth=3
	v_cmp_ne_u16_e32 vcc, s70, v8
	v_bfrev_b32_e32 v9, 1
	s_and_saveexec_b64 s[30:31], vcc
	s_cbranch_execz .LBB4_6867
; %bb.6864:                             ;   in Loop: Header=BB4_6216 Depth=3
	v_and_b32_e32 v12, 0x7f, v8
	v_cmp_ne_u32_e32 vcc, s68, v12
	v_mov_b32_e32 v9, 0x7f800001
	s_and_saveexec_b64 s[34:35], vcc
	s_cbranch_execz .LBB4_6866
; %bb.6865:                             ;   in Loop: Header=BB4_6216 Depth=3
	v_and_b32_e32 v13, 7, v8
	v_ffbh_u32_e32 v9, v13
	v_lshrrev_b32_e32 v14, 3, v12
	v_cmp_gt_u32_e32 vcc, 8, v12
	v_min_u32_e32 v12, 32, v9
	v_subrev_u32_e32 v9, 28, v12
	v_lshlrev_b64 v[8:9], v9, v[8:9]
	v_sub_u32_e32 v9, 29, v12
	v_and_b32_e32 v8, 7, v8
	v_cndmask_b32_e32 v9, v14, v9, vcc
	v_cndmask_b32_e32 v8, v13, v8, vcc
	v_lshlrev_b32_e32 v2, 16, v2
	v_lshlrev_b32_e32 v8, 20, v8
	v_and_b32_e32 v2, 0x80000000, v2
	v_lshl_add_u32 v9, v9, 23, v5
	v_or3_b32 v9, v2, v9, v8
.LBB4_6866:                             ;   in Loop: Header=BB4_6216 Depth=3
	s_or_b64 exec, exec, s[34:35]
.LBB4_6867:                             ;   in Loop: Header=BB4_6216 Depth=3
	s_or_b64 exec, exec, s[30:31]
.LBB4_6868:                             ;   in Loop: Header=BB4_6216 Depth=3
	s_or_b64 exec, exec, s[28:29]
	v_mul_f32_e32 v8, v15, v9
	v_and_b32_e32 v2, 0x7f800000, v8
	v_cmp_ne_u64_e32 vcc, s[62:63], v[2:3]
                                        ; implicit-def: $vgpr61
	s_and_saveexec_b64 s[28:29], vcc
	s_xor_b64 s[30:31], exec, s[28:29]
	s_cbranch_execz .LBB4_6882
; %bb.6869:                             ;   in Loop: Header=BB4_6216 Depth=3
	v_and_b32_e32 v2, 0x7fffffff, v8
	v_cmp_gt_u64_e32 vcc, s[72:73], v[2:3]
	v_and_b32_sdwa v14, v8, s70 dst_sel:DWORD dst_unused:UNUSED_PAD src0_sel:BYTE_3 src1_sel:DWORD
                                        ; implicit-def: $vgpr61
	s_and_saveexec_b64 s[28:29], vcc
	s_xor_b64 s[34:35], exec, s[28:29]
	s_cbranch_execz .LBB4_6879
; %bb.6870:                             ;   in Loop: Header=BB4_6216 Depth=3
	v_mov_b32_e32 v61, 0
	v_cmp_ne_u32_e32 vcc, 0, v8
	s_and_saveexec_b64 s[36:37], vcc
	s_cbranch_execz .LBB4_6878
; %bb.6871:                             ;   in Loop: Header=BB4_6216 Depth=3
	v_bfe_u32 v24, v8, 23, 8
	v_and_b32_e32 v2, 0x7fffff, v8
	v_cmp_gt_u32_e64 s[28:29], s71, v24
	v_sub_u32_e32 v8, 0x79, v24
	v_cmp_eq_u32_e32 vcc, 0, v24
	v_cndmask_b32_e64 v8, 0, v8, s[28:29]
	v_mov_b32_e32 v12, 0x78
	v_cndmask_b32_e32 v29, v8, v12, vcc
	v_or_b32_e32 v9, 0x800000, v2
	v_add_u32_e32 v8, 20, v29
	v_cndmask_b32_e32 v2, v9, v2, vcc
	v_lshlrev_b64 v[8:9], v8, -1
	v_add_u32_e32 v12, 19, v29
	v_lshlrev_b64 v[12:13], v12, 1
	v_bfi_b32 v9, v9, 0, 0
	v_bfi_b32 v8, v8, 0, v2
	v_cmp_eq_u64_e64 s[28:29], v[8:9], v[12:13]
	v_lshrrev_b64 v[8:9], v29, v[2:3]
	v_mov_b32_e32 v13, v9
	v_mov_b32_e32 v12, v8
	s_and_saveexec_b64 s[38:39], s[28:29]
; %bb.6872:                             ;   in Loop: Header=BB4_6216 Depth=3
	v_bfe_u32 v2, v8, 20, 1
	v_add_co_u32_e64 v2, s[28:29], v8, v2
	v_add_co_u32_e64 v12, s[28:29], -1, v2
; %bb.6873:                             ;   in Loop: Header=BB4_6216 Depth=3
	s_or_b64 exec, exec, s[38:39]
	v_add_u32_e32 v2, 0xffffff81, v24
	v_mov_b32_e32 v9, 0xffffff82
	v_cndmask_b32_e32 v2, v2, v9, vcc
	v_lshrrev_b32_e32 v9, 23, v8
	v_add3_u32 v24, v29, v2, v9
	v_add_u32_e32 v13, 6, v24
	v_and_b32_e32 v2, 0xfffff, v12
	v_add_u32_e32 v2, v2, v8
	v_cmp_ne_u32_e32 vcc, 0, v13
                                        ; implicit-def: $vgpr8_vgpr9
                                        ; implicit-def: $vgpr12
	s_and_saveexec_b64 s[28:29], vcc
	s_xor_b64 s[28:29], exec, s[28:29]
; %bb.6874:                             ;   in Loop: Header=BB4_6216 Depth=3
	v_cmp_lt_u64_e32 vcc, s[74:75], v[2:3]
	v_add_u32_e32 v8, 7, v24
	v_cndmask_b32_e32 v12, v13, v8, vcc
	v_cndmask_b32_e64 v8, 0, 1, vcc
	v_lshrrev_b64 v[8:9], v8, v[2:3]
; %bb.6875:                             ;   in Loop: Header=BB4_6216 Depth=3
	s_andn2_saveexec_b64 s[28:29], s[28:29]
; %bb.6876:                             ;   in Loop: Header=BB4_6216 Depth=3
	v_mov_b32_e32 v9, v3
	v_mov_b32_e32 v8, v2
	v_bfe_u32 v12, v2, 23, 1
; %bb.6877:                             ;   in Loop: Header=BB4_6216 Depth=3
	s_or_b64 exec, exec, s[28:29]
	v_lshrrev_b64 v[8:9], 20, v[8:9]
	v_cmp_gt_i32_e32 vcc, 16, v12
	v_cndmask_b32_e32 v9, 0, v9, vcc
	v_cndmask_b32_e32 v8, 7, v8, vcc
	v_min_i32_e32 v2, 15, v12
	v_cmp_eq_u64_e64 s[28:29], 0, v[8:9]
	v_lshlrev_b32_e32 v2, 3, v2
	v_cmp_eq_u32_e32 vcc, 0, v12
	v_and_b32_e32 v2, 0xf8, v2
	v_and_or_b32 v2, v8, 7, v2
	s_and_b64 s[28:29], vcc, s[28:29]
	v_cndmask_b32_e64 v2, v2, 0, s[28:29]
	v_or_b32_e32 v61, v2, v14
.LBB4_6878:                             ;   in Loop: Header=BB4_6216 Depth=3
	s_or_b64 exec, exec, s[36:37]
                                        ; implicit-def: $vgpr14
.LBB4_6879:                             ;   in Loop: Header=BB4_6216 Depth=3
	s_andn2_saveexec_b64 s[28:29], s[34:35]
; %bb.6880:                             ;   in Loop: Header=BB4_6216 Depth=3
	v_or_b32_e32 v61, 0x7e, v14
; %bb.6881:                             ;   in Loop: Header=BB4_6216 Depth=3
	s_or_b64 exec, exec, s[28:29]
                                        ; implicit-def: $vgpr8
.LBB4_6882:                             ;   in Loop: Header=BB4_6216 Depth=3
	s_andn2_saveexec_b64 s[28:29], s[30:31]
; %bb.6883:                             ;   in Loop: Header=BB4_6216 Depth=3
	v_or_b32_sdwa v61, v8, s68 dst_sel:DWORD dst_unused:UNUSED_PAD src0_sel:BYTE_3 src1_sel:DWORD
; %bb.6884:                             ;   in Loop: Header=BB4_6216 Depth=3
	s_or_b64 exec, exec, s[28:29]
	v_lshrrev_b32_e32 v2, 16, v11
	v_cmp_ne_u16_sdwa vcc, v2, v3 src0_sel:BYTE_0 src1_sel:DWORD
	v_mov_b32_e32 v8, 0
	s_and_saveexec_b64 s[28:29], vcc
	s_cbranch_execz .LBB4_6890
; %bb.6885:                             ;   in Loop: Header=BB4_6216 Depth=3
	v_cmp_ne_u16_sdwa vcc, v2, s70 src0_sel:BYTE_0 src1_sel:DWORD
	v_bfrev_b32_e32 v8, 1
	s_and_saveexec_b64 s[30:31], vcc
	s_cbranch_execz .LBB4_6889
; %bb.6886:                             ;   in Loop: Header=BB4_6216 Depth=3
	v_bfe_u32 v9, v11, 16, 7
	v_cmp_ne_u32_e32 vcc, s68, v9
	v_mov_b32_e32 v8, 0x7f800001
	s_and_saveexec_b64 s[34:35], vcc
	s_cbranch_execz .LBB4_6888
; %bb.6887:                             ;   in Loop: Header=BB4_6216 Depth=3
	v_and_b32_e32 v12, 7, v2
	v_ffbh_u32_e32 v8, v12
	v_min_u32_e32 v14, 32, v8
	v_subrev_u32_e32 v8, 28, v14
	v_lshrrev_b32_e32 v13, 3, v9
	v_cmp_gt_u32_e32 vcc, 8, v9
	v_lshlrev_b64 v[8:9], v8, v[2:3]
	v_sub_u32_e32 v9, 29, v14
	v_and_b32_e32 v8, 7, v8
	v_cndmask_b32_e32 v9, v13, v9, vcc
	v_cndmask_b32_e32 v8, v12, v8, vcc
	v_lshlrev_b32_e32 v2, 24, v2
	v_lshlrev_b32_e32 v8, 20, v8
	v_and_b32_e32 v2, 0x80000000, v2
	v_lshl_add_u32 v9, v9, 23, v5
	v_or3_b32 v8, v2, v9, v8
.LBB4_6888:                             ;   in Loop: Header=BB4_6216 Depth=3
	s_or_b64 exec, exec, s[34:35]
.LBB4_6889:                             ;   in Loop: Header=BB4_6216 Depth=3
	s_or_b64 exec, exec, s[30:31]
.LBB4_6890:                             ;   in Loop: Header=BB4_6216 Depth=3
	s_or_b64 exec, exec, s[28:29]
	v_mul_f32_e32 v8, v15, v8
	v_and_b32_e32 v2, 0x7f800000, v8
	v_cmp_ne_u64_e32 vcc, s[62:63], v[2:3]
                                        ; implicit-def: $vgpr2
                                        ; kill: killed $vgpr2
	s_and_saveexec_b64 s[28:29], vcc
	s_xor_b64 s[30:31], exec, s[28:29]
	s_cbranch_execz .LBB4_6904
; %bb.6891:                             ;   in Loop: Header=BB4_6216 Depth=3
	v_and_b32_e32 v2, 0x7fffffff, v8
	v_cmp_gt_u64_e32 vcc, s[72:73], v[2:3]
	v_and_b32_sdwa v14, v8, s70 dst_sel:DWORD dst_unused:UNUSED_PAD src0_sel:BYTE_3 src1_sel:DWORD
                                        ; implicit-def: $vgpr2
                                        ; kill: killed $vgpr2
	s_and_saveexec_b64 s[28:29], vcc
	s_xor_b64 s[34:35], exec, s[28:29]
	s_cbranch_execz .LBB4_6901
; %bb.6892:                             ;   in Loop: Header=BB4_6216 Depth=3
	v_mov_b32_e32 v2, 0
	v_cmp_ne_u32_e32 vcc, 0, v8
	buffer_store_dword v2, off, s[0:3], s33 offset:204 ; 4-byte Folded Spill
	s_and_saveexec_b64 s[36:37], vcc
	s_cbranch_execz .LBB4_6900
; %bb.6893:                             ;   in Loop: Header=BB4_6216 Depth=3
	v_bfe_u32 v24, v8, 23, 8
	v_and_b32_e32 v2, 0x7fffff, v8
	v_cmp_gt_u32_e64 s[28:29], s71, v24
	v_sub_u32_e32 v8, 0x79, v24
	v_cmp_eq_u32_e32 vcc, 0, v24
	v_cndmask_b32_e64 v8, 0, v8, s[28:29]
	v_mov_b32_e32 v12, 0x78
	v_cndmask_b32_e32 v29, v8, v12, vcc
	v_or_b32_e32 v9, 0x800000, v2
	v_add_u32_e32 v8, 20, v29
	v_cndmask_b32_e32 v2, v9, v2, vcc
	v_lshlrev_b64 v[8:9], v8, -1
	v_add_u32_e32 v12, 19, v29
	v_lshlrev_b64 v[12:13], v12, 1
	v_bfi_b32 v9, v9, 0, 0
	v_bfi_b32 v8, v8, 0, v2
	v_cmp_eq_u64_e64 s[28:29], v[8:9], v[12:13]
	v_lshrrev_b64 v[8:9], v29, v[2:3]
	v_mov_b32_e32 v13, v9
	v_mov_b32_e32 v12, v8
	s_and_saveexec_b64 s[38:39], s[28:29]
; %bb.6894:                             ;   in Loop: Header=BB4_6216 Depth=3
	v_bfe_u32 v2, v8, 20, 1
	v_add_co_u32_e64 v2, s[28:29], v8, v2
	v_add_co_u32_e64 v12, s[28:29], -1, v2
; %bb.6895:                             ;   in Loop: Header=BB4_6216 Depth=3
	s_or_b64 exec, exec, s[38:39]
	v_add_u32_e32 v2, 0xffffff81, v24
	v_mov_b32_e32 v9, 0xffffff82
	v_cndmask_b32_e32 v2, v2, v9, vcc
	v_lshrrev_b32_e32 v9, 23, v8
	v_add3_u32 v24, v29, v2, v9
	v_add_u32_e32 v13, 6, v24
	v_and_b32_e32 v2, 0xfffff, v12
	v_add_u32_e32 v2, v2, v8
	v_cmp_ne_u32_e32 vcc, 0, v13
                                        ; implicit-def: $vgpr8_vgpr9
                                        ; implicit-def: $vgpr12
	s_and_saveexec_b64 s[28:29], vcc
	s_xor_b64 s[28:29], exec, s[28:29]
; %bb.6896:                             ;   in Loop: Header=BB4_6216 Depth=3
	v_cmp_lt_u64_e32 vcc, s[74:75], v[2:3]
	v_add_u32_e32 v8, 7, v24
	v_cndmask_b32_e32 v12, v13, v8, vcc
	v_cndmask_b32_e64 v8, 0, 1, vcc
	v_lshrrev_b64 v[8:9], v8, v[2:3]
; %bb.6897:                             ;   in Loop: Header=BB4_6216 Depth=3
	s_andn2_saveexec_b64 s[28:29], s[28:29]
; %bb.6898:                             ;   in Loop: Header=BB4_6216 Depth=3
	v_mov_b32_e32 v9, v3
	v_mov_b32_e32 v8, v2
	v_bfe_u32 v12, v2, 23, 1
; %bb.6899:                             ;   in Loop: Header=BB4_6216 Depth=3
	s_or_b64 exec, exec, s[28:29]
	v_lshrrev_b64 v[8:9], 20, v[8:9]
	v_cmp_gt_i32_e32 vcc, 16, v12
	v_cndmask_b32_e32 v9, 0, v9, vcc
	v_cndmask_b32_e32 v8, 7, v8, vcc
	v_min_i32_e32 v2, 15, v12
	v_cmp_eq_u64_e64 s[28:29], 0, v[8:9]
	v_lshlrev_b32_e32 v2, 3, v2
	v_cmp_eq_u32_e32 vcc, 0, v12
	v_and_b32_e32 v2, 0xf8, v2
	v_and_or_b32 v2, v8, 7, v2
	s_and_b64 s[28:29], vcc, s[28:29]
	v_cndmask_b32_e64 v2, v2, 0, s[28:29]
	v_or_b32_e32 v2, v2, v14
	buffer_store_dword v2, off, s[0:3], s33 offset:204 ; 4-byte Folded Spill
.LBB4_6900:                             ;   in Loop: Header=BB4_6216 Depth=3
	s_or_b64 exec, exec, s[36:37]
                                        ; implicit-def: $vgpr14
.LBB4_6901:                             ;   in Loop: Header=BB4_6216 Depth=3
	s_andn2_saveexec_b64 s[28:29], s[34:35]
	s_cbranch_execz .LBB4_6903
; %bb.6902:                             ;   in Loop: Header=BB4_6216 Depth=3
	v_or_b32_e32 v2, 0x7e, v14
	buffer_store_dword v2, off, s[0:3], s33 offset:204 ; 4-byte Folded Spill
.LBB4_6903:                             ;   in Loop: Header=BB4_6216 Depth=3
	s_or_b64 exec, exec, s[28:29]
                                        ; implicit-def: $vgpr8
.LBB4_6904:                             ;   in Loop: Header=BB4_6216 Depth=3
	s_andn2_saveexec_b64 s[28:29], s[30:31]
	s_cbranch_execz .LBB4_6906
; %bb.6905:                             ;   in Loop: Header=BB4_6216 Depth=3
	v_or_b32_sdwa v2, v8, s68 dst_sel:DWORD dst_unused:UNUSED_PAD src0_sel:BYTE_3 src1_sel:DWORD
	buffer_store_dword v2, off, s[0:3], s33 offset:204 ; 4-byte Folded Spill
.LBB4_6906:                             ;   in Loop: Header=BB4_6216 Depth=3
	s_or_b64 exec, exec, s[28:29]
	v_cmp_lt_u64_e32 vcc, s[56:57], v[10:11]
	v_mov_b32_e32 v8, 0
	s_and_saveexec_b64 s[28:29], vcc
	s_cbranch_execz .LBB4_6912
; %bb.6907:                             ;   in Loop: Header=BB4_6216 Depth=3
	v_lshrrev_b32_e32 v2, 24, v11
	v_cmp_ne_u32_e32 vcc, s70, v2
	v_bfrev_b32_e32 v8, 1
	s_and_saveexec_b64 s[30:31], vcc
	s_cbranch_execz .LBB4_6911
; %bb.6908:                             ;   in Loop: Header=BB4_6216 Depth=3
	v_bfe_u32 v9, v11, 24, 7
	v_cmp_ne_u32_e32 vcc, s68, v9
	v_mov_b32_e32 v8, 0x7f800001
	s_and_saveexec_b64 s[34:35], vcc
	s_cbranch_execz .LBB4_6910
; %bb.6909:                             ;   in Loop: Header=BB4_6216 Depth=3
	v_and_b32_e32 v10, 7, v2
	v_ffbh_u32_e32 v8, v10
	v_min_u32_e32 v12, 32, v8
	v_subrev_u32_e32 v8, 28, v12
	v_lshrrev_b32_e32 v11, 3, v9
	v_cmp_gt_u32_e32 vcc, 8, v9
	v_lshlrev_b64 v[8:9], v8, v[2:3]
	v_sub_u32_e32 v9, 29, v12
	v_and_b32_e32 v8, 7, v8
	v_cndmask_b32_e32 v9, v11, v9, vcc
	v_cndmask_b32_e32 v8, v10, v8, vcc
	v_lshlrev_b32_e32 v2, 24, v2
	v_lshlrev_b32_e32 v8, 20, v8
	v_and_b32_e32 v2, 0x80000000, v2
	v_lshl_add_u32 v9, v9, 23, v5
	v_or3_b32 v8, v2, v9, v8
.LBB4_6910:                             ;   in Loop: Header=BB4_6216 Depth=3
	s_or_b64 exec, exec, s[34:35]
.LBB4_6911:                             ;   in Loop: Header=BB4_6216 Depth=3
	s_or_b64 exec, exec, s[30:31]
.LBB4_6912:                             ;   in Loop: Header=BB4_6216 Depth=3
	s_or_b64 exec, exec, s[28:29]
	v_mul_f32_e32 v8, v15, v8
	v_and_b32_e32 v2, 0x7f800000, v8
	v_cmp_ne_u64_e32 vcc, s[62:63], v[2:3]
                                        ; implicit-def: $vgpr24
	s_and_saveexec_b64 s[28:29], vcc
	s_xor_b64 s[30:31], exec, s[28:29]
	s_cbranch_execz .LBB4_6926
; %bb.6913:                             ;   in Loop: Header=BB4_6216 Depth=3
	v_and_b32_e32 v2, 0x7fffffff, v8
	v_cmp_gt_u64_e32 vcc, s[72:73], v[2:3]
	v_and_b32_sdwa v11, v8, s70 dst_sel:DWORD dst_unused:UNUSED_PAD src0_sel:BYTE_3 src1_sel:DWORD
                                        ; implicit-def: $vgpr24
	s_and_saveexec_b64 s[28:29], vcc
	s_xor_b64 s[34:35], exec, s[28:29]
	s_cbranch_execz .LBB4_6923
; %bb.6914:                             ;   in Loop: Header=BB4_6216 Depth=3
	v_mov_b32_e32 v24, 0
	v_cmp_ne_u32_e32 vcc, 0, v8
	s_and_saveexec_b64 s[36:37], vcc
	s_cbranch_execz .LBB4_6922
; %bb.6915:                             ;   in Loop: Header=BB4_6216 Depth=3
	v_bfe_u32 v12, v8, 23, 8
	v_and_b32_e32 v2, 0x7fffff, v8
	v_cmp_gt_u32_e64 s[28:29], s71, v12
	v_sub_u32_e32 v8, 0x79, v12
	v_cmp_eq_u32_e32 vcc, 0, v12
	v_cndmask_b32_e64 v8, 0, v8, s[28:29]
	v_mov_b32_e32 v10, 0x78
	v_cndmask_b32_e32 v13, v8, v10, vcc
	v_or_b32_e32 v9, 0x800000, v2
	v_add_u32_e32 v8, 20, v13
	v_cndmask_b32_e32 v2, v9, v2, vcc
	v_lshlrev_b64 v[8:9], v8, -1
	v_add_u32_e32 v10, 19, v13
	v_lshlrev_b64 v[14:15], v10, 1
	v_bfi_b32 v9, v9, 0, 0
	v_bfi_b32 v8, v8, 0, v2
	v_cmp_eq_u64_e64 s[28:29], v[8:9], v[14:15]
	v_lshrrev_b64 v[8:9], v13, v[2:3]
	v_mov_b32_e32 v10, v9
	v_mov_b32_e32 v9, v8
	s_and_saveexec_b64 s[38:39], s[28:29]
; %bb.6916:                             ;   in Loop: Header=BB4_6216 Depth=3
	v_bfe_u32 v2, v8, 20, 1
	v_add_co_u32_e64 v2, s[28:29], v8, v2
	v_add_co_u32_e64 v9, s[28:29], -1, v2
; %bb.6917:                             ;   in Loop: Header=BB4_6216 Depth=3
	s_or_b64 exec, exec, s[38:39]
	v_add_u32_e32 v2, 0xffffff81, v12
	v_mov_b32_e32 v10, 0xffffff82
	v_cndmask_b32_e32 v2, v2, v10, vcc
	v_lshrrev_b32_e32 v10, 23, v8
	v_add3_u32 v13, v13, v2, v10
	v_add_u32_e32 v12, 6, v13
	v_and_b32_e32 v2, 0xfffff, v9
	v_add_u32_e32 v2, v2, v8
	v_cmp_ne_u32_e32 vcc, 0, v12
                                        ; implicit-def: $vgpr8_vgpr9
                                        ; implicit-def: $vgpr10
	s_and_saveexec_b64 s[28:29], vcc
	s_xor_b64 s[28:29], exec, s[28:29]
; %bb.6918:                             ;   in Loop: Header=BB4_6216 Depth=3
	v_cmp_lt_u64_e32 vcc, s[74:75], v[2:3]
	v_add_u32_e32 v8, 7, v13
	v_cndmask_b32_e32 v10, v12, v8, vcc
	v_cndmask_b32_e64 v8, 0, 1, vcc
	v_lshrrev_b64 v[8:9], v8, v[2:3]
; %bb.6919:                             ;   in Loop: Header=BB4_6216 Depth=3
	s_andn2_saveexec_b64 s[28:29], s[28:29]
; %bb.6920:                             ;   in Loop: Header=BB4_6216 Depth=3
	v_mov_b32_e32 v9, v3
	v_mov_b32_e32 v8, v2
	v_bfe_u32 v10, v2, 23, 1
; %bb.6921:                             ;   in Loop: Header=BB4_6216 Depth=3
	s_or_b64 exec, exec, s[28:29]
	v_lshrrev_b64 v[8:9], 20, v[8:9]
	v_cmp_gt_i32_e32 vcc, 16, v10
	v_cndmask_b32_e32 v9, 0, v9, vcc
	v_cndmask_b32_e32 v8, 7, v8, vcc
	v_min_i32_e32 v2, 15, v10
	v_cmp_eq_u64_e64 s[28:29], 0, v[8:9]
	v_lshlrev_b32_e32 v2, 3, v2
	v_cmp_eq_u32_e32 vcc, 0, v10
	v_and_b32_e32 v2, 0xf8, v2
	v_and_or_b32 v2, v8, 7, v2
	s_and_b64 s[28:29], vcc, s[28:29]
	v_cndmask_b32_e64 v2, v2, 0, s[28:29]
	v_or_b32_e32 v24, v2, v11
.LBB4_6922:                             ;   in Loop: Header=BB4_6216 Depth=3
	s_or_b64 exec, exec, s[36:37]
                                        ; implicit-def: $vgpr11
.LBB4_6923:                             ;   in Loop: Header=BB4_6216 Depth=3
	s_andn2_saveexec_b64 s[28:29], s[34:35]
; %bb.6924:                             ;   in Loop: Header=BB4_6216 Depth=3
	v_or_b32_e32 v24, 0x7e, v11
; %bb.6925:                             ;   in Loop: Header=BB4_6216 Depth=3
	s_or_b64 exec, exec, s[28:29]
                                        ; implicit-def: $vgpr8
.LBB4_6926:                             ;   in Loop: Header=BB4_6216 Depth=3
	s_andn2_saveexec_b64 s[28:29], s[30:31]
; %bb.6927:                             ;   in Loop: Header=BB4_6216 Depth=3
	v_or_b32_sdwa v24, v8, s68 dst_sel:DWORD dst_unused:UNUSED_PAD src0_sel:BYTE_3 src1_sel:DWORD
; %bb.6928:                             ;   in Loop: Header=BB4_6216 Depth=3
	s_or_b64 exec, exec, s[28:29]
	global_load_dwordx4 v[12:15], v[57:58], off glc slc
	global_load_dwordx4 v[8:11], v[57:58], off offset:1024 glc slc
	v_lshl_or_b32 v25, v25, 8, v7
	v_lshlrev_b32_e32 v2, 16, v26
	v_lshlrev_b32_e32 v22, 24, v28
	v_or3_b32 v2, v2, v22, v25
	v_cmp_ne_u32_e32 vcc, 0, v7
	v_mov_b32_e32 v26, 0
	v_mov_b32_e32 v28, 0
	s_and_saveexec_b64 s[28:29], vcc
	s_cbranch_execz .LBB4_6934
; %bb.6929:                             ;   in Loop: Header=BB4_6216 Depth=3
	v_cmp_ne_u32_e32 vcc, s70, v7
	v_bfrev_b32_e32 v28, 1
	s_and_saveexec_b64 s[30:31], vcc
	s_cbranch_execz .LBB4_6933
; %bb.6930:                             ;   in Loop: Header=BB4_6216 Depth=3
	v_and_b32_e32 v29, 0x7f, v7
	v_cmp_ne_u32_e32 vcc, s68, v29
	v_mov_b32_e32 v28, 0x7f800001
	s_and_saveexec_b64 s[34:35], vcc
	s_cbranch_execz .LBB4_6932
; %bb.6931:                             ;   in Loop: Header=BB4_6216 Depth=3
	v_and_b32_e32 v7, 7, v7
	v_ffbh_u32_e32 v7, v7
	v_min_u32_e32 v7, 32, v7
	v_lshrrev_b32_e32 v22, 3, v29
	v_cmp_gt_u32_e32 vcc, 8, v29
	v_subrev_u32_e32 v23, 28, v7
	v_sub_u32_e32 v7, 29, v7
	v_cndmask_b32_e32 v7, v22, v7, vcc
	v_cndmask_b32_e32 v22, 0, v23, vcc
	v_lshlrev_b64 v[28:29], v22, v[2:3]
	v_lshlrev_b32_e32 v23, 24, v2
	v_lshlrev_b32_e32 v22, 20, v28
	v_and_b32_e32 v22, 0x700000, v22
	v_and_b32_e32 v23, 0x80000000, v23
	v_lshl_add_u32 v7, v7, 23, v5
	v_or3_b32 v28, v23, v7, v22
.LBB4_6932:                             ;   in Loop: Header=BB4_6216 Depth=3
	s_or_b64 exec, exec, s[34:35]
.LBB4_6933:                             ;   in Loop: Header=BB4_6216 Depth=3
	s_or_b64 exec, exec, s[30:31]
.LBB4_6934:                             ;   in Loop: Header=BB4_6216 Depth=3
	s_or_b64 exec, exec, s[28:29]
	s_waitcnt vmcnt(1)
	v_cmp_ne_u16_sdwa vcc, v12, v3 src0_sel:BYTE_0 src1_sel:DWORD
	s_and_saveexec_b64 s[28:29], vcc
	s_cbranch_execz .LBB4_6940
; %bb.6935:                             ;   in Loop: Header=BB4_6216 Depth=3
	v_cmp_ne_u16_sdwa vcc, v12, s70 src0_sel:BYTE_0 src1_sel:DWORD
	v_bfrev_b32_e32 v26, 1
	s_and_saveexec_b64 s[30:31], vcc
	s_cbranch_execz .LBB4_6939
; %bb.6936:                             ;   in Loop: Header=BB4_6216 Depth=3
	v_and_b32_e32 v7, 0x7f, v12
	v_cmp_ne_u32_e32 vcc, s68, v7
	v_mov_b32_e32 v26, 0x7f800001
	s_and_saveexec_b64 s[34:35], vcc
	s_cbranch_execz .LBB4_6938
; %bb.6937:                             ;   in Loop: Header=BB4_6216 Depth=3
	v_and_b32_e32 v22, 7, v12
	v_lshrrev_b32_e32 v23, 3, v7
	v_cmp_gt_u32_e32 vcc, 8, v7
	v_ffbh_u32_e32 v7, v22
	v_min_u32_e32 v7, 32, v7
	v_subrev_u32_e32 v22, 28, v7
	v_cndmask_b32_e32 v22, 0, v22, vcc
	v_lshlrev_b64 v[29:30], v22, v[12:13]
	v_sub_u32_e32 v7, 29, v7
	v_cndmask_b32_e32 v7, v23, v7, vcc
	v_lshlrev_b32_e32 v22, 20, v29
	v_lshlrev_b32_e32 v23, 24, v12
	v_and_b32_e32 v22, 0x700000, v22
	v_and_b32_e32 v23, 0x80000000, v23
	v_lshl_add_u32 v7, v7, 23, v5
	v_or3_b32 v26, v23, v7, v22
.LBB4_6938:                             ;   in Loop: Header=BB4_6216 Depth=3
	s_or_b64 exec, exec, s[34:35]
.LBB4_6939:                             ;   in Loop: Header=BB4_6216 Depth=3
	s_or_b64 exec, exec, s[30:31]
.LBB4_6940:                             ;   in Loop: Header=BB4_6216 Depth=3
	s_or_b64 exec, exec, s[28:29]
	v_add_f32_e32 v26, v28, v26
	v_and_b32_e32 v28, 0x7f800000, v26
	v_mov_b32_e32 v29, v3
	v_cmp_ne_u64_e32 vcc, s[62:63], v[28:29]
                                        ; implicit-def: $vgpr33
	s_and_saveexec_b64 s[28:29], vcc
	s_xor_b64 s[30:31], exec, s[28:29]
	s_cbranch_execz .LBB4_6954
; %bb.6941:                             ;   in Loop: Header=BB4_6216 Depth=3
	v_and_b32_e32 v28, 0x7fffffff, v26
	v_mov_b32_e32 v29, v3
	v_cmp_gt_u64_e32 vcc, s[72:73], v[28:29]
	v_and_b32_sdwa v7, v26, s70 dst_sel:DWORD dst_unused:UNUSED_PAD src0_sel:BYTE_3 src1_sel:DWORD
                                        ; implicit-def: $vgpr33
	s_and_saveexec_b64 s[28:29], vcc
	s_xor_b64 s[34:35], exec, s[28:29]
	s_cbranch_execz .LBB4_6951
; %bb.6942:                             ;   in Loop: Header=BB4_6216 Depth=3
	v_mov_b32_e32 v33, 0
	v_cmp_ne_u32_e32 vcc, 0, v26
	s_and_saveexec_b64 s[36:37], vcc
	s_cbranch_execz .LBB4_6950
; %bb.6943:                             ;   in Loop: Header=BB4_6216 Depth=3
	v_and_b32_e32 v22, 0x7fffff, v26
	v_bfe_u32 v26, v26, 23, 8
	v_cmp_gt_u32_e64 s[28:29], s71, v26
	v_sub_u32_e32 v23, 0x79, v26
	v_cmp_eq_u32_e32 vcc, 0, v26
	v_cndmask_b32_e64 v23, 0, v23, s[28:29]
	v_mov_b32_e32 v28, 0x78
	v_or_b32_e32 v29, 0x800000, v22
	v_cndmask_b32_e32 v28, v23, v28, vcc
	v_cndmask_b32_e32 v29, v29, v22, vcc
	v_add_u32_e32 v22, 20, v28
	v_lshlrev_b64 v[59:60], v22, -1
	v_add_u32_e32 v22, 19, v28
	v_lshlrev_b64 v[53:54], v22, 1
	v_mov_b32_e32 v30, v3
	v_bfi_b32 v60, v60, 0, 0
	v_bfi_b32 v59, v59, 0, v29
	v_cmp_eq_u64_e64 s[28:29], v[59:60], v[53:54]
	v_lshrrev_b64 v[59:60], v28, v[29:30]
	v_mov_b32_e32 v32, v61
	v_mov_b32_e32 v61, v60
	;; [unrolled: 1-line block ×3, first 2 shown]
	s_and_saveexec_b64 s[38:39], s[28:29]
; %bb.6944:                             ;   in Loop: Header=BB4_6216 Depth=3
	v_bfe_u32 v22, v59, 20, 1
	v_add_co_u32_e64 v22, s[28:29], v59, v22
	v_add_co_u32_e64 v60, s[28:29], -1, v22
; %bb.6945:                             ;   in Loop: Header=BB4_6216 Depth=3
	s_or_b64 exec, exec, s[38:39]
	v_add_u32_e32 v22, 0xffffff81, v26
	v_mov_b32_e32 v23, 0xffffff82
	v_cndmask_b32_e32 v22, v22, v23, vcc
	v_lshrrev_b32_e32 v23, 23, v59
	v_add3_u32 v29, v28, v22, v23
	v_add_u32_e32 v28, 6, v29
	v_and_b32_e32 v22, 0xfffff, v60
	v_add_u32_e32 v59, v22, v59
	v_mov_b32_e32 v60, v3
	v_cmp_ne_u32_e32 vcc, 0, v28
                                        ; implicit-def: $vgpr26
	s_and_saveexec_b64 s[28:29], vcc
	s_xor_b64 s[28:29], exec, s[28:29]
; %bb.6946:                             ;   in Loop: Header=BB4_6216 Depth=3
	v_cmp_lt_u64_e32 vcc, s[74:75], v[59:60]
	v_add_u32_e32 v22, 7, v29
	v_cndmask_b32_e32 v26, v28, v22, vcc
	v_cndmask_b32_e64 v22, 0, 1, vcc
	v_lshrrev_b64 v[59:60], v22, v[59:60]
; %bb.6947:                             ;   in Loop: Header=BB4_6216 Depth=3
	s_or_saveexec_b64 s[28:29], s[28:29]
	v_mov_b32_e32 v61, v32
	s_xor_b64 exec, exec, s[28:29]
; %bb.6948:                             ;   in Loop: Header=BB4_6216 Depth=3
	v_bfe_u32 v26, v59, 23, 1
; %bb.6949:                             ;   in Loop: Header=BB4_6216 Depth=3
	s_or_b64 exec, exec, s[28:29]
	v_lshrrev_b64 v[28:29], 20, v[59:60]
	v_cmp_gt_i32_e32 vcc, 16, v26
	v_cndmask_b32_e32 v29, 0, v29, vcc
	v_cndmask_b32_e32 v28, 7, v28, vcc
	v_min_i32_e32 v22, 15, v26
	v_cmp_eq_u64_e64 s[28:29], 0, v[28:29]
	v_lshlrev_b32_e32 v22, 3, v22
	v_cmp_eq_u32_e32 vcc, 0, v26
	v_and_b32_e32 v22, 0xf8, v22
	v_and_or_b32 v22, v28, 7, v22
	s_and_b64 s[28:29], vcc, s[28:29]
	v_cndmask_b32_e64 v22, v22, 0, s[28:29]
	v_or_b32_e32 v33, v22, v7
.LBB4_6950:                             ;   in Loop: Header=BB4_6216 Depth=3
	s_or_b64 exec, exec, s[36:37]
                                        ; implicit-def: $vgpr7
.LBB4_6951:                             ;   in Loop: Header=BB4_6216 Depth=3
	s_andn2_saveexec_b64 s[28:29], s[34:35]
; %bb.6952:                             ;   in Loop: Header=BB4_6216 Depth=3
	v_or_b32_e32 v33, 0x7e, v7
; %bb.6953:                             ;   in Loop: Header=BB4_6216 Depth=3
	s_or_b64 exec, exec, s[28:29]
                                        ; implicit-def: $vgpr26
.LBB4_6954:                             ;   in Loop: Header=BB4_6216 Depth=3
	s_andn2_saveexec_b64 s[28:29], s[30:31]
; %bb.6955:                             ;   in Loop: Header=BB4_6216 Depth=3
	v_or_b32_sdwa v33, v26, s68 dst_sel:DWORD dst_unused:UNUSED_PAD src0_sel:BYTE_3 src1_sel:DWORD
; %bb.6956:                             ;   in Loop: Header=BB4_6216 Depth=3
	s_or_b64 exec, exec, s[28:29]
	v_lshrrev_b16_e32 v30, 8, v25
	v_cmp_ne_u16_e32 vcc, 0, v30
	v_mov_b32_e32 v7, 0
	v_mov_b32_e32 v26, 0
	s_and_saveexec_b64 s[28:29], vcc
	s_cbranch_execz .LBB4_6962
; %bb.6957:                             ;   in Loop: Header=BB4_6216 Depth=3
	v_cmp_ne_u16_e32 vcc, s70, v30
	v_bfrev_b32_e32 v26, 1
	s_and_saveexec_b64 s[30:31], vcc
	s_cbranch_execz .LBB4_6961
; %bb.6958:                             ;   in Loop: Header=BB4_6216 Depth=3
	v_and_b32_e32 v28, 0x7f, v30
	v_cmp_ne_u32_e32 vcc, s68, v28
	v_mov_b32_e32 v26, 0x7f800001
	s_and_saveexec_b64 s[34:35], vcc
	s_cbranch_execz .LBB4_6960
; %bb.6959:                             ;   in Loop: Header=BB4_6216 Depth=3
	v_and_b32_e32 v22, 7, v30
	v_ffbh_u32_e32 v26, v22
	v_min_u32_e32 v26, 32, v26
	v_lshrrev_b32_e32 v23, 3, v28
	v_cmp_gt_u32_e32 vcc, 8, v28
	v_subrev_u32_e32 v28, 28, v26
	v_lshlrev_b64 v[28:29], v28, v[30:31]
	v_sub_u32_e32 v26, 29, v26
	v_and_b32_e32 v28, 7, v28
	v_cndmask_b32_e32 v23, v23, v26, vcc
	v_cndmask_b32_e32 v22, v22, v28, vcc
	v_lshlrev_b32_e32 v25, 16, v25
	v_lshlrev_b32_e32 v22, 20, v22
	v_and_b32_e32 v25, 0x80000000, v25
	v_lshl_add_u32 v23, v23, 23, v5
	v_or3_b32 v26, v25, v23, v22
.LBB4_6960:                             ;   in Loop: Header=BB4_6216 Depth=3
	s_or_b64 exec, exec, s[34:35]
.LBB4_6961:                             ;   in Loop: Header=BB4_6216 Depth=3
	s_or_b64 exec, exec, s[30:31]
.LBB4_6962:                             ;   in Loop: Header=BB4_6216 Depth=3
	s_or_b64 exec, exec, s[28:29]
	v_lshrrev_b16_e32 v30, 8, v12
	v_cmp_ne_u16_e32 vcc, 0, v30
	s_and_saveexec_b64 s[28:29], vcc
	s_cbranch_execz .LBB4_6968
; %bb.6963:                             ;   in Loop: Header=BB4_6216 Depth=3
	v_cmp_ne_u16_e32 vcc, s70, v30
	v_bfrev_b32_e32 v7, 1
	s_and_saveexec_b64 s[30:31], vcc
	s_cbranch_execz .LBB4_6967
; %bb.6964:                             ;   in Loop: Header=BB4_6216 Depth=3
	v_and_b32_e32 v25, 0x7f, v30
	v_cmp_ne_u32_e32 vcc, s68, v25
	v_mov_b32_e32 v7, 0x7f800001
	s_and_saveexec_b64 s[34:35], vcc
	s_cbranch_execz .LBB4_6966
; %bb.6965:                             ;   in Loop: Header=BB4_6216 Depth=3
	v_and_b32_e32 v7, 7, v30
	v_ffbh_u32_e32 v23, v7
	v_min_u32_e32 v23, 32, v23
	v_lshrrev_b32_e32 v22, 3, v25
	v_cmp_gt_u32_e32 vcc, 8, v25
	v_subrev_u32_e32 v25, 28, v23
	v_lshlrev_b64 v[28:29], v25, v[30:31]
	v_sub_u32_e32 v23, 29, v23
	v_and_b32_e32 v25, 7, v28
	v_cndmask_b32_e32 v22, v22, v23, vcc
	v_cndmask_b32_e32 v7, v7, v25, vcc
	v_lshlrev_b32_e32 v23, 16, v12
	v_lshlrev_b32_e32 v7, 20, v7
	v_and_b32_e32 v23, 0x80000000, v23
	v_lshl_add_u32 v22, v22, 23, v5
	v_or3_b32 v7, v23, v22, v7
.LBB4_6966:                             ;   in Loop: Header=BB4_6216 Depth=3
	s_or_b64 exec, exec, s[34:35]
.LBB4_6967:                             ;   in Loop: Header=BB4_6216 Depth=3
	s_or_b64 exec, exec, s[30:31]
.LBB4_6968:                             ;   in Loop: Header=BB4_6216 Depth=3
	s_or_b64 exec, exec, s[28:29]
	v_add_f32_e32 v26, v26, v7
	v_and_b32_e32 v28, 0x7f800000, v26
	v_mov_b32_e32 v29, v3
	v_cmp_ne_u64_e32 vcc, s[62:63], v[28:29]
                                        ; implicit-def: $vgpr7
	s_and_saveexec_b64 s[28:29], vcc
	s_xor_b64 s[30:31], exec, s[28:29]
	s_cbranch_execz .LBB4_6982
; %bb.6969:                             ;   in Loop: Header=BB4_6216 Depth=3
	v_and_b32_e32 v28, 0x7fffffff, v26
	v_mov_b32_e32 v29, v3
	v_cmp_gt_u64_e32 vcc, s[72:73], v[28:29]
	v_and_b32_sdwa v25, v26, s70 dst_sel:DWORD dst_unused:UNUSED_PAD src0_sel:BYTE_3 src1_sel:DWORD
                                        ; implicit-def: $vgpr7
	s_and_saveexec_b64 s[28:29], vcc
	s_xor_b64 s[34:35], exec, s[28:29]
	s_cbranch_execz .LBB4_6979
; %bb.6970:                             ;   in Loop: Header=BB4_6216 Depth=3
	v_mov_b32_e32 v7, 0
	v_cmp_ne_u32_e32 vcc, 0, v26
	s_and_saveexec_b64 s[36:37], vcc
	s_cbranch_execz .LBB4_6978
; %bb.6971:                             ;   in Loop: Header=BB4_6216 Depth=3
	v_bfe_u32 v7, v26, 23, 8
	v_cmp_gt_u32_e64 s[28:29], s71, v7
	v_sub_u32_e32 v23, 0x79, v7
	v_and_b32_e32 v22, 0x7fffff, v26
	v_cmp_eq_u32_e32 vcc, 0, v7
	v_cndmask_b32_e64 v23, 0, v23, s[28:29]
	v_mov_b32_e32 v26, 0x78
	v_or_b32_e32 v28, 0x800000, v22
	v_cndmask_b32_e32 v26, v23, v26, vcc
	v_cndmask_b32_e32 v28, v28, v22, vcc
	v_add_u32_e32 v22, 20, v26
	v_lshlrev_b64 v[53:54], v22, -1
	v_add_u32_e32 v22, 19, v26
	v_lshlrev_b64 v[59:60], v22, 1
	v_mov_b32_e32 v29, v3
	v_bfi_b32 v54, v54, 0, 0
	v_bfi_b32 v53, v53, 0, v28
	v_cmp_eq_u64_e64 s[28:29], v[53:54], v[59:60]
	v_lshrrev_b64 v[59:60], v26, v[28:29]
	v_mov_b32_e32 v30, v61
	v_mov_b32_e32 v61, v60
	;; [unrolled: 1-line block ×3, first 2 shown]
	s_and_saveexec_b64 s[38:39], s[28:29]
; %bb.6972:                             ;   in Loop: Header=BB4_6216 Depth=3
	v_bfe_u32 v22, v59, 20, 1
	v_add_co_u32_e64 v22, s[28:29], v59, v22
	v_add_co_u32_e64 v60, s[28:29], -1, v22
; %bb.6973:                             ;   in Loop: Header=BB4_6216 Depth=3
	s_or_b64 exec, exec, s[38:39]
	v_add_u32_e32 v7, 0xffffff81, v7
	v_mov_b32_e32 v22, 0xffffff82
	v_cndmask_b32_e32 v7, v7, v22, vcc
	v_lshrrev_b32_e32 v22, 23, v59
	v_add3_u32 v28, v26, v7, v22
	v_add_u32_e32 v26, 6, v28
	v_and_b32_e32 v7, 0xfffff, v60
	v_add_u32_e32 v59, v7, v59
	v_mov_b32_e32 v60, v3
	v_cmp_ne_u32_e32 vcc, 0, v26
                                        ; implicit-def: $vgpr7
	s_and_saveexec_b64 s[28:29], vcc
	s_xor_b64 s[28:29], exec, s[28:29]
; %bb.6974:                             ;   in Loop: Header=BB4_6216 Depth=3
	v_cmp_lt_u64_e32 vcc, s[74:75], v[59:60]
	v_add_u32_e32 v7, 7, v28
	v_cndmask_b32_e64 v22, 0, 1, vcc
	v_cndmask_b32_e32 v7, v26, v7, vcc
	v_lshrrev_b64 v[59:60], v22, v[59:60]
; %bb.6975:                             ;   in Loop: Header=BB4_6216 Depth=3
	s_or_saveexec_b64 s[28:29], s[28:29]
	v_mov_b32_e32 v61, v30
	s_xor_b64 exec, exec, s[28:29]
; %bb.6976:                             ;   in Loop: Header=BB4_6216 Depth=3
	v_bfe_u32 v7, v59, 23, 1
; %bb.6977:                             ;   in Loop: Header=BB4_6216 Depth=3
	s_or_b64 exec, exec, s[28:29]
	v_lshrrev_b64 v[28:29], 20, v[59:60]
	v_cmp_gt_i32_e32 vcc, 16, v7
	v_cndmask_b32_e32 v29, 0, v29, vcc
	v_cndmask_b32_e32 v28, 7, v28, vcc
	v_cmp_eq_u32_e32 vcc, 0, v7
	v_min_i32_e32 v7, 15, v7
	v_cmp_eq_u64_e64 s[28:29], 0, v[28:29]
	v_lshlrev_b32_e32 v7, 3, v7
	v_and_b32_e32 v7, 0xf8, v7
	v_and_or_b32 v7, v28, 7, v7
	s_and_b64 s[28:29], vcc, s[28:29]
	v_cndmask_b32_e64 v7, v7, 0, s[28:29]
	v_or_b32_e32 v7, v7, v25
.LBB4_6978:                             ;   in Loop: Header=BB4_6216 Depth=3
	s_or_b64 exec, exec, s[36:37]
                                        ; implicit-def: $vgpr25
.LBB4_6979:                             ;   in Loop: Header=BB4_6216 Depth=3
	s_andn2_saveexec_b64 s[28:29], s[34:35]
; %bb.6980:                             ;   in Loop: Header=BB4_6216 Depth=3
	v_or_b32_e32 v7, 0x7e, v25
; %bb.6981:                             ;   in Loop: Header=BB4_6216 Depth=3
	s_or_b64 exec, exec, s[28:29]
                                        ; implicit-def: $vgpr26
.LBB4_6982:                             ;   in Loop: Header=BB4_6216 Depth=3
	s_andn2_saveexec_b64 s[28:29], s[30:31]
; %bb.6983:                             ;   in Loop: Header=BB4_6216 Depth=3
	v_or_b32_sdwa v7, v26, s68 dst_sel:DWORD dst_unused:UNUSED_PAD src0_sel:BYTE_3 src1_sel:DWORD
; %bb.6984:                             ;   in Loop: Header=BB4_6216 Depth=3
	s_or_b64 exec, exec, s[28:29]
	v_lshrrev_b32_e32 v30, 16, v2
	v_cmp_ne_u16_sdwa vcc, v30, v3 src0_sel:BYTE_0 src1_sel:DWORD
	v_mov_b32_e32 v25, 0
	v_mov_b32_e32 v26, 0
	s_and_saveexec_b64 s[28:29], vcc
	s_cbranch_execz .LBB4_6990
; %bb.6985:                             ;   in Loop: Header=BB4_6216 Depth=3
	v_cmp_ne_u16_sdwa vcc, v30, s70 src0_sel:BYTE_0 src1_sel:DWORD
	v_bfrev_b32_e32 v26, 1
	s_and_saveexec_b64 s[30:31], vcc
	s_cbranch_execz .LBB4_6989
; %bb.6986:                             ;   in Loop: Header=BB4_6216 Depth=3
	v_bfe_u32 v28, v2, 16, 7
	v_cmp_ne_u32_e32 vcc, s68, v28
	v_mov_b32_e32 v26, 0x7f800001
	s_and_saveexec_b64 s[34:35], vcc
	s_cbranch_execz .LBB4_6988
; %bb.6987:                             ;   in Loop: Header=BB4_6216 Depth=3
	v_and_b32_e32 v22, 7, v30
	v_ffbh_u32_e32 v26, v22
	v_min_u32_e32 v26, 32, v26
	v_lshrrev_b32_e32 v23, 3, v28
	v_cmp_gt_u32_e32 vcc, 8, v28
	v_subrev_u32_e32 v28, 28, v26
	v_lshlrev_b64 v[28:29], v28, v[30:31]
	v_sub_u32_e32 v26, 29, v26
	v_and_b32_e32 v28, 7, v28
	v_cndmask_b32_e32 v23, v23, v26, vcc
	v_cndmask_b32_e32 v22, v22, v28, vcc
	v_lshlrev_b32_e32 v26, 24, v30
	v_lshlrev_b32_e32 v22, 20, v22
	v_and_b32_e32 v26, 0x80000000, v26
	v_lshl_add_u32 v23, v23, 23, v5
	v_or3_b32 v26, v26, v23, v22
.LBB4_6988:                             ;   in Loop: Header=BB4_6216 Depth=3
	s_or_b64 exec, exec, s[34:35]
.LBB4_6989:                             ;   in Loop: Header=BB4_6216 Depth=3
	s_or_b64 exec, exec, s[30:31]
.LBB4_6990:                             ;   in Loop: Header=BB4_6216 Depth=3
	s_or_b64 exec, exec, s[28:29]
	v_lshrrev_b32_e32 v30, 16, v12
	v_cmp_ne_u16_sdwa vcc, v30, v3 src0_sel:BYTE_0 src1_sel:DWORD
	s_and_saveexec_b64 s[28:29], vcc
	s_cbranch_execz .LBB4_6996
; %bb.6991:                             ;   in Loop: Header=BB4_6216 Depth=3
	v_cmp_ne_u16_sdwa vcc, v30, s70 src0_sel:BYTE_0 src1_sel:DWORD
	v_bfrev_b32_e32 v25, 1
	s_and_saveexec_b64 s[30:31], vcc
	s_cbranch_execz .LBB4_6995
; %bb.6992:                             ;   in Loop: Header=BB4_6216 Depth=3
	v_bfe_u32 v28, v12, 16, 7
	v_cmp_ne_u32_e32 vcc, s68, v28
	v_mov_b32_e32 v25, 0x7f800001
	s_and_saveexec_b64 s[34:35], vcc
	s_cbranch_execz .LBB4_6994
; %bb.6993:                             ;   in Loop: Header=BB4_6216 Depth=3
	v_and_b32_e32 v22, 7, v30
	v_ffbh_u32_e32 v25, v22
	v_min_u32_e32 v25, 32, v25
	v_lshrrev_b32_e32 v23, 3, v28
	v_cmp_gt_u32_e32 vcc, 8, v28
	v_subrev_u32_e32 v28, 28, v25
	v_lshlrev_b64 v[28:29], v28, v[30:31]
	v_sub_u32_e32 v25, 29, v25
	v_and_b32_e32 v28, 7, v28
	v_cndmask_b32_e32 v23, v23, v25, vcc
	v_cndmask_b32_e32 v22, v22, v28, vcc
	v_lshlrev_b32_e32 v25, 8, v12
	v_lshlrev_b32_e32 v22, 20, v22
	v_and_b32_e32 v25, 0x80000000, v25
	v_lshl_add_u32 v23, v23, 23, v5
	v_or3_b32 v25, v25, v23, v22
.LBB4_6994:                             ;   in Loop: Header=BB4_6216 Depth=3
	s_or_b64 exec, exec, s[34:35]
.LBB4_6995:                             ;   in Loop: Header=BB4_6216 Depth=3
	s_or_b64 exec, exec, s[30:31]
.LBB4_6996:                             ;   in Loop: Header=BB4_6216 Depth=3
	s_or_b64 exec, exec, s[28:29]
	v_add_f32_e32 v28, v26, v25
	v_and_b32_e32 v25, 0x7f800000, v28
	v_mov_b32_e32 v26, v3
	v_cmp_ne_u64_e32 vcc, s[62:63], v[25:26]
                                        ; implicit-def: $vgpr26
	s_and_saveexec_b64 s[28:29], vcc
	s_xor_b64 s[30:31], exec, s[28:29]
	s_cbranch_execz .LBB4_7010
; %bb.6997:                             ;   in Loop: Header=BB4_6216 Depth=3
	v_and_b32_e32 v25, 0x7fffffff, v28
	v_mov_b32_e32 v26, v3
	v_cmp_gt_u64_e32 vcc, s[72:73], v[25:26]
	v_and_b32_sdwa v25, v28, s70 dst_sel:DWORD dst_unused:UNUSED_PAD src0_sel:BYTE_3 src1_sel:DWORD
                                        ; implicit-def: $vgpr26
	s_and_saveexec_b64 s[28:29], vcc
	s_xor_b64 s[34:35], exec, s[28:29]
	s_cbranch_execz .LBB4_7007
; %bb.6998:                             ;   in Loop: Header=BB4_6216 Depth=3
	v_mov_b32_e32 v26, 0
	v_cmp_ne_u32_e32 vcc, 0, v28
	s_and_saveexec_b64 s[36:37], vcc
	s_cbranch_execz .LBB4_7006
; %bb.6999:                             ;   in Loop: Header=BB4_6216 Depth=3
	v_bfe_u32 v26, v28, 23, 8
	v_cmp_gt_u32_e64 s[28:29], s71, v26
	v_sub_u32_e32 v23, 0x79, v26
	v_and_b32_e32 v22, 0x7fffff, v28
	v_cmp_eq_u32_e32 vcc, 0, v26
	v_cndmask_b32_e64 v23, 0, v23, s[28:29]
	v_mov_b32_e32 v28, 0x78
	v_or_b32_e32 v29, 0x800000, v22
	v_cndmask_b32_e32 v28, v23, v28, vcc
	v_cndmask_b32_e32 v29, v29, v22, vcc
	v_add_u32_e32 v22, 20, v28
	v_lshlrev_b64 v[53:54], v22, -1
	v_add_u32_e32 v22, 19, v28
	v_lshlrev_b64 v[59:60], v22, 1
	v_mov_b32_e32 v30, v3
	v_bfi_b32 v54, v54, 0, 0
	v_bfi_b32 v53, v53, 0, v29
	v_cmp_eq_u64_e64 s[28:29], v[53:54], v[59:60]
	v_lshrrev_b64 v[59:60], v28, v[29:30]
	v_mov_b32_e32 v32, v61
	v_mov_b32_e32 v61, v60
	;; [unrolled: 1-line block ×3, first 2 shown]
	s_and_saveexec_b64 s[38:39], s[28:29]
; %bb.7000:                             ;   in Loop: Header=BB4_6216 Depth=3
	v_bfe_u32 v22, v59, 20, 1
	v_add_co_u32_e64 v22, s[28:29], v59, v22
	v_add_co_u32_e64 v60, s[28:29], -1, v22
; %bb.7001:                             ;   in Loop: Header=BB4_6216 Depth=3
	s_or_b64 exec, exec, s[38:39]
	v_add_u32_e32 v22, 0xffffff81, v26
	v_mov_b32_e32 v23, 0xffffff82
	v_cndmask_b32_e32 v22, v22, v23, vcc
	v_lshrrev_b32_e32 v23, 23, v59
	v_add3_u32 v29, v28, v22, v23
	v_add_u32_e32 v28, 6, v29
	v_and_b32_e32 v22, 0xfffff, v60
	v_add_u32_e32 v59, v22, v59
	v_mov_b32_e32 v60, v3
	v_cmp_ne_u32_e32 vcc, 0, v28
                                        ; implicit-def: $vgpr26
	s_and_saveexec_b64 s[28:29], vcc
	s_xor_b64 s[28:29], exec, s[28:29]
; %bb.7002:                             ;   in Loop: Header=BB4_6216 Depth=3
	v_cmp_lt_u64_e32 vcc, s[74:75], v[59:60]
	v_add_u32_e32 v22, 7, v29
	v_cndmask_b32_e32 v26, v28, v22, vcc
	v_cndmask_b32_e64 v22, 0, 1, vcc
	v_lshrrev_b64 v[59:60], v22, v[59:60]
; %bb.7003:                             ;   in Loop: Header=BB4_6216 Depth=3
	s_or_saveexec_b64 s[28:29], s[28:29]
	v_mov_b32_e32 v61, v32
	s_xor_b64 exec, exec, s[28:29]
; %bb.7004:                             ;   in Loop: Header=BB4_6216 Depth=3
	v_bfe_u32 v26, v59, 23, 1
; %bb.7005:                             ;   in Loop: Header=BB4_6216 Depth=3
	s_or_b64 exec, exec, s[28:29]
	v_lshrrev_b64 v[28:29], 20, v[59:60]
	v_cmp_gt_i32_e32 vcc, 16, v26
	v_cndmask_b32_e32 v29, 0, v29, vcc
	v_cndmask_b32_e32 v28, 7, v28, vcc
	v_min_i32_e32 v22, 15, v26
	v_cmp_eq_u64_e64 s[28:29], 0, v[28:29]
	v_lshlrev_b32_e32 v22, 3, v22
	v_cmp_eq_u32_e32 vcc, 0, v26
	v_and_b32_e32 v22, 0xf8, v22
	v_and_or_b32 v22, v28, 7, v22
	s_and_b64 s[28:29], vcc, s[28:29]
	v_cndmask_b32_e64 v22, v22, 0, s[28:29]
	v_or_b32_e32 v26, v22, v25
.LBB4_7006:                             ;   in Loop: Header=BB4_6216 Depth=3
	s_or_b64 exec, exec, s[36:37]
                                        ; implicit-def: $vgpr25
.LBB4_7007:                             ;   in Loop: Header=BB4_6216 Depth=3
	s_andn2_saveexec_b64 s[28:29], s[34:35]
; %bb.7008:                             ;   in Loop: Header=BB4_6216 Depth=3
	v_or_b32_e32 v26, 0x7e, v25
; %bb.7009:                             ;   in Loop: Header=BB4_6216 Depth=3
	s_or_b64 exec, exec, s[28:29]
                                        ; implicit-def: $vgpr28
.LBB4_7010:                             ;   in Loop: Header=BB4_6216 Depth=3
	s_andn2_saveexec_b64 s[28:29], s[30:31]
; %bb.7011:                             ;   in Loop: Header=BB4_6216 Depth=3
	v_or_b32_sdwa v26, v28, s68 dst_sel:DWORD dst_unused:UNUSED_PAD src0_sel:BYTE_3 src1_sel:DWORD
; %bb.7012:                             ;   in Loop: Header=BB4_6216 Depth=3
	s_or_b64 exec, exec, s[28:29]
	v_cmp_lt_u32_e32 vcc, s57, v2
	v_mov_b32_e32 v25, 0
	v_mov_b32_e32 v28, 0
	s_and_saveexec_b64 s[28:29], vcc
	s_cbranch_execz .LBB4_7018
; %bb.7013:                             ;   in Loop: Header=BB4_6216 Depth=3
	v_lshrrev_b32_e32 v30, 24, v2
	v_cmp_ne_u32_sdwa vcc, v2, s70 src0_sel:BYTE_3 src1_sel:DWORD
	v_bfrev_b32_e32 v28, 1
	s_and_saveexec_b64 s[30:31], vcc
	s_cbranch_execz .LBB4_7017
; %bb.7014:                             ;   in Loop: Header=BB4_6216 Depth=3
	v_bfe_u32 v29, v2, 24, 7
	v_cmp_ne_u32_e32 vcc, s68, v29
	v_mov_b32_e32 v28, 0x7f800001
	s_and_saveexec_b64 s[34:35], vcc
	s_cbranch_execz .LBB4_7016
; %bb.7015:                             ;   in Loop: Header=BB4_6216 Depth=3
	v_and_b32_e32 v22, 7, v30
	v_ffbh_u32_e32 v28, v22
	v_min_u32_e32 v32, 32, v28
	v_subrev_u32_e32 v28, 28, v32
	v_lshrrev_b32_e32 v23, 3, v29
	v_cmp_gt_u32_e32 vcc, 8, v29
	v_lshlrev_b64 v[28:29], v28, v[30:31]
	v_sub_u32_e32 v29, 29, v32
	v_and_b32_e32 v28, 7, v28
	v_cndmask_b32_e32 v22, v22, v28, vcc
	v_mov_b32_e32 v28, 24
	v_cndmask_b32_e32 v23, v23, v29, vcc
	v_lshlrev_b32_sdwa v2, v28, v2 dst_sel:DWORD dst_unused:UNUSED_PAD src0_sel:DWORD src1_sel:BYTE_3
	v_lshlrev_b32_e32 v22, 20, v22
	v_and_b32_e32 v2, 0x80000000, v2
	v_lshl_add_u32 v23, v23, 23, v5
	v_or3_b32 v28, v2, v23, v22
.LBB4_7016:                             ;   in Loop: Header=BB4_6216 Depth=3
	s_or_b64 exec, exec, s[34:35]
.LBB4_7017:                             ;   in Loop: Header=BB4_6216 Depth=3
	s_or_b64 exec, exec, s[30:31]
.LBB4_7018:                             ;   in Loop: Header=BB4_6216 Depth=3
	s_or_b64 exec, exec, s[28:29]
	v_cmp_lt_u32_e32 vcc, s57, v12
	s_and_saveexec_b64 s[28:29], vcc
	s_cbranch_execz .LBB4_7024
; %bb.7019:                             ;   in Loop: Header=BB4_6216 Depth=3
	v_lshrrev_b32_e32 v2, 24, v12
	v_cmp_ne_u32_e32 vcc, s70, v2
	v_bfrev_b32_e32 v25, 1
	s_and_saveexec_b64 s[30:31], vcc
	s_cbranch_execz .LBB4_7023
; %bb.7020:                             ;   in Loop: Header=BB4_6216 Depth=3
	v_bfe_u32 v29, v12, 24, 7
	v_cmp_ne_u32_e32 vcc, s68, v29
	v_mov_b32_e32 v25, 0x7f800001
	s_and_saveexec_b64 s[34:35], vcc
	s_cbranch_execz .LBB4_7022
; %bb.7021:                             ;   in Loop: Header=BB4_6216 Depth=3
	v_and_b32_e32 v22, 7, v2
	v_ffbh_u32_e32 v25, v22
	v_min_u32_e32 v25, 32, v25
	v_lshrrev_b32_e32 v23, 3, v29
	v_cmp_gt_u32_e32 vcc, 8, v29
	v_subrev_u32_e32 v29, 28, v25
	v_lshlrev_b64 v[29:30], v29, v[2:3]
	v_sub_u32_e32 v25, 29, v25
	v_and_b32_e32 v29, 7, v29
	v_cndmask_b32_e32 v23, v23, v25, vcc
	v_cndmask_b32_e32 v22, v22, v29, vcc
	v_lshlrev_b32_e32 v2, 24, v2
	v_lshlrev_b32_e32 v22, 20, v22
	v_and_b32_e32 v2, 0x80000000, v2
	v_lshl_add_u32 v23, v23, 23, v5
	v_or3_b32 v25, v2, v23, v22
.LBB4_7022:                             ;   in Loop: Header=BB4_6216 Depth=3
	s_or_b64 exec, exec, s[34:35]
.LBB4_7023:                             ;   in Loop: Header=BB4_6216 Depth=3
	s_or_b64 exec, exec, s[30:31]
.LBB4_7024:                             ;   in Loop: Header=BB4_6216 Depth=3
	s_or_b64 exec, exec, s[28:29]
	v_add_f32_e32 v29, v28, v25
	v_and_b32_e32 v2, 0x7f800000, v29
	v_cmp_ne_u64_e32 vcc, s[62:63], v[2:3]
                                        ; implicit-def: $vgpr25
	s_and_saveexec_b64 s[28:29], vcc
	s_xor_b64 s[30:31], exec, s[28:29]
	s_cbranch_execz .LBB4_7038
; %bb.7025:                             ;   in Loop: Header=BB4_6216 Depth=3
	v_and_b32_e32 v2, 0x7fffffff, v29
	v_cmp_gt_u64_e32 vcc, s[72:73], v[2:3]
	v_and_b32_sdwa v28, v29, s70 dst_sel:DWORD dst_unused:UNUSED_PAD src0_sel:BYTE_3 src1_sel:DWORD
                                        ; implicit-def: $vgpr25
	s_and_saveexec_b64 s[28:29], vcc
	s_xor_b64 s[34:35], exec, s[28:29]
	s_cbranch_execz .LBB4_7035
; %bb.7026:                             ;   in Loop: Header=BB4_6216 Depth=3
	v_mov_b32_e32 v25, 0
	v_cmp_ne_u32_e32 vcc, 0, v29
	s_and_saveexec_b64 s[36:37], vcc
	s_cbranch_execz .LBB4_7034
; %bb.7027:                             ;   in Loop: Header=BB4_6216 Depth=3
	v_bfe_u32 v25, v29, 23, 8
	v_cmp_gt_u32_e64 s[28:29], s71, v25
	v_sub_u32_e32 v22, 0x79, v25
	v_and_b32_e32 v2, 0x7fffff, v29
	v_cmp_eq_u32_e32 vcc, 0, v25
	v_cndmask_b32_e64 v22, 0, v22, s[28:29]
	v_mov_b32_e32 v29, 0x78
	v_cndmask_b32_e32 v29, v22, v29, vcc
	v_add_u32_e32 v22, 20, v29
	v_or_b32_e32 v23, 0x800000, v2
	v_lshlrev_b64 v[53:54], v22, -1
	v_add_u32_e32 v22, 19, v29
	v_cndmask_b32_e32 v2, v23, v2, vcc
	v_lshlrev_b64 v[59:60], v22, 1
	v_bfi_b32 v54, v54, 0, 0
	v_bfi_b32 v53, v53, 0, v2
	v_cmp_eq_u64_e64 s[28:29], v[53:54], v[59:60]
	v_lshrrev_b64 v[59:60], v29, v[2:3]
	v_mov_b32_e32 v32, v61
	v_mov_b32_e32 v61, v60
	;; [unrolled: 1-line block ×3, first 2 shown]
	s_and_saveexec_b64 s[38:39], s[28:29]
; %bb.7028:                             ;   in Loop: Header=BB4_6216 Depth=3
	v_bfe_u32 v2, v59, 20, 1
	v_add_co_u32_e64 v2, s[28:29], v59, v2
	v_add_co_u32_e64 v60, s[28:29], -1, v2
; %bb.7029:                             ;   in Loop: Header=BB4_6216 Depth=3
	s_or_b64 exec, exec, s[38:39]
	v_add_u32_e32 v2, 0xffffff81, v25
	v_mov_b32_e32 v22, 0xffffff82
	v_cndmask_b32_e32 v2, v2, v22, vcc
	v_lshrrev_b32_e32 v22, 23, v59
	v_add3_u32 v30, v29, v2, v22
	v_add_u32_e32 v29, 6, v30
	v_and_b32_e32 v2, 0xfffff, v60
	v_add_u32_e32 v2, v2, v59
	v_cmp_ne_u32_e32 vcc, 0, v29
                                        ; implicit-def: $vgpr59_vgpr60
                                        ; implicit-def: $vgpr25
	s_and_saveexec_b64 s[28:29], vcc
	s_xor_b64 s[28:29], exec, s[28:29]
; %bb.7030:                             ;   in Loop: Header=BB4_6216 Depth=3
	v_cmp_lt_u64_e32 vcc, s[74:75], v[2:3]
	v_add_u32_e32 v22, 7, v30
	v_cndmask_b32_e32 v25, v29, v22, vcc
	v_cndmask_b32_e64 v22, 0, 1, vcc
	v_lshrrev_b64 v[59:60], v22, v[2:3]
; %bb.7031:                             ;   in Loop: Header=BB4_6216 Depth=3
	s_or_saveexec_b64 s[28:29], s[28:29]
	v_mov_b32_e32 v61, v32
	s_xor_b64 exec, exec, s[28:29]
; %bb.7032:                             ;   in Loop: Header=BB4_6216 Depth=3
	v_mov_b32_e32 v60, v3
	v_mov_b32_e32 v59, v2
	v_bfe_u32 v25, v2, 23, 1
; %bb.7033:                             ;   in Loop: Header=BB4_6216 Depth=3
	s_or_b64 exec, exec, s[28:29]
	v_lshrrev_b64 v[29:30], 20, v[59:60]
	v_cmp_gt_i32_e32 vcc, 16, v25
	v_cndmask_b32_e32 v30, 0, v30, vcc
	v_cndmask_b32_e32 v29, 7, v29, vcc
	v_min_i32_e32 v2, 15, v25
	v_cmp_eq_u64_e64 s[28:29], 0, v[29:30]
	v_lshlrev_b32_e32 v2, 3, v2
	v_cmp_eq_u32_e32 vcc, 0, v25
	v_and_b32_e32 v2, 0xf8, v2
	v_and_or_b32 v2, v29, 7, v2
	s_and_b64 s[28:29], vcc, s[28:29]
	v_cndmask_b32_e64 v2, v2, 0, s[28:29]
	v_or_b32_e32 v25, v2, v28
.LBB4_7034:                             ;   in Loop: Header=BB4_6216 Depth=3
	s_or_b64 exec, exec, s[36:37]
                                        ; implicit-def: $vgpr28
.LBB4_7035:                             ;   in Loop: Header=BB4_6216 Depth=3
	s_andn2_saveexec_b64 s[28:29], s[34:35]
; %bb.7036:                             ;   in Loop: Header=BB4_6216 Depth=3
	v_or_b32_e32 v25, 0x7e, v28
; %bb.7037:                             ;   in Loop: Header=BB4_6216 Depth=3
	s_or_b64 exec, exec, s[28:29]
                                        ; implicit-def: $vgpr29
.LBB4_7038:                             ;   in Loop: Header=BB4_6216 Depth=3
	s_andn2_saveexec_b64 s[28:29], s[30:31]
; %bb.7039:                             ;   in Loop: Header=BB4_6216 Depth=3
	v_or_b32_sdwa v25, v29, s68 dst_sel:DWORD dst_unused:UNUSED_PAD src0_sel:BYTE_3 src1_sel:DWORD
; %bb.7040:                             ;   in Loop: Header=BB4_6216 Depth=3
	s_or_b64 exec, exec, s[28:29]
	v_lshl_or_b32 v17, v17, 8, v4
	v_lshlrev_b32_e32 v2, 16, v39
	v_lshlrev_b32_e32 v22, 24, v37
	v_or3_b32 v2, v2, v22, v17
	v_cmp_ne_u32_e32 vcc, 0, v4
	v_mov_b32_e32 v29, 0
	v_mov_b32_e32 v28, 0
	s_and_saveexec_b64 s[28:29], vcc
	s_cbranch_execz .LBB4_7046
; %bb.7041:                             ;   in Loop: Header=BB4_6216 Depth=3
	v_cmp_ne_u32_e32 vcc, s70, v4
	v_bfrev_b32_e32 v28, 1
	s_and_saveexec_b64 s[30:31], vcc
	s_cbranch_execz .LBB4_7045
; %bb.7042:                             ;   in Loop: Header=BB4_6216 Depth=3
	v_and_b32_e32 v30, 0x7f, v4
	v_cmp_ne_u32_e32 vcc, s68, v30
	v_mov_b32_e32 v28, 0x7f800001
	s_and_saveexec_b64 s[34:35], vcc
	s_cbranch_execz .LBB4_7044
; %bb.7043:                             ;   in Loop: Header=BB4_6216 Depth=3
	v_and_b32_e32 v4, 7, v4
	v_ffbh_u32_e32 v4, v4
	v_min_u32_e32 v4, 32, v4
	v_lshrrev_b32_e32 v22, 3, v30
	v_cmp_gt_u32_e32 vcc, 8, v30
	v_subrev_u32_e32 v23, 28, v4
	v_sub_u32_e32 v4, 29, v4
	v_cndmask_b32_e32 v4, v22, v4, vcc
	v_cndmask_b32_e32 v22, 0, v23, vcc
	v_lshlrev_b64 v[53:54], v22, v[2:3]
	v_lshlrev_b32_e32 v23, 24, v2
	v_lshlrev_b32_e32 v22, 20, v53
	v_and_b32_e32 v22, 0x700000, v22
	v_and_b32_e32 v23, 0x80000000, v23
	v_lshl_add_u32 v4, v4, 23, v5
	v_or3_b32 v28, v23, v4, v22
.LBB4_7044:                             ;   in Loop: Header=BB4_6216 Depth=3
	s_or_b64 exec, exec, s[34:35]
.LBB4_7045:                             ;   in Loop: Header=BB4_6216 Depth=3
	s_or_b64 exec, exec, s[30:31]
.LBB4_7046:                             ;   in Loop: Header=BB4_6216 Depth=3
	s_or_b64 exec, exec, s[28:29]
	v_cmp_ne_u16_sdwa vcc, v13, v3 src0_sel:BYTE_0 src1_sel:DWORD
	s_and_saveexec_b64 s[28:29], vcc
	s_cbranch_execz .LBB4_7052
; %bb.7047:                             ;   in Loop: Header=BB4_6216 Depth=3
	v_cmp_ne_u16_sdwa vcc, v13, s70 src0_sel:BYTE_0 src1_sel:DWORD
	v_bfrev_b32_e32 v29, 1
	s_and_saveexec_b64 s[30:31], vcc
	s_cbranch_execz .LBB4_7051
; %bb.7048:                             ;   in Loop: Header=BB4_6216 Depth=3
	v_and_b32_e32 v4, 0x7f, v13
	v_cmp_ne_u32_e32 vcc, s68, v4
	v_mov_b32_e32 v29, 0x7f800001
	s_and_saveexec_b64 s[34:35], vcc
	s_cbranch_execz .LBB4_7050
; %bb.7049:                             ;   in Loop: Header=BB4_6216 Depth=3
	v_and_b32_e32 v22, 7, v13
	v_lshrrev_b32_e32 v23, 3, v4
	v_cmp_gt_u32_e32 vcc, 8, v4
	v_ffbh_u32_e32 v4, v22
	v_min_u32_e32 v4, 32, v4
	v_subrev_u32_e32 v22, 28, v4
	v_mov_b32_e32 v29, v13
	v_mov_b32_e32 v30, v3
	v_cndmask_b32_e32 v22, 0, v22, vcc
	v_lshlrev_b64 v[53:54], v22, v[29:30]
	v_sub_u32_e32 v4, 29, v4
	v_cndmask_b32_e32 v4, v23, v4, vcc
	v_lshlrev_b32_e32 v22, 20, v53
	v_lshlrev_b32_e32 v23, 24, v29
	v_and_b32_e32 v22, 0x700000, v22
	v_and_b32_e32 v23, 0x80000000, v23
	v_lshl_add_u32 v4, v4, 23, v5
	v_or3_b32 v29, v23, v4, v22
.LBB4_7050:                             ;   in Loop: Header=BB4_6216 Depth=3
	s_or_b64 exec, exec, s[34:35]
.LBB4_7051:                             ;   in Loop: Header=BB4_6216 Depth=3
	s_or_b64 exec, exec, s[30:31]
.LBB4_7052:                             ;   in Loop: Header=BB4_6216 Depth=3
	s_or_b64 exec, exec, s[28:29]
	v_add_f32_e32 v29, v28, v29
	v_and_b32_e32 v53, 0x7f800000, v29
	v_mov_b32_e32 v54, v3
	v_cmp_ne_u64_e32 vcc, s[62:63], v[53:54]
                                        ; implicit-def: $vgpr4
	s_and_saveexec_b64 s[28:29], vcc
	s_xor_b64 s[30:31], exec, s[28:29]
	s_cbranch_execz .LBB4_7066
; %bb.7053:                             ;   in Loop: Header=BB4_6216 Depth=3
	v_and_b32_e32 v53, 0x7fffffff, v29
	v_mov_b32_e32 v54, v3
	v_cmp_gt_u64_e32 vcc, s[72:73], v[53:54]
	v_and_b32_sdwa v28, v29, s70 dst_sel:DWORD dst_unused:UNUSED_PAD src0_sel:BYTE_3 src1_sel:DWORD
                                        ; implicit-def: $vgpr4
	s_and_saveexec_b64 s[28:29], vcc
	s_xor_b64 s[34:35], exec, s[28:29]
	s_cbranch_execz .LBB4_7063
; %bb.7054:                             ;   in Loop: Header=BB4_6216 Depth=3
	v_mov_b32_e32 v4, 0
	v_cmp_ne_u32_e32 vcc, 0, v29
	s_and_saveexec_b64 s[36:37], vcc
	s_cbranch_execz .LBB4_7062
; %bb.7055:                             ;   in Loop: Header=BB4_6216 Depth=3
	v_bfe_u32 v4, v29, 23, 8
	v_cmp_gt_u32_e64 s[28:29], s71, v4
	v_sub_u32_e32 v23, 0x79, v4
	v_and_b32_e32 v22, 0x7fffff, v29
	v_cmp_eq_u32_e32 vcc, 0, v4
	v_cndmask_b32_e64 v23, 0, v23, s[28:29]
	v_mov_b32_e32 v29, 0x78
	v_or_b32_e32 v30, 0x800000, v22
	v_cndmask_b32_e32 v29, v23, v29, vcc
	v_cndmask_b32_e32 v53, v30, v22, vcc
	v_add_u32_e32 v22, 20, v29
	v_lshlrev_b64 v[59:60], v22, -1
	v_add_u32_e32 v22, 19, v29
	v_lshlrev_b64 v[37:38], v22, 1
	v_mov_b32_e32 v54, v3
	v_bfi_b32 v60, v60, 0, 0
	v_bfi_b32 v59, v59, 0, v53
	v_cmp_eq_u64_e64 s[28:29], v[59:60], v[37:38]
	v_lshrrev_b64 v[59:60], v29, v[53:54]
	v_mov_b32_e32 v32, v61
	v_mov_b32_e32 v61, v60
	;; [unrolled: 1-line block ×3, first 2 shown]
	s_and_saveexec_b64 s[38:39], s[28:29]
; %bb.7056:                             ;   in Loop: Header=BB4_6216 Depth=3
	v_bfe_u32 v22, v59, 20, 1
	v_add_co_u32_e64 v22, s[28:29], v59, v22
	v_add_co_u32_e64 v60, s[28:29], -1, v22
; %bb.7057:                             ;   in Loop: Header=BB4_6216 Depth=3
	s_or_b64 exec, exec, s[38:39]
	v_add_u32_e32 v4, 0xffffff81, v4
	v_mov_b32_e32 v22, 0xffffff82
	v_cndmask_b32_e32 v4, v4, v22, vcc
	v_lshrrev_b32_e32 v22, 23, v59
	v_add3_u32 v30, v29, v4, v22
	v_add_u32_e32 v29, 6, v30
	v_and_b32_e32 v4, 0xfffff, v60
	v_add_u32_e32 v59, v4, v59
	v_mov_b32_e32 v60, v3
	v_cmp_ne_u32_e32 vcc, 0, v29
                                        ; implicit-def: $vgpr4
	s_and_saveexec_b64 s[28:29], vcc
	s_xor_b64 s[28:29], exec, s[28:29]
; %bb.7058:                             ;   in Loop: Header=BB4_6216 Depth=3
	v_cmp_lt_u64_e32 vcc, s[74:75], v[59:60]
	v_add_u32_e32 v4, 7, v30
	v_cndmask_b32_e64 v22, 0, 1, vcc
	v_cndmask_b32_e32 v4, v29, v4, vcc
	v_lshrrev_b64 v[59:60], v22, v[59:60]
; %bb.7059:                             ;   in Loop: Header=BB4_6216 Depth=3
	s_or_saveexec_b64 s[28:29], s[28:29]
	v_mov_b32_e32 v61, v32
	s_xor_b64 exec, exec, s[28:29]
; %bb.7060:                             ;   in Loop: Header=BB4_6216 Depth=3
	v_bfe_u32 v4, v59, 23, 1
; %bb.7061:                             ;   in Loop: Header=BB4_6216 Depth=3
	s_or_b64 exec, exec, s[28:29]
	v_lshrrev_b64 v[29:30], 20, v[59:60]
	v_cmp_gt_i32_e32 vcc, 16, v4
	v_cndmask_b32_e32 v30, 0, v30, vcc
	v_cndmask_b32_e32 v29, 7, v29, vcc
	v_cmp_eq_u32_e32 vcc, 0, v4
	v_min_i32_e32 v4, 15, v4
	v_cmp_eq_u64_e64 s[28:29], 0, v[29:30]
	v_lshlrev_b32_e32 v4, 3, v4
	v_and_b32_e32 v4, 0xf8, v4
	v_and_or_b32 v4, v29, 7, v4
	s_and_b64 s[28:29], vcc, s[28:29]
	v_cndmask_b32_e64 v4, v4, 0, s[28:29]
	v_or_b32_e32 v4, v4, v28
.LBB4_7062:                             ;   in Loop: Header=BB4_6216 Depth=3
	s_or_b64 exec, exec, s[36:37]
                                        ; implicit-def: $vgpr28
.LBB4_7063:                             ;   in Loop: Header=BB4_6216 Depth=3
	s_andn2_saveexec_b64 s[28:29], s[34:35]
; %bb.7064:                             ;   in Loop: Header=BB4_6216 Depth=3
	v_or_b32_e32 v4, 0x7e, v28
; %bb.7065:                             ;   in Loop: Header=BB4_6216 Depth=3
	s_or_b64 exec, exec, s[28:29]
                                        ; implicit-def: $vgpr29
.LBB4_7066:                             ;   in Loop: Header=BB4_6216 Depth=3
	s_andn2_saveexec_b64 s[28:29], s[30:31]
; %bb.7067:                             ;   in Loop: Header=BB4_6216 Depth=3
	v_or_b32_sdwa v4, v29, s68 dst_sel:DWORD dst_unused:UNUSED_PAD src0_sel:BYTE_3 src1_sel:DWORD
; %bb.7068:                             ;   in Loop: Header=BB4_6216 Depth=3
	s_or_b64 exec, exec, s[28:29]
	v_lshrrev_b16_e32 v30, 8, v17
	v_cmp_ne_u16_e32 vcc, 0, v30
	v_mov_b32_e32 v28, 0
	v_mov_b32_e32 v29, 0
	s_and_saveexec_b64 s[28:29], vcc
	s_cbranch_execz .LBB4_7074
; %bb.7069:                             ;   in Loop: Header=BB4_6216 Depth=3
	v_cmp_ne_u16_e32 vcc, s70, v30
	v_bfrev_b32_e32 v29, 1
	s_and_saveexec_b64 s[30:31], vcc
	s_cbranch_execz .LBB4_7073
; %bb.7070:                             ;   in Loop: Header=BB4_6216 Depth=3
	v_and_b32_e32 v37, 0x7f, v30
	v_cmp_ne_u32_e32 vcc, s68, v37
	v_mov_b32_e32 v29, 0x7f800001
	s_and_saveexec_b64 s[34:35], vcc
	s_cbranch_execz .LBB4_7072
; %bb.7071:                             ;   in Loop: Header=BB4_6216 Depth=3
	v_and_b32_e32 v22, 7, v30
	v_ffbh_u32_e32 v29, v22
	v_min_u32_e32 v32, 32, v29
	v_subrev_u32_e32 v29, 28, v32
	v_lshlrev_b64 v[29:30], v29, v[30:31]
	v_lshrrev_b32_e32 v23, 3, v37
	v_cmp_gt_u32_e32 vcc, 8, v37
	v_sub_u32_e32 v30, 29, v32
	v_and_b32_e32 v29, 7, v29
	v_cndmask_b32_e32 v23, v23, v30, vcc
	v_cndmask_b32_e32 v22, v22, v29, vcc
	v_lshlrev_b32_e32 v17, 16, v17
	v_lshlrev_b32_e32 v22, 20, v22
	v_and_b32_e32 v17, 0x80000000, v17
	v_lshl_add_u32 v23, v23, 23, v5
	v_or3_b32 v29, v17, v23, v22
.LBB4_7072:                             ;   in Loop: Header=BB4_6216 Depth=3
	s_or_b64 exec, exec, s[34:35]
.LBB4_7073:                             ;   in Loop: Header=BB4_6216 Depth=3
	s_or_b64 exec, exec, s[30:31]
.LBB4_7074:                             ;   in Loop: Header=BB4_6216 Depth=3
	s_or_b64 exec, exec, s[28:29]
	v_lshrrev_b16_e32 v30, 8, v13
	v_cmp_ne_u16_e32 vcc, 0, v30
	s_and_saveexec_b64 s[28:29], vcc
	s_cbranch_execz .LBB4_7080
; %bb.7075:                             ;   in Loop: Header=BB4_6216 Depth=3
	v_cmp_ne_u16_e32 vcc, s70, v30
	v_bfrev_b32_e32 v28, 1
	s_and_saveexec_b64 s[30:31], vcc
	s_cbranch_execz .LBB4_7079
; %bb.7076:                             ;   in Loop: Header=BB4_6216 Depth=3
	v_and_b32_e32 v17, 0x7f, v30
	v_cmp_ne_u32_e32 vcc, s68, v17
	v_mov_b32_e32 v28, 0x7f800001
	s_and_saveexec_b64 s[34:35], vcc
	s_cbranch_execz .LBB4_7078
; %bb.7077:                             ;   in Loop: Header=BB4_6216 Depth=3
	v_and_b32_e32 v22, 7, v30
	v_lshrrev_b32_e32 v23, 3, v17
	v_cmp_gt_u32_e32 vcc, 8, v17
	v_ffbh_u32_e32 v17, v22
	v_min_u32_e32 v17, 32, v17
	v_subrev_u32_e32 v28, 28, v17
	v_lshlrev_b64 v[37:38], v28, v[30:31]
	v_sub_u32_e32 v17, 29, v17
	v_and_b32_e32 v28, 7, v37
	v_cndmask_b32_e32 v17, v23, v17, vcc
	v_cndmask_b32_e32 v22, v22, v28, vcc
	v_lshlrev_b32_e32 v23, 16, v13
	v_lshlrev_b32_e32 v22, 20, v22
	v_and_b32_e32 v23, 0x80000000, v23
	v_lshl_add_u32 v17, v17, 23, v5
	v_or3_b32 v28, v23, v17, v22
.LBB4_7078:                             ;   in Loop: Header=BB4_6216 Depth=3
	s_or_b64 exec, exec, s[34:35]
.LBB4_7079:                             ;   in Loop: Header=BB4_6216 Depth=3
	s_or_b64 exec, exec, s[30:31]
.LBB4_7080:                             ;   in Loop: Header=BB4_6216 Depth=3
	s_or_b64 exec, exec, s[28:29]
	v_add_f32_e32 v28, v29, v28
	v_and_b32_e32 v29, 0x7f800000, v28
	v_mov_b32_e32 v30, v3
	v_cmp_ne_u64_e32 vcc, s[62:63], v[29:30]
                                        ; implicit-def: $vgpr39
	s_and_saveexec_b64 s[28:29], vcc
	s_xor_b64 s[30:31], exec, s[28:29]
	s_cbranch_execz .LBB4_7094
; %bb.7081:                             ;   in Loop: Header=BB4_6216 Depth=3
	v_and_b32_e32 v29, 0x7fffffff, v28
	v_mov_b32_e32 v30, v3
	v_cmp_gt_u64_e32 vcc, s[72:73], v[29:30]
	v_and_b32_sdwa v17, v28, s70 dst_sel:DWORD dst_unused:UNUSED_PAD src0_sel:BYTE_3 src1_sel:DWORD
                                        ; implicit-def: $vgpr39
	s_and_saveexec_b64 s[28:29], vcc
	s_xor_b64 s[34:35], exec, s[28:29]
	s_cbranch_execz .LBB4_7091
; %bb.7082:                             ;   in Loop: Header=BB4_6216 Depth=3
	v_mov_b32_e32 v39, 0
	v_cmp_ne_u32_e32 vcc, 0, v28
	s_and_saveexec_b64 s[36:37], vcc
	s_cbranch_execz .LBB4_7090
; %bb.7083:                             ;   in Loop: Header=BB4_6216 Depth=3
	v_and_b32_e32 v22, 0x7fffff, v28
	v_bfe_u32 v28, v28, 23, 8
	v_cmp_gt_u32_e64 s[28:29], s71, v28
	v_sub_u32_e32 v23, 0x79, v28
	v_cmp_eq_u32_e32 vcc, 0, v28
	v_cndmask_b32_e64 v23, 0, v23, s[28:29]
	v_mov_b32_e32 v29, 0x78
	v_or_b32_e32 v30, 0x800000, v22
	v_cndmask_b32_e32 v29, v23, v29, vcc
	v_cndmask_b32_e32 v37, v30, v22, vcc
	v_add_u32_e32 v22, 20, v29
	v_lshlrev_b64 v[53:54], v22, -1
	v_add_u32_e32 v22, 19, v29
	v_lshlrev_b64 v[59:60], v22, 1
	v_mov_b32_e32 v38, v3
	v_bfi_b32 v54, v54, 0, 0
	v_bfi_b32 v53, v53, 0, v37
	v_cmp_eq_u64_e64 s[28:29], v[53:54], v[59:60]
	v_lshrrev_b64 v[59:60], v29, v[37:38]
	v_mov_b32_e32 v32, v61
	v_mov_b32_e32 v61, v60
	;; [unrolled: 1-line block ×3, first 2 shown]
	s_and_saveexec_b64 s[38:39], s[28:29]
; %bb.7084:                             ;   in Loop: Header=BB4_6216 Depth=3
	v_bfe_u32 v22, v59, 20, 1
	v_add_co_u32_e64 v22, s[28:29], v59, v22
	v_add_co_u32_e64 v60, s[28:29], -1, v22
; %bb.7085:                             ;   in Loop: Header=BB4_6216 Depth=3
	s_or_b64 exec, exec, s[38:39]
	v_add_u32_e32 v22, 0xffffff81, v28
	v_mov_b32_e32 v23, 0xffffff82
	v_cndmask_b32_e32 v22, v22, v23, vcc
	v_lshrrev_b32_e32 v23, 23, v59
	v_add3_u32 v30, v29, v22, v23
	v_add_u32_e32 v29, 6, v30
	v_and_b32_e32 v22, 0xfffff, v60
	v_add_u32_e32 v59, v22, v59
	v_mov_b32_e32 v60, v3
	v_cmp_ne_u32_e32 vcc, 0, v29
                                        ; implicit-def: $vgpr28
	s_and_saveexec_b64 s[28:29], vcc
	s_xor_b64 s[28:29], exec, s[28:29]
; %bb.7086:                             ;   in Loop: Header=BB4_6216 Depth=3
	v_cmp_lt_u64_e32 vcc, s[74:75], v[59:60]
	v_add_u32_e32 v22, 7, v30
	v_cndmask_b32_e32 v28, v29, v22, vcc
	v_cndmask_b32_e64 v22, 0, 1, vcc
	v_lshrrev_b64 v[59:60], v22, v[59:60]
; %bb.7087:                             ;   in Loop: Header=BB4_6216 Depth=3
	s_or_saveexec_b64 s[28:29], s[28:29]
	v_mov_b32_e32 v61, v32
	s_xor_b64 exec, exec, s[28:29]
; %bb.7088:                             ;   in Loop: Header=BB4_6216 Depth=3
	v_bfe_u32 v28, v59, 23, 1
; %bb.7089:                             ;   in Loop: Header=BB4_6216 Depth=3
	s_or_b64 exec, exec, s[28:29]
	v_lshrrev_b64 v[29:30], 20, v[59:60]
	v_cmp_gt_i32_e32 vcc, 16, v28
	v_cndmask_b32_e32 v30, 0, v30, vcc
	v_cndmask_b32_e32 v29, 7, v29, vcc
	v_min_i32_e32 v22, 15, v28
	v_cmp_eq_u64_e64 s[28:29], 0, v[29:30]
	v_lshlrev_b32_e32 v22, 3, v22
	v_cmp_eq_u32_e32 vcc, 0, v28
	v_and_b32_e32 v22, 0xf8, v22
	v_and_or_b32 v22, v29, 7, v22
	s_and_b64 s[28:29], vcc, s[28:29]
	v_cndmask_b32_e64 v22, v22, 0, s[28:29]
	v_or_b32_e32 v39, v22, v17
.LBB4_7090:                             ;   in Loop: Header=BB4_6216 Depth=3
	s_or_b64 exec, exec, s[36:37]
                                        ; implicit-def: $vgpr17
.LBB4_7091:                             ;   in Loop: Header=BB4_6216 Depth=3
	s_andn2_saveexec_b64 s[28:29], s[34:35]
; %bb.7092:                             ;   in Loop: Header=BB4_6216 Depth=3
	v_or_b32_e32 v39, 0x7e, v17
; %bb.7093:                             ;   in Loop: Header=BB4_6216 Depth=3
	s_or_b64 exec, exec, s[28:29]
                                        ; implicit-def: $vgpr28
.LBB4_7094:                             ;   in Loop: Header=BB4_6216 Depth=3
	s_andn2_saveexec_b64 s[28:29], s[30:31]
; %bb.7095:                             ;   in Loop: Header=BB4_6216 Depth=3
	v_or_b32_sdwa v39, v28, s68 dst_sel:DWORD dst_unused:UNUSED_PAD src0_sel:BYTE_3 src1_sel:DWORD
; %bb.7096:                             ;   in Loop: Header=BB4_6216 Depth=3
	s_or_b64 exec, exec, s[28:29]
	v_lshrrev_b32_e32 v30, 16, v2
	v_cmp_ne_u16_sdwa vcc, v30, v3 src0_sel:BYTE_0 src1_sel:DWORD
	v_mov_b32_e32 v17, 0
	v_mov_b32_e32 v28, 0
	s_and_saveexec_b64 s[28:29], vcc
	s_cbranch_execz .LBB4_7102
; %bb.7097:                             ;   in Loop: Header=BB4_6216 Depth=3
	v_cmp_ne_u16_sdwa vcc, v30, s70 src0_sel:BYTE_0 src1_sel:DWORD
	v_bfrev_b32_e32 v28, 1
	s_and_saveexec_b64 s[30:31], vcc
	s_cbranch_execz .LBB4_7101
; %bb.7098:                             ;   in Loop: Header=BB4_6216 Depth=3
	v_bfe_u32 v29, v2, 16, 7
	v_cmp_ne_u32_e32 vcc, s68, v29
	v_mov_b32_e32 v28, 0x7f800001
	s_and_saveexec_b64 s[34:35], vcc
	s_cbranch_execz .LBB4_7100
; %bb.7099:                             ;   in Loop: Header=BB4_6216 Depth=3
	v_and_b32_e32 v22, 7, v30
	v_ffbh_u32_e32 v28, v22
	v_min_u32_e32 v32, 32, v28
	v_subrev_u32_e32 v28, 28, v32
	v_lshrrev_b32_e32 v23, 3, v29
	v_cmp_gt_u32_e32 vcc, 8, v29
	v_lshlrev_b64 v[28:29], v28, v[30:31]
	v_sub_u32_e32 v29, 29, v32
	v_and_b32_e32 v28, 7, v28
	v_cndmask_b32_e32 v23, v23, v29, vcc
	v_cndmask_b32_e32 v22, v22, v28, vcc
	v_lshlrev_b32_e32 v28, 24, v30
	v_lshlrev_b32_e32 v22, 20, v22
	v_and_b32_e32 v28, 0x80000000, v28
	v_lshl_add_u32 v23, v23, 23, v5
	v_or3_b32 v28, v28, v23, v22
.LBB4_7100:                             ;   in Loop: Header=BB4_6216 Depth=3
	s_or_b64 exec, exec, s[34:35]
.LBB4_7101:                             ;   in Loop: Header=BB4_6216 Depth=3
	s_or_b64 exec, exec, s[30:31]
.LBB4_7102:                             ;   in Loop: Header=BB4_6216 Depth=3
	s_or_b64 exec, exec, s[28:29]
	v_lshrrev_b32_e32 v30, 16, v13
	v_cmp_ne_u16_sdwa vcc, v30, v3 src0_sel:BYTE_0 src1_sel:DWORD
	s_and_saveexec_b64 s[28:29], vcc
	s_cbranch_execz .LBB4_7108
; %bb.7103:                             ;   in Loop: Header=BB4_6216 Depth=3
	v_cmp_ne_u16_sdwa vcc, v30, s70 src0_sel:BYTE_0 src1_sel:DWORD
	v_bfrev_b32_e32 v17, 1
	s_and_saveexec_b64 s[30:31], vcc
	s_cbranch_execz .LBB4_7107
; %bb.7104:                             ;   in Loop: Header=BB4_6216 Depth=3
	v_bfe_u32 v29, v13, 16, 7
	v_cmp_ne_u32_e32 vcc, s68, v29
	v_mov_b32_e32 v17, 0x7f800001
	s_and_saveexec_b64 s[34:35], vcc
	s_cbranch_execz .LBB4_7106
; %bb.7105:                             ;   in Loop: Header=BB4_6216 Depth=3
	v_and_b32_e32 v17, 7, v30
	v_ffbh_u32_e32 v23, v17
	v_min_u32_e32 v23, 32, v23
	v_lshrrev_b32_e32 v22, 3, v29
	v_cmp_gt_u32_e32 vcc, 8, v29
	v_subrev_u32_e32 v29, 28, v23
	v_lshlrev_b64 v[29:30], v29, v[30:31]
	v_sub_u32_e32 v23, 29, v23
	v_and_b32_e32 v29, 7, v29
	v_cndmask_b32_e32 v22, v22, v23, vcc
	v_cndmask_b32_e32 v17, v17, v29, vcc
	v_lshlrev_b32_e32 v23, 8, v13
	v_lshlrev_b32_e32 v17, 20, v17
	v_and_b32_e32 v23, 0x80000000, v23
	v_lshl_add_u32 v22, v22, 23, v5
	v_or3_b32 v17, v23, v22, v17
.LBB4_7106:                             ;   in Loop: Header=BB4_6216 Depth=3
	s_or_b64 exec, exec, s[34:35]
.LBB4_7107:                             ;   in Loop: Header=BB4_6216 Depth=3
	s_or_b64 exec, exec, s[30:31]
.LBB4_7108:                             ;   in Loop: Header=BB4_6216 Depth=3
	s_or_b64 exec, exec, s[28:29]
	v_add_f32_e32 v29, v28, v17
	v_and_b32_e32 v37, 0x7f800000, v29
	v_mov_b32_e32 v38, v3
	v_cmp_ne_u64_e32 vcc, s[62:63], v[37:38]
                                        ; implicit-def: $vgpr17
	s_and_saveexec_b64 s[28:29], vcc
	s_xor_b64 s[30:31], exec, s[28:29]
	s_cbranch_execz .LBB4_7122
; %bb.7109:                             ;   in Loop: Header=BB4_6216 Depth=3
	v_and_b32_e32 v37, 0x7fffffff, v29
	v_mov_b32_e32 v38, v3
	v_cmp_gt_u64_e32 vcc, s[72:73], v[37:38]
	v_and_b32_sdwa v28, v29, s70 dst_sel:DWORD dst_unused:UNUSED_PAD src0_sel:BYTE_3 src1_sel:DWORD
                                        ; implicit-def: $vgpr17
	s_and_saveexec_b64 s[28:29], vcc
	s_xor_b64 s[34:35], exec, s[28:29]
	s_cbranch_execz .LBB4_7119
; %bb.7110:                             ;   in Loop: Header=BB4_6216 Depth=3
	v_mov_b32_e32 v17, 0
	v_cmp_ne_u32_e32 vcc, 0, v29
	s_and_saveexec_b64 s[36:37], vcc
	s_cbranch_execz .LBB4_7118
; %bb.7111:                             ;   in Loop: Header=BB4_6216 Depth=3
	v_bfe_u32 v17, v29, 23, 8
	v_cmp_gt_u32_e64 s[28:29], s71, v17
	v_sub_u32_e32 v23, 0x79, v17
	v_and_b32_e32 v22, 0x7fffff, v29
	v_cmp_eq_u32_e32 vcc, 0, v17
	v_cndmask_b32_e64 v23, 0, v23, s[28:29]
	v_mov_b32_e32 v29, 0x78
	v_or_b32_e32 v30, 0x800000, v22
	v_cndmask_b32_e32 v29, v23, v29, vcc
	v_cndmask_b32_e32 v37, v30, v22, vcc
	v_add_u32_e32 v22, 20, v29
	v_lshlrev_b64 v[53:54], v22, -1
	v_add_u32_e32 v22, 19, v29
	v_lshlrev_b64 v[59:60], v22, 1
	v_mov_b32_e32 v38, v3
	v_bfi_b32 v54, v54, 0, 0
	v_bfi_b32 v53, v53, 0, v37
	v_cmp_eq_u64_e64 s[28:29], v[53:54], v[59:60]
	v_lshrrev_b64 v[59:60], v29, v[37:38]
	v_mov_b32_e32 v32, v61
	v_mov_b32_e32 v61, v60
	;; [unrolled: 1-line block ×3, first 2 shown]
	s_and_saveexec_b64 s[38:39], s[28:29]
; %bb.7112:                             ;   in Loop: Header=BB4_6216 Depth=3
	v_bfe_u32 v22, v59, 20, 1
	v_add_co_u32_e64 v22, s[28:29], v59, v22
	v_add_co_u32_e64 v60, s[28:29], -1, v22
; %bb.7113:                             ;   in Loop: Header=BB4_6216 Depth=3
	s_or_b64 exec, exec, s[38:39]
	v_add_u32_e32 v17, 0xffffff81, v17
	v_mov_b32_e32 v22, 0xffffff82
	v_cndmask_b32_e32 v17, v17, v22, vcc
	v_lshrrev_b32_e32 v22, 23, v59
	v_add3_u32 v30, v29, v17, v22
	v_add_u32_e32 v29, 6, v30
	v_and_b32_e32 v17, 0xfffff, v60
	v_add_u32_e32 v59, v17, v59
	v_mov_b32_e32 v60, v3
	v_cmp_ne_u32_e32 vcc, 0, v29
                                        ; implicit-def: $vgpr17
	s_and_saveexec_b64 s[28:29], vcc
	s_xor_b64 s[28:29], exec, s[28:29]
; %bb.7114:                             ;   in Loop: Header=BB4_6216 Depth=3
	v_cmp_lt_u64_e32 vcc, s[74:75], v[59:60]
	v_add_u32_e32 v17, 7, v30
	v_cndmask_b32_e64 v22, 0, 1, vcc
	v_cndmask_b32_e32 v17, v29, v17, vcc
	v_lshrrev_b64 v[59:60], v22, v[59:60]
; %bb.7115:                             ;   in Loop: Header=BB4_6216 Depth=3
	s_or_saveexec_b64 s[28:29], s[28:29]
	v_mov_b32_e32 v61, v32
	s_xor_b64 exec, exec, s[28:29]
; %bb.7116:                             ;   in Loop: Header=BB4_6216 Depth=3
	v_bfe_u32 v17, v59, 23, 1
; %bb.7117:                             ;   in Loop: Header=BB4_6216 Depth=3
	s_or_b64 exec, exec, s[28:29]
	v_lshrrev_b64 v[29:30], 20, v[59:60]
	v_cmp_gt_i32_e32 vcc, 16, v17
	v_cndmask_b32_e32 v30, 0, v30, vcc
	v_cndmask_b32_e32 v29, 7, v29, vcc
	v_cmp_eq_u32_e32 vcc, 0, v17
	v_min_i32_e32 v17, 15, v17
	v_cmp_eq_u64_e64 s[28:29], 0, v[29:30]
	v_lshlrev_b32_e32 v17, 3, v17
	v_and_b32_e32 v17, 0xf8, v17
	v_and_or_b32 v17, v29, 7, v17
	s_and_b64 s[28:29], vcc, s[28:29]
	v_cndmask_b32_e64 v17, v17, 0, s[28:29]
	v_or_b32_e32 v17, v17, v28
.LBB4_7118:                             ;   in Loop: Header=BB4_6216 Depth=3
	s_or_b64 exec, exec, s[36:37]
                                        ; implicit-def: $vgpr28
.LBB4_7119:                             ;   in Loop: Header=BB4_6216 Depth=3
	s_andn2_saveexec_b64 s[28:29], s[34:35]
; %bb.7120:                             ;   in Loop: Header=BB4_6216 Depth=3
	v_or_b32_e32 v17, 0x7e, v28
; %bb.7121:                             ;   in Loop: Header=BB4_6216 Depth=3
	s_or_b64 exec, exec, s[28:29]
                                        ; implicit-def: $vgpr29
.LBB4_7122:                             ;   in Loop: Header=BB4_6216 Depth=3
	s_andn2_saveexec_b64 s[28:29], s[30:31]
; %bb.7123:                             ;   in Loop: Header=BB4_6216 Depth=3
	v_or_b32_sdwa v17, v29, s68 dst_sel:DWORD dst_unused:UNUSED_PAD src0_sel:BYTE_3 src1_sel:DWORD
; %bb.7124:                             ;   in Loop: Header=BB4_6216 Depth=3
	s_or_b64 exec, exec, s[28:29]
	v_cmp_lt_u32_e32 vcc, s57, v2
	v_mov_b32_e32 v28, 0
	v_mov_b32_e32 v29, 0
	s_and_saveexec_b64 s[28:29], vcc
	s_cbranch_execz .LBB4_7130
; %bb.7125:                             ;   in Loop: Header=BB4_6216 Depth=3
	v_lshrrev_b32_e32 v30, 24, v2
	v_cmp_ne_u32_sdwa vcc, v2, s70 src0_sel:BYTE_3 src1_sel:DWORD
	v_bfrev_b32_e32 v29, 1
	s_and_saveexec_b64 s[30:31], vcc
	s_cbranch_execz .LBB4_7129
; %bb.7126:                             ;   in Loop: Header=BB4_6216 Depth=3
	v_bfe_u32 v37, v2, 24, 7
	v_cmp_ne_u32_e32 vcc, s68, v37
	v_mov_b32_e32 v29, 0x7f800001
	s_and_saveexec_b64 s[34:35], vcc
	s_cbranch_execz .LBB4_7128
; %bb.7127:                             ;   in Loop: Header=BB4_6216 Depth=3
	v_and_b32_e32 v22, 7, v30
	v_ffbh_u32_e32 v29, v22
	v_min_u32_e32 v32, 32, v29
	v_subrev_u32_e32 v29, 28, v32
	v_lshlrev_b64 v[29:30], v29, v[30:31]
	v_cmp_gt_u32_e32 vcc, 8, v37
	v_and_b32_e32 v29, 7, v29
	v_lshrrev_b32_e32 v23, 3, v37
	v_sub_u32_e32 v30, 29, v32
	v_cndmask_b32_e32 v22, v22, v29, vcc
	v_mov_b32_e32 v29, 24
	v_cndmask_b32_e32 v23, v23, v30, vcc
	v_lshlrev_b32_sdwa v2, v29, v2 dst_sel:DWORD dst_unused:UNUSED_PAD src0_sel:DWORD src1_sel:BYTE_3
	v_lshlrev_b32_e32 v22, 20, v22
	v_and_b32_e32 v2, 0x80000000, v2
	v_lshl_add_u32 v23, v23, 23, v5
	v_or3_b32 v29, v2, v23, v22
.LBB4_7128:                             ;   in Loop: Header=BB4_6216 Depth=3
	s_or_b64 exec, exec, s[34:35]
.LBB4_7129:                             ;   in Loop: Header=BB4_6216 Depth=3
	s_or_b64 exec, exec, s[30:31]
.LBB4_7130:                             ;   in Loop: Header=BB4_6216 Depth=3
	s_or_b64 exec, exec, s[28:29]
	v_cmp_lt_u64_e32 vcc, s[56:57], v[12:13]
	s_and_saveexec_b64 s[28:29], vcc
	s_cbranch_execz .LBB4_7136
; %bb.7131:                             ;   in Loop: Header=BB4_6216 Depth=3
	v_lshrrev_b32_e32 v2, 24, v13
	v_cmp_ne_u32_e32 vcc, s70, v2
	v_bfrev_b32_e32 v28, 1
	s_and_saveexec_b64 s[30:31], vcc
	s_cbranch_execz .LBB4_7135
; %bb.7132:                             ;   in Loop: Header=BB4_6216 Depth=3
	v_bfe_u32 v12, v13, 24, 7
	v_cmp_ne_u32_e32 vcc, s68, v12
	v_mov_b32_e32 v28, 0x7f800001
	s_and_saveexec_b64 s[34:35], vcc
	s_cbranch_execz .LBB4_7134
; %bb.7133:                             ;   in Loop: Header=BB4_6216 Depth=3
	v_and_b32_e32 v22, 7, v2
	v_lshrrev_b32_e32 v23, 3, v12
	v_cmp_gt_u32_e32 vcc, 8, v12
	v_ffbh_u32_e32 v12, v22
	v_min_u32_e32 v28, 32, v12
	v_subrev_u32_e32 v12, 28, v28
	v_lshlrev_b64 v[12:13], v12, v[2:3]
	v_sub_u32_e32 v13, 29, v28
	v_and_b32_e32 v12, 7, v12
	v_cndmask_b32_e32 v13, v23, v13, vcc
	v_cndmask_b32_e32 v12, v22, v12, vcc
	v_lshlrev_b32_e32 v2, 24, v2
	v_lshlrev_b32_e32 v12, 20, v12
	v_and_b32_e32 v2, 0x80000000, v2
	v_lshl_add_u32 v13, v13, 23, v5
	v_or3_b32 v28, v2, v13, v12
.LBB4_7134:                             ;   in Loop: Header=BB4_6216 Depth=3
	s_or_b64 exec, exec, s[34:35]
.LBB4_7135:                             ;   in Loop: Header=BB4_6216 Depth=3
	s_or_b64 exec, exec, s[30:31]
.LBB4_7136:                             ;   in Loop: Header=BB4_6216 Depth=3
	s_or_b64 exec, exec, s[28:29]
	v_add_f32_e32 v12, v29, v28
	v_and_b32_e32 v2, 0x7f800000, v12
	v_cmp_ne_u64_e32 vcc, s[62:63], v[2:3]
                                        ; implicit-def: $vgpr30
	s_and_saveexec_b64 s[28:29], vcc
	s_xor_b64 s[30:31], exec, s[28:29]
	s_cbranch_execz .LBB4_7150
; %bb.7137:                             ;   in Loop: Header=BB4_6216 Depth=3
	v_and_b32_e32 v2, 0x7fffffff, v12
	v_cmp_gt_u64_e32 vcc, s[72:73], v[2:3]
	v_and_b32_sdwa v28, v12, s70 dst_sel:DWORD dst_unused:UNUSED_PAD src0_sel:BYTE_3 src1_sel:DWORD
                                        ; implicit-def: $vgpr30
	s_and_saveexec_b64 s[28:29], vcc
	s_xor_b64 s[34:35], exec, s[28:29]
	s_cbranch_execz .LBB4_7147
; %bb.7138:                             ;   in Loop: Header=BB4_6216 Depth=3
	v_mov_b32_e32 v30, 0
	v_cmp_ne_u32_e32 vcc, 0, v12
	s_and_saveexec_b64 s[36:37], vcc
	s_cbranch_execz .LBB4_7146
; %bb.7139:                             ;   in Loop: Header=BB4_6216 Depth=3
	v_bfe_u32 v29, v12, 23, 8
	v_and_b32_e32 v2, 0x7fffff, v12
	v_cmp_gt_u32_e64 s[28:29], s71, v29
	v_sub_u32_e32 v12, 0x79, v29
	v_cmp_eq_u32_e32 vcc, 0, v29
	v_cndmask_b32_e64 v12, 0, v12, s[28:29]
	v_mov_b32_e32 v22, 0x78
	v_cndmask_b32_e32 v30, v12, v22, vcc
	v_or_b32_e32 v13, 0x800000, v2
	v_add_u32_e32 v12, 20, v30
	v_cndmask_b32_e32 v2, v13, v2, vcc
	v_lshlrev_b64 v[12:13], v12, -1
	v_add_u32_e32 v22, 19, v30
	v_lshlrev_b64 v[37:38], v22, 1
	v_bfi_b32 v13, v13, 0, 0
	v_bfi_b32 v12, v12, 0, v2
	v_cmp_eq_u64_e64 s[28:29], v[12:13], v[37:38]
	v_lshrrev_b64 v[12:13], v30, v[2:3]
	v_mov_b32_e32 v60, v13
	v_mov_b32_e32 v59, v12
	s_and_saveexec_b64 s[38:39], s[28:29]
; %bb.7140:                             ;   in Loop: Header=BB4_6216 Depth=3
	v_bfe_u32 v2, v12, 20, 1
	v_add_co_u32_e64 v2, s[28:29], v12, v2
	v_add_co_u32_e64 v59, s[28:29], -1, v2
; %bb.7141:                             ;   in Loop: Header=BB4_6216 Depth=3
	s_or_b64 exec, exec, s[38:39]
	v_add_u32_e32 v2, 0xffffff81, v29
	v_mov_b32_e32 v13, 0xffffff82
	v_cndmask_b32_e32 v2, v2, v13, vcc
	v_lshrrev_b32_e32 v13, 23, v12
	v_add3_u32 v37, v30, v2, v13
	v_add_u32_e32 v30, 6, v37
	v_and_b32_e32 v2, 0xfffff, v59
	v_add_u32_e32 v2, v2, v12
	v_cmp_ne_u32_e32 vcc, 0, v30
                                        ; implicit-def: $vgpr12_vgpr13
                                        ; implicit-def: $vgpr29
	s_and_saveexec_b64 s[28:29], vcc
	s_xor_b64 s[28:29], exec, s[28:29]
; %bb.7142:                             ;   in Loop: Header=BB4_6216 Depth=3
	v_cmp_lt_u64_e32 vcc, s[74:75], v[2:3]
	v_add_u32_e32 v12, 7, v37
	v_cndmask_b32_e32 v29, v30, v12, vcc
	v_cndmask_b32_e64 v12, 0, 1, vcc
	v_lshrrev_b64 v[12:13], v12, v[2:3]
; %bb.7143:                             ;   in Loop: Header=BB4_6216 Depth=3
	s_andn2_saveexec_b64 s[28:29], s[28:29]
; %bb.7144:                             ;   in Loop: Header=BB4_6216 Depth=3
	v_mov_b32_e32 v13, v3
	v_mov_b32_e32 v12, v2
	v_bfe_u32 v29, v2, 23, 1
; %bb.7145:                             ;   in Loop: Header=BB4_6216 Depth=3
	s_or_b64 exec, exec, s[28:29]
	v_lshrrev_b64 v[12:13], 20, v[12:13]
	v_cmp_gt_i32_e32 vcc, 16, v29
	v_cndmask_b32_e32 v13, 0, v13, vcc
	v_cndmask_b32_e32 v12, 7, v12, vcc
	v_min_i32_e32 v2, 15, v29
	v_cmp_eq_u64_e64 s[28:29], 0, v[12:13]
	v_lshlrev_b32_e32 v2, 3, v2
	v_cmp_eq_u32_e32 vcc, 0, v29
	v_and_b32_e32 v2, 0xf8, v2
	v_and_or_b32 v2, v12, 7, v2
	s_and_b64 s[28:29], vcc, s[28:29]
	v_cndmask_b32_e64 v2, v2, 0, s[28:29]
	v_or_b32_e32 v30, v2, v28
.LBB4_7146:                             ;   in Loop: Header=BB4_6216 Depth=3
	s_or_b64 exec, exec, s[36:37]
                                        ; implicit-def: $vgpr28
.LBB4_7147:                             ;   in Loop: Header=BB4_6216 Depth=3
	s_andn2_saveexec_b64 s[28:29], s[34:35]
; %bb.7148:                             ;   in Loop: Header=BB4_6216 Depth=3
	v_or_b32_e32 v30, 0x7e, v28
; %bb.7149:                             ;   in Loop: Header=BB4_6216 Depth=3
	s_or_b64 exec, exec, s[28:29]
                                        ; implicit-def: $vgpr12
.LBB4_7150:                             ;   in Loop: Header=BB4_6216 Depth=3
	s_andn2_saveexec_b64 s[28:29], s[30:31]
; %bb.7151:                             ;   in Loop: Header=BB4_6216 Depth=3
	v_or_b32_sdwa v30, v12, s68 dst_sel:DWORD dst_unused:UNUSED_PAD src0_sel:BYTE_3 src1_sel:DWORD
; %bb.7152:                             ;   in Loop: Header=BB4_6216 Depth=3
	s_or_b64 exec, exec, s[28:29]
	v_lshl_or_b32 v28, v52, 8, v42
	v_lshlrev_b32_e32 v2, 16, v18
	v_lshlrev_b32_e32 v12, 24, v36
	v_or3_b32 v2, v2, v12, v28
	v_cmp_ne_u32_e32 vcc, 0, v42
	v_mov_b32_e32 v12, 0
	v_mov_b32_e32 v13, 0
	s_and_saveexec_b64 s[28:29], vcc
	s_cbranch_execz .LBB4_7158
; %bb.7153:                             ;   in Loop: Header=BB4_6216 Depth=3
	v_cmp_ne_u32_e32 vcc, s70, v42
	v_bfrev_b32_e32 v13, 1
	s_and_saveexec_b64 s[30:31], vcc
	s_cbranch_execz .LBB4_7157
; %bb.7154:                             ;   in Loop: Header=BB4_6216 Depth=3
	v_and_b32_e32 v18, 0x7f, v42
	v_cmp_ne_u32_e32 vcc, s68, v18
	v_mov_b32_e32 v13, 0x7f800001
	s_and_saveexec_b64 s[34:35], vcc
	s_cbranch_execz .LBB4_7156
; %bb.7155:                             ;   in Loop: Header=BB4_6216 Depth=3
	v_and_b32_e32 v13, 7, v42
	v_ffbh_u32_e32 v13, v13
	v_min_u32_e32 v13, 32, v13
	v_lshrrev_b32_e32 v22, 3, v18
	v_cmp_gt_u32_e32 vcc, 8, v18
	v_subrev_u32_e32 v18, 28, v13
	v_cndmask_b32_e32 v18, 0, v18, vcc
	v_lshlrev_b64 v[36:37], v18, v[2:3]
	v_sub_u32_e32 v13, 29, v13
	v_cndmask_b32_e32 v13, v22, v13, vcc
	v_lshlrev_b32_e32 v18, 20, v36
	v_lshlrev_b32_e32 v22, 24, v2
	v_and_b32_e32 v18, 0x700000, v18
	v_and_b32_e32 v22, 0x80000000, v22
	v_lshl_add_u32 v13, v13, 23, v5
	v_or3_b32 v13, v22, v13, v18
.LBB4_7156:                             ;   in Loop: Header=BB4_6216 Depth=3
	s_or_b64 exec, exec, s[34:35]
.LBB4_7157:                             ;   in Loop: Header=BB4_6216 Depth=3
	s_or_b64 exec, exec, s[30:31]
.LBB4_7158:                             ;   in Loop: Header=BB4_6216 Depth=3
	s_or_b64 exec, exec, s[28:29]
	v_cmp_ne_u16_sdwa vcc, v14, v3 src0_sel:BYTE_0 src1_sel:DWORD
	s_and_saveexec_b64 s[28:29], vcc
	s_cbranch_execz .LBB4_7164
; %bb.7159:                             ;   in Loop: Header=BB4_6216 Depth=3
	v_cmp_ne_u16_sdwa vcc, v14, s70 src0_sel:BYTE_0 src1_sel:DWORD
	v_bfrev_b32_e32 v12, 1
	s_and_saveexec_b64 s[30:31], vcc
	s_cbranch_execz .LBB4_7163
; %bb.7160:                             ;   in Loop: Header=BB4_6216 Depth=3
	v_and_b32_e32 v18, 0x7f, v14
	v_cmp_ne_u32_e32 vcc, s68, v18
	v_mov_b32_e32 v12, 0x7f800001
	s_and_saveexec_b64 s[34:35], vcc
	s_cbranch_execz .LBB4_7162
; %bb.7161:                             ;   in Loop: Header=BB4_6216 Depth=3
	v_and_b32_e32 v12, 7, v14
	v_ffbh_u32_e32 v12, v12
	v_min_u32_e32 v12, 32, v12
	v_lshrrev_b32_e32 v22, 3, v18
	v_cmp_gt_u32_e32 vcc, 8, v18
	v_subrev_u32_e32 v18, 28, v12
	v_cndmask_b32_e32 v18, 0, v18, vcc
	v_lshlrev_b64 v[36:37], v18, v[14:15]
	v_sub_u32_e32 v12, 29, v12
	v_cndmask_b32_e32 v12, v22, v12, vcc
	v_lshlrev_b32_e32 v18, 20, v36
	v_lshlrev_b32_e32 v22, 24, v14
	v_and_b32_e32 v18, 0x700000, v18
	v_and_b32_e32 v22, 0x80000000, v22
	v_lshl_add_u32 v12, v12, 23, v5
	v_or3_b32 v12, v22, v12, v18
.LBB4_7162:                             ;   in Loop: Header=BB4_6216 Depth=3
	s_or_b64 exec, exec, s[34:35]
.LBB4_7163:                             ;   in Loop: Header=BB4_6216 Depth=3
	s_or_b64 exec, exec, s[30:31]
.LBB4_7164:                             ;   in Loop: Header=BB4_6216 Depth=3
	s_or_b64 exec, exec, s[28:29]
	v_add_f32_e32 v12, v13, v12
	v_and_b32_e32 v36, 0x7f800000, v12
	v_mov_b32_e32 v37, v3
	v_cmp_ne_u64_e32 vcc, s[62:63], v[36:37]
                                        ; implicit-def: $vgpr18
	s_and_saveexec_b64 s[28:29], vcc
	s_xor_b64 s[30:31], exec, s[28:29]
	s_cbranch_execz .LBB4_7178
; %bb.7165:                             ;   in Loop: Header=BB4_6216 Depth=3
	v_and_b32_e32 v36, 0x7fffffff, v12
	v_mov_b32_e32 v37, v3
	v_cmp_gt_u64_e32 vcc, s[72:73], v[36:37]
	v_and_b32_sdwa v29, v12, s70 dst_sel:DWORD dst_unused:UNUSED_PAD src0_sel:BYTE_3 src1_sel:DWORD
                                        ; implicit-def: $vgpr18
	s_and_saveexec_b64 s[28:29], vcc
	s_xor_b64 s[34:35], exec, s[28:29]
	s_cbranch_execz .LBB4_7175
; %bb.7166:                             ;   in Loop: Header=BB4_6216 Depth=3
	v_mov_b32_e32 v18, 0
	v_cmp_ne_u32_e32 vcc, 0, v12
	s_and_saveexec_b64 s[36:37], vcc
	s_cbranch_execz .LBB4_7174
; %bb.7167:                             ;   in Loop: Header=BB4_6216 Depth=3
	v_bfe_u32 v18, v12, 23, 8
	v_and_b32_e32 v13, 0x7fffff, v12
	v_cmp_gt_u32_e64 s[28:29], s71, v18
	v_sub_u32_e32 v12, 0x79, v18
	v_cmp_eq_u32_e32 vcc, 0, v18
	v_cndmask_b32_e64 v12, 0, v12, s[28:29]
	v_mov_b32_e32 v23, 0x78
	v_or_b32_e32 v22, 0x800000, v13
	v_cndmask_b32_e32 v36, v12, v23, vcc
	v_cndmask_b32_e32 v12, v22, v13, vcc
	v_add_u32_e32 v22, 20, v36
	v_lshlrev_b64 v[37:38], v22, -1
	v_mov_b32_e32 v13, v3
	v_add_u32_e32 v22, 19, v36
	v_bfi_b32 v37, v37, 0, v12
	v_lshlrev_b64 v[52:53], v22, 1
	v_lshrrev_b64 v[12:13], v36, v[12:13]
	v_bfi_b32 v38, v38, 0, 0
	v_cmp_eq_u64_e64 s[28:29], v[37:38], v[52:53]
	v_mov_b32_e32 v60, v13
	v_mov_b32_e32 v59, v12
	s_and_saveexec_b64 s[38:39], s[28:29]
; %bb.7168:                             ;   in Loop: Header=BB4_6216 Depth=3
	v_bfe_u32 v13, v12, 20, 1
	v_add_co_u32_e64 v13, s[28:29], v12, v13
	v_add_co_u32_e64 v59, s[28:29], -1, v13
; %bb.7169:                             ;   in Loop: Header=BB4_6216 Depth=3
	s_or_b64 exec, exec, s[38:39]
	v_add_u32_e32 v13, 0xffffff81, v18
	v_mov_b32_e32 v18, 0xffffff82
	v_cndmask_b32_e32 v13, v13, v18, vcc
	v_lshrrev_b32_e32 v18, 23, v12
	v_add3_u32 v37, v36, v13, v18
	v_add_u32_e32 v36, 6, v37
	v_and_b32_e32 v13, 0xfffff, v59
	v_add_u32_e32 v12, v13, v12
	v_mov_b32_e32 v13, v3
	v_cmp_ne_u32_e32 vcc, 0, v36
                                        ; implicit-def: $vgpr18
	s_and_saveexec_b64 s[28:29], vcc
	s_xor_b64 s[28:29], exec, s[28:29]
; %bb.7170:                             ;   in Loop: Header=BB4_6216 Depth=3
	v_cmp_lt_u64_e32 vcc, s[74:75], v[12:13]
	v_add_u32_e32 v18, 7, v37
	v_cndmask_b32_e64 v22, 0, 1, vcc
	v_cndmask_b32_e32 v18, v36, v18, vcc
	v_lshrrev_b64 v[12:13], v22, v[12:13]
; %bb.7171:                             ;   in Loop: Header=BB4_6216 Depth=3
	s_andn2_saveexec_b64 s[28:29], s[28:29]
; %bb.7172:                             ;   in Loop: Header=BB4_6216 Depth=3
	v_bfe_u32 v18, v12, 23, 1
; %bb.7173:                             ;   in Loop: Header=BB4_6216 Depth=3
	s_or_b64 exec, exec, s[28:29]
	v_lshrrev_b64 v[12:13], 20, v[12:13]
	v_cmp_gt_i32_e32 vcc, 16, v18
	v_cndmask_b32_e32 v13, 0, v13, vcc
	v_cndmask_b32_e32 v12, 7, v12, vcc
	v_cmp_eq_u64_e64 s[28:29], 0, v[12:13]
	v_min_i32_e32 v13, 15, v18
	v_lshlrev_b32_e32 v13, 3, v13
	v_cmp_eq_u32_e32 vcc, 0, v18
	v_and_b32_e32 v13, 0xf8, v13
	v_and_or_b32 v12, v12, 7, v13
	s_and_b64 s[28:29], vcc, s[28:29]
	v_cndmask_b32_e64 v12, v12, 0, s[28:29]
	v_or_b32_e32 v18, v12, v29
.LBB4_7174:                             ;   in Loop: Header=BB4_6216 Depth=3
	s_or_b64 exec, exec, s[36:37]
                                        ; implicit-def: $vgpr29
.LBB4_7175:                             ;   in Loop: Header=BB4_6216 Depth=3
	s_andn2_saveexec_b64 s[28:29], s[34:35]
; %bb.7176:                             ;   in Loop: Header=BB4_6216 Depth=3
	v_or_b32_e32 v18, 0x7e, v29
; %bb.7177:                             ;   in Loop: Header=BB4_6216 Depth=3
	s_or_b64 exec, exec, s[28:29]
                                        ; implicit-def: $vgpr12
.LBB4_7178:                             ;   in Loop: Header=BB4_6216 Depth=3
	s_andn2_saveexec_b64 s[28:29], s[30:31]
; %bb.7179:                             ;   in Loop: Header=BB4_6216 Depth=3
	v_or_b32_sdwa v18, v12, s68 dst_sel:DWORD dst_unused:UNUSED_PAD src0_sel:BYTE_3 src1_sel:DWORD
; %bb.7180:                             ;   in Loop: Header=BB4_6216 Depth=3
	s_or_b64 exec, exec, s[28:29]
	v_lshrrev_b16_e32 v12, 8, v28
	v_cmp_ne_u16_e32 vcc, 0, v12
	v_mov_b32_e32 v13, 0
	v_mov_b32_e32 v29, 0
	s_and_saveexec_b64 s[28:29], vcc
	s_cbranch_execz .LBB4_7186
; %bb.7181:                             ;   in Loop: Header=BB4_6216 Depth=3
	v_cmp_ne_u16_e32 vcc, s70, v12
	v_bfrev_b32_e32 v29, 1
	s_and_saveexec_b64 s[30:31], vcc
	s_cbranch_execz .LBB4_7185
; %bb.7182:                             ;   in Loop: Header=BB4_6216 Depth=3
	v_and_b32_e32 v36, 0x7f, v12
	v_cmp_ne_u32_e32 vcc, s68, v36
	v_mov_b32_e32 v29, 0x7f800001
	s_and_saveexec_b64 s[34:35], vcc
	s_cbranch_execz .LBB4_7184
; %bb.7183:                             ;   in Loop: Header=BB4_6216 Depth=3
	v_and_b32_e32 v22, 7, v12
	v_ffbh_u32_e32 v29, v22
	v_min_u32_e32 v29, 32, v29
	v_subrev_u32_e32 v32, 28, v29
	v_lshrrev_b32_e32 v23, 3, v36
	v_cmp_gt_u32_e32 vcc, 8, v36
	v_lshlrev_b64 v[36:37], v32, v[12:13]
	v_sub_u32_e32 v12, 29, v29
	v_and_b32_e32 v29, 7, v36
	v_cndmask_b32_e32 v12, v23, v12, vcc
	v_cndmask_b32_e32 v22, v22, v29, vcc
	v_lshlrev_b32_e32 v23, 16, v28
	v_lshlrev_b32_e32 v22, 20, v22
	v_and_b32_e32 v23, 0x80000000, v23
	v_lshl_add_u32 v12, v12, 23, v5
	v_or3_b32 v29, v23, v12, v22
.LBB4_7184:                             ;   in Loop: Header=BB4_6216 Depth=3
	s_or_b64 exec, exec, s[34:35]
.LBB4_7185:                             ;   in Loop: Header=BB4_6216 Depth=3
	s_or_b64 exec, exec, s[30:31]
.LBB4_7186:                             ;   in Loop: Header=BB4_6216 Depth=3
	s_or_b64 exec, exec, s[28:29]
	v_lshrrev_b16_e32 v12, 8, v14
	v_cmp_ne_u16_e32 vcc, 0, v12
	s_and_saveexec_b64 s[28:29], vcc
	s_cbranch_execz .LBB4_7192
; %bb.7187:                             ;   in Loop: Header=BB4_6216 Depth=3
	v_cmp_ne_u16_e32 vcc, s70, v12
	v_bfrev_b32_e32 v13, 1
	s_and_saveexec_b64 s[30:31], vcc
	s_cbranch_execz .LBB4_7191
; %bb.7188:                             ;   in Loop: Header=BB4_6216 Depth=3
	v_and_b32_e32 v28, 0x7f, v12
	v_cmp_ne_u32_e32 vcc, s68, v28
	v_mov_b32_e32 v13, 0x7f800001
	s_and_saveexec_b64 s[34:35], vcc
	s_cbranch_execz .LBB4_7190
; %bb.7189:                             ;   in Loop: Header=BB4_6216 Depth=3
	v_and_b32_e32 v22, 7, v12
	v_ffbh_u32_e32 v13, v22
	v_lshrrev_b32_e32 v23, 3, v28
	v_cmp_gt_u32_e32 vcc, 8, v28
	v_min_u32_e32 v28, 32, v13
	v_subrev_u32_e32 v13, 28, v28
	v_lshlrev_b64 v[12:13], v13, v[12:13]
	v_sub_u32_e32 v13, 29, v28
	v_and_b32_e32 v12, 7, v12
	v_cndmask_b32_e32 v13, v23, v13, vcc
	v_cndmask_b32_e32 v12, v22, v12, vcc
	v_lshlrev_b32_e32 v22, 16, v14
	v_lshlrev_b32_e32 v12, 20, v12
	v_and_b32_e32 v22, 0x80000000, v22
	v_lshl_add_u32 v13, v13, 23, v5
	v_or3_b32 v13, v22, v13, v12
.LBB4_7190:                             ;   in Loop: Header=BB4_6216 Depth=3
	s_or_b64 exec, exec, s[34:35]
.LBB4_7191:                             ;   in Loop: Header=BB4_6216 Depth=3
	s_or_b64 exec, exec, s[30:31]
.LBB4_7192:                             ;   in Loop: Header=BB4_6216 Depth=3
	s_or_b64 exec, exec, s[28:29]
	v_add_f32_e32 v12, v29, v13
	v_and_b32_e32 v28, 0x7f800000, v12
	v_mov_b32_e32 v29, v3
	v_cmp_ne_u64_e32 vcc, s[62:63], v[28:29]
                                        ; implicit-def: $vgpr28
	s_and_saveexec_b64 s[28:29], vcc
	s_xor_b64 s[30:31], exec, s[28:29]
	s_cbranch_execz .LBB4_7206
; %bb.7193:                             ;   in Loop: Header=BB4_6216 Depth=3
	v_and_b32_e32 v28, 0x7fffffff, v12
	v_mov_b32_e32 v29, v3
	v_cmp_gt_u64_e32 vcc, s[72:73], v[28:29]
	v_and_b32_sdwa v29, v12, s70 dst_sel:DWORD dst_unused:UNUSED_PAD src0_sel:BYTE_3 src1_sel:DWORD
                                        ; implicit-def: $vgpr28
	s_and_saveexec_b64 s[28:29], vcc
	s_xor_b64 s[34:35], exec, s[28:29]
	s_cbranch_execz .LBB4_7203
; %bb.7194:                             ;   in Loop: Header=BB4_6216 Depth=3
	v_mov_b32_e32 v28, 0
	v_cmp_ne_u32_e32 vcc, 0, v12
	s_and_saveexec_b64 s[36:37], vcc
	s_cbranch_execz .LBB4_7202
; %bb.7195:                             ;   in Loop: Header=BB4_6216 Depth=3
	v_bfe_u32 v28, v12, 23, 8
	v_and_b32_e32 v13, 0x7fffff, v12
	v_cmp_gt_u32_e64 s[28:29], s71, v28
	v_sub_u32_e32 v12, 0x79, v28
	v_cmp_eq_u32_e32 vcc, 0, v28
	v_cndmask_b32_e64 v12, 0, v12, s[28:29]
	v_mov_b32_e32 v23, 0x78
	v_or_b32_e32 v22, 0x800000, v13
	v_cndmask_b32_e32 v36, v12, v23, vcc
	v_cndmask_b32_e32 v12, v22, v13, vcc
	v_add_u32_e32 v22, 20, v36
	v_lshlrev_b64 v[37:38], v22, -1
	v_mov_b32_e32 v13, v3
	v_add_u32_e32 v22, 19, v36
	v_bfi_b32 v37, v37, 0, v12
	v_lshlrev_b64 v[52:53], v22, 1
	v_lshrrev_b64 v[12:13], v36, v[12:13]
	v_bfi_b32 v38, v38, 0, 0
	v_cmp_eq_u64_e64 s[28:29], v[37:38], v[52:53]
	v_mov_b32_e32 v60, v13
	v_mov_b32_e32 v59, v12
	s_and_saveexec_b64 s[38:39], s[28:29]
; %bb.7196:                             ;   in Loop: Header=BB4_6216 Depth=3
	v_bfe_u32 v13, v12, 20, 1
	v_add_co_u32_e64 v13, s[28:29], v12, v13
	v_add_co_u32_e64 v59, s[28:29], -1, v13
; %bb.7197:                             ;   in Loop: Header=BB4_6216 Depth=3
	s_or_b64 exec, exec, s[38:39]
	v_add_u32_e32 v13, 0xffffff81, v28
	v_mov_b32_e32 v22, 0xffffff82
	v_cndmask_b32_e32 v13, v13, v22, vcc
	v_lshrrev_b32_e32 v22, 23, v12
	v_add3_u32 v37, v36, v13, v22
	v_add_u32_e32 v36, 6, v37
	v_and_b32_e32 v13, 0xfffff, v59
	v_add_u32_e32 v12, v13, v12
	v_mov_b32_e32 v13, v3
	v_cmp_ne_u32_e32 vcc, 0, v36
                                        ; implicit-def: $vgpr28
	s_and_saveexec_b64 s[28:29], vcc
	s_xor_b64 s[28:29], exec, s[28:29]
; %bb.7198:                             ;   in Loop: Header=BB4_6216 Depth=3
	v_cmp_lt_u64_e32 vcc, s[74:75], v[12:13]
	v_add_u32_e32 v22, 7, v37
	v_cndmask_b32_e32 v28, v36, v22, vcc
	v_cndmask_b32_e64 v22, 0, 1, vcc
	v_lshrrev_b64 v[12:13], v22, v[12:13]
; %bb.7199:                             ;   in Loop: Header=BB4_6216 Depth=3
	s_andn2_saveexec_b64 s[28:29], s[28:29]
; %bb.7200:                             ;   in Loop: Header=BB4_6216 Depth=3
	v_bfe_u32 v28, v12, 23, 1
; %bb.7201:                             ;   in Loop: Header=BB4_6216 Depth=3
	s_or_b64 exec, exec, s[28:29]
	v_lshrrev_b64 v[12:13], 20, v[12:13]
	v_cmp_gt_i32_e32 vcc, 16, v28
	v_cndmask_b32_e32 v13, 0, v13, vcc
	v_cndmask_b32_e32 v12, 7, v12, vcc
	v_cmp_eq_u64_e64 s[28:29], 0, v[12:13]
	v_min_i32_e32 v13, 15, v28
	v_lshlrev_b32_e32 v13, 3, v13
	v_cmp_eq_u32_e32 vcc, 0, v28
	v_and_b32_e32 v13, 0xf8, v13
	v_and_or_b32 v12, v12, 7, v13
	s_and_b64 s[28:29], vcc, s[28:29]
	v_cndmask_b32_e64 v12, v12, 0, s[28:29]
	v_or_b32_e32 v28, v12, v29
.LBB4_7202:                             ;   in Loop: Header=BB4_6216 Depth=3
	s_or_b64 exec, exec, s[36:37]
                                        ; implicit-def: $vgpr29
.LBB4_7203:                             ;   in Loop: Header=BB4_6216 Depth=3
	s_andn2_saveexec_b64 s[28:29], s[34:35]
; %bb.7204:                             ;   in Loop: Header=BB4_6216 Depth=3
	v_or_b32_e32 v28, 0x7e, v29
; %bb.7205:                             ;   in Loop: Header=BB4_6216 Depth=3
	s_or_b64 exec, exec, s[28:29]
                                        ; implicit-def: $vgpr12
.LBB4_7206:                             ;   in Loop: Header=BB4_6216 Depth=3
	s_andn2_saveexec_b64 s[28:29], s[30:31]
; %bb.7207:                             ;   in Loop: Header=BB4_6216 Depth=3
	v_or_b32_sdwa v28, v12, s68 dst_sel:DWORD dst_unused:UNUSED_PAD src0_sel:BYTE_3 src1_sel:DWORD
; %bb.7208:                             ;   in Loop: Header=BB4_6216 Depth=3
	s_or_b64 exec, exec, s[28:29]
	v_lshrrev_b32_e32 v12, 16, v2
	v_cmp_ne_u16_sdwa vcc, v12, v3 src0_sel:BYTE_0 src1_sel:DWORD
	v_mov_b32_e32 v13, 0
	v_mov_b32_e32 v29, 0
	s_and_saveexec_b64 s[28:29], vcc
	s_cbranch_execz .LBB4_7214
; %bb.7209:                             ;   in Loop: Header=BB4_6216 Depth=3
	v_cmp_ne_u16_sdwa vcc, v12, s70 src0_sel:BYTE_0 src1_sel:DWORD
	v_bfrev_b32_e32 v29, 1
	s_and_saveexec_b64 s[30:31], vcc
	s_cbranch_execz .LBB4_7213
; %bb.7210:                             ;   in Loop: Header=BB4_6216 Depth=3
	v_bfe_u32 v36, v2, 16, 7
	v_cmp_ne_u32_e32 vcc, s68, v36
	v_mov_b32_e32 v29, 0x7f800001
	s_and_saveexec_b64 s[34:35], vcc
	s_cbranch_execz .LBB4_7212
; %bb.7211:                             ;   in Loop: Header=BB4_6216 Depth=3
	v_and_b32_e32 v22, 7, v12
	v_ffbh_u32_e32 v29, v22
	v_min_u32_e32 v29, 32, v29
	v_subrev_u32_e32 v32, 28, v29
	v_lshrrev_b32_e32 v23, 3, v36
	v_cmp_gt_u32_e32 vcc, 8, v36
	v_lshlrev_b64 v[36:37], v32, v[12:13]
	v_sub_u32_e32 v29, 29, v29
	v_and_b32_e32 v32, 7, v36
	v_cndmask_b32_e32 v23, v23, v29, vcc
	v_cndmask_b32_e32 v22, v22, v32, vcc
	v_lshlrev_b32_e32 v12, 24, v12
	v_lshlrev_b32_e32 v22, 20, v22
	v_and_b32_e32 v12, 0x80000000, v12
	v_lshl_add_u32 v23, v23, 23, v5
	v_or3_b32 v29, v12, v23, v22
.LBB4_7212:                             ;   in Loop: Header=BB4_6216 Depth=3
	s_or_b64 exec, exec, s[34:35]
.LBB4_7213:                             ;   in Loop: Header=BB4_6216 Depth=3
	s_or_b64 exec, exec, s[30:31]
.LBB4_7214:                             ;   in Loop: Header=BB4_6216 Depth=3
	s_or_b64 exec, exec, s[28:29]
	v_lshrrev_b32_e32 v12, 16, v14
	v_cmp_ne_u16_sdwa vcc, v12, v3 src0_sel:BYTE_0 src1_sel:DWORD
	s_and_saveexec_b64 s[28:29], vcc
	s_cbranch_execz .LBB4_7220
; %bb.7215:                             ;   in Loop: Header=BB4_6216 Depth=3
	v_cmp_ne_u16_sdwa vcc, v12, s70 src0_sel:BYTE_0 src1_sel:DWORD
	v_bfrev_b32_e32 v13, 1
	s_and_saveexec_b64 s[30:31], vcc
	s_cbranch_execz .LBB4_7219
; %bb.7216:                             ;   in Loop: Header=BB4_6216 Depth=3
	v_bfe_u32 v36, v14, 16, 7
	v_cmp_ne_u32_e32 vcc, s68, v36
	v_mov_b32_e32 v13, 0x7f800001
	s_and_saveexec_b64 s[34:35], vcc
	s_cbranch_execz .LBB4_7218
; %bb.7217:                             ;   in Loop: Header=BB4_6216 Depth=3
	v_and_b32_e32 v22, 7, v12
	v_ffbh_u32_e32 v13, v22
	v_min_u32_e32 v32, 32, v13
	v_subrev_u32_e32 v13, 28, v32
	v_lshlrev_b64 v[12:13], v13, v[12:13]
	v_lshrrev_b32_e32 v23, 3, v36
	v_cmp_gt_u32_e32 vcc, 8, v36
	v_sub_u32_e32 v13, 29, v32
	v_and_b32_e32 v12, 7, v12
	v_cndmask_b32_e32 v13, v23, v13, vcc
	v_cndmask_b32_e32 v12, v22, v12, vcc
	v_lshlrev_b32_e32 v22, 8, v14
	v_lshlrev_b32_e32 v12, 20, v12
	v_and_b32_e32 v22, 0x80000000, v22
	v_lshl_add_u32 v13, v13, 23, v5
	v_or3_b32 v13, v22, v13, v12
.LBB4_7218:                             ;   in Loop: Header=BB4_6216 Depth=3
	s_or_b64 exec, exec, s[34:35]
.LBB4_7219:                             ;   in Loop: Header=BB4_6216 Depth=3
	s_or_b64 exec, exec, s[30:31]
.LBB4_7220:                             ;   in Loop: Header=BB4_6216 Depth=3
	s_or_b64 exec, exec, s[28:29]
	v_add_f32_e32 v12, v29, v13
	v_and_b32_e32 v36, 0x7f800000, v12
	v_mov_b32_e32 v37, v3
	v_cmp_ne_u64_e32 vcc, s[62:63], v[36:37]
                                        ; implicit-def: $vgpr29
	s_and_saveexec_b64 s[28:29], vcc
	s_xor_b64 s[30:31], exec, s[28:29]
	s_cbranch_execz .LBB4_7234
; %bb.7221:                             ;   in Loop: Header=BB4_6216 Depth=3
	v_and_b32_e32 v36, 0x7fffffff, v12
	v_mov_b32_e32 v37, v3
	v_cmp_gt_u64_e32 vcc, s[72:73], v[36:37]
	v_and_b32_sdwa v36, v12, s70 dst_sel:DWORD dst_unused:UNUSED_PAD src0_sel:BYTE_3 src1_sel:DWORD
                                        ; implicit-def: $vgpr29
	s_and_saveexec_b64 s[28:29], vcc
	s_xor_b64 s[34:35], exec, s[28:29]
	s_cbranch_execz .LBB4_7231
; %bb.7222:                             ;   in Loop: Header=BB4_6216 Depth=3
	v_mov_b32_e32 v29, 0
	v_cmp_ne_u32_e32 vcc, 0, v12
	s_and_saveexec_b64 s[36:37], vcc
	s_cbranch_execz .LBB4_7230
; %bb.7223:                             ;   in Loop: Header=BB4_6216 Depth=3
	v_bfe_u32 v29, v12, 23, 8
	v_and_b32_e32 v13, 0x7fffff, v12
	v_cmp_gt_u32_e64 s[28:29], s71, v29
	v_sub_u32_e32 v12, 0x79, v29
	v_cmp_eq_u32_e32 vcc, 0, v29
	v_cndmask_b32_e64 v12, 0, v12, s[28:29]
	v_mov_b32_e32 v23, 0x78
	v_or_b32_e32 v22, 0x800000, v13
	v_cndmask_b32_e32 v37, v12, v23, vcc
	v_cndmask_b32_e32 v12, v22, v13, vcc
	v_add_u32_e32 v22, 20, v37
	v_lshlrev_b64 v[52:53], v22, -1
	v_mov_b32_e32 v13, v3
	v_add_u32_e32 v22, 19, v37
	v_bfi_b32 v52, v52, 0, v12
	v_lshlrev_b64 v[59:60], v22, 1
	v_lshrrev_b64 v[12:13], v37, v[12:13]
	v_bfi_b32 v53, v53, 0, 0
	v_cmp_eq_u64_e64 s[28:29], v[52:53], v[59:60]
	v_mov_b32_e32 v60, v13
	v_mov_b32_e32 v59, v12
	s_and_saveexec_b64 s[38:39], s[28:29]
; %bb.7224:                             ;   in Loop: Header=BB4_6216 Depth=3
	v_bfe_u32 v13, v12, 20, 1
	v_add_co_u32_e64 v13, s[28:29], v12, v13
	v_add_co_u32_e64 v59, s[28:29], -1, v13
; %bb.7225:                             ;   in Loop: Header=BB4_6216 Depth=3
	s_or_b64 exec, exec, s[38:39]
	v_add_u32_e32 v13, 0xffffff81, v29
	v_mov_b32_e32 v22, 0xffffff82
	v_cndmask_b32_e32 v13, v13, v22, vcc
	v_lshrrev_b32_e32 v22, 23, v12
	v_add3_u32 v49, v37, v13, v22
	v_add_u32_e32 v37, 6, v49
	v_and_b32_e32 v13, 0xfffff, v59
	v_add_u32_e32 v12, v13, v12
	v_mov_b32_e32 v13, v3
	v_cmp_ne_u32_e32 vcc, 0, v37
                                        ; implicit-def: $vgpr29
	s_and_saveexec_b64 s[28:29], vcc
	s_xor_b64 s[28:29], exec, s[28:29]
; %bb.7226:                             ;   in Loop: Header=BB4_6216 Depth=3
	v_cmp_lt_u64_e32 vcc, s[74:75], v[12:13]
	v_add_u32_e32 v22, 7, v49
	v_cndmask_b32_e32 v29, v37, v22, vcc
	v_cndmask_b32_e64 v22, 0, 1, vcc
	v_lshrrev_b64 v[12:13], v22, v[12:13]
; %bb.7227:                             ;   in Loop: Header=BB4_6216 Depth=3
	s_andn2_saveexec_b64 s[28:29], s[28:29]
; %bb.7228:                             ;   in Loop: Header=BB4_6216 Depth=3
	v_bfe_u32 v29, v12, 23, 1
; %bb.7229:                             ;   in Loop: Header=BB4_6216 Depth=3
	s_or_b64 exec, exec, s[28:29]
	v_lshrrev_b64 v[12:13], 20, v[12:13]
	v_cmp_gt_i32_e32 vcc, 16, v29
	v_cndmask_b32_e32 v13, 0, v13, vcc
	v_cndmask_b32_e32 v12, 7, v12, vcc
	v_cmp_eq_u64_e64 s[28:29], 0, v[12:13]
	v_min_i32_e32 v13, 15, v29
	v_lshlrev_b32_e32 v13, 3, v13
	v_cmp_eq_u32_e32 vcc, 0, v29
	v_and_b32_e32 v13, 0xf8, v13
	v_and_or_b32 v12, v12, 7, v13
	s_and_b64 s[28:29], vcc, s[28:29]
	v_cndmask_b32_e64 v12, v12, 0, s[28:29]
	v_or_b32_e32 v29, v12, v36
.LBB4_7230:                             ;   in Loop: Header=BB4_6216 Depth=3
	s_or_b64 exec, exec, s[36:37]
                                        ; implicit-def: $vgpr36
.LBB4_7231:                             ;   in Loop: Header=BB4_6216 Depth=3
	s_andn2_saveexec_b64 s[28:29], s[34:35]
; %bb.7232:                             ;   in Loop: Header=BB4_6216 Depth=3
	v_or_b32_e32 v29, 0x7e, v36
; %bb.7233:                             ;   in Loop: Header=BB4_6216 Depth=3
	s_or_b64 exec, exec, s[28:29]
                                        ; implicit-def: $vgpr12
.LBB4_7234:                             ;   in Loop: Header=BB4_6216 Depth=3
	s_andn2_saveexec_b64 s[28:29], s[30:31]
; %bb.7235:                             ;   in Loop: Header=BB4_6216 Depth=3
	v_or_b32_sdwa v29, v12, s68 dst_sel:DWORD dst_unused:UNUSED_PAD src0_sel:BYTE_3 src1_sel:DWORD
; %bb.7236:                             ;   in Loop: Header=BB4_6216 Depth=3
	s_or_b64 exec, exec, s[28:29]
	v_cmp_lt_u32_e32 vcc, s57, v2
	v_mov_b32_e32 v13, 0
	v_mov_b32_e32 v36, 0
	s_and_saveexec_b64 s[28:29], vcc
	s_cbranch_execz .LBB4_7242
; %bb.7237:                             ;   in Loop: Header=BB4_6216 Depth=3
	v_lshrrev_b32_e32 v12, 24, v2
	v_cmp_ne_u32_sdwa vcc, v2, s70 src0_sel:BYTE_3 src1_sel:DWORD
	v_bfrev_b32_e32 v36, 1
	s_and_saveexec_b64 s[30:31], vcc
	s_cbranch_execz .LBB4_7241
; %bb.7238:                             ;   in Loop: Header=BB4_6216 Depth=3
	v_bfe_u32 v37, v2, 24, 7
	v_cmp_ne_u32_e32 vcc, s68, v37
	v_mov_b32_e32 v36, 0x7f800001
	s_and_saveexec_b64 s[34:35], vcc
	s_cbranch_execz .LBB4_7240
; %bb.7239:                             ;   in Loop: Header=BB4_6216 Depth=3
	v_and_b32_e32 v22, 7, v12
	v_ffbh_u32_e32 v32, v22
	v_min_u32_e32 v32, 32, v32
	v_mov_b32_e32 v38, v33
	v_subrev_u32_e32 v33, 28, v32
	v_lshrrev_b32_e32 v23, 3, v37
	v_cmp_gt_u32_e32 vcc, 8, v37
	v_lshlrev_b64 v[36:37], v33, v[12:13]
	v_sub_u32_e32 v12, 29, v32
	v_and_b32_e32 v32, 7, v36
	v_cndmask_b32_e32 v12, v23, v12, vcc
	v_mov_b32_e32 v23, 24
	v_cndmask_b32_e32 v22, v22, v32, vcc
	v_lshlrev_b32_sdwa v2, v23, v2 dst_sel:DWORD dst_unused:UNUSED_PAD src0_sel:DWORD src1_sel:BYTE_3
	v_lshlrev_b32_e32 v22, 20, v22
	v_and_b32_e32 v2, 0x80000000, v2
	v_lshl_add_u32 v12, v12, 23, v5
	v_mov_b32_e32 v33, v38
	v_or3_b32 v36, v2, v12, v22
.LBB4_7240:                             ;   in Loop: Header=BB4_6216 Depth=3
	s_or_b64 exec, exec, s[34:35]
.LBB4_7241:                             ;   in Loop: Header=BB4_6216 Depth=3
	s_or_b64 exec, exec, s[30:31]
.LBB4_7242:                             ;   in Loop: Header=BB4_6216 Depth=3
	s_or_b64 exec, exec, s[28:29]
	v_cmp_lt_u32_e32 vcc, s57, v14
	s_and_saveexec_b64 s[28:29], vcc
	s_cbranch_execz .LBB4_7248
; %bb.7243:                             ;   in Loop: Header=BB4_6216 Depth=3
	v_lshrrev_b32_e32 v2, 24, v14
	v_cmp_ne_u32_e32 vcc, s70, v2
	v_bfrev_b32_e32 v13, 1
	s_and_saveexec_b64 s[30:31], vcc
	s_cbranch_execz .LBB4_7247
; %bb.7244:                             ;   in Loop: Header=BB4_6216 Depth=3
	v_bfe_u32 v12, v14, 24, 7
	v_cmp_ne_u32_e32 vcc, s68, v12
	v_mov_b32_e32 v13, 0x7f800001
	s_and_saveexec_b64 s[34:35], vcc
	s_cbranch_execz .LBB4_7246
; %bb.7245:                             ;   in Loop: Header=BB4_6216 Depth=3
	v_and_b32_e32 v22, 7, v2
	v_lshrrev_b32_e32 v23, 3, v12
	v_cmp_gt_u32_e32 vcc, 8, v12
	v_ffbh_u32_e32 v12, v22
	v_min_u32_e32 v32, 32, v12
	v_subrev_u32_e32 v12, 28, v32
	v_lshlrev_b64 v[12:13], v12, v[2:3]
	v_sub_u32_e32 v13, 29, v32
	v_and_b32_e32 v12, 7, v12
	v_cndmask_b32_e32 v13, v23, v13, vcc
	v_cndmask_b32_e32 v12, v22, v12, vcc
	v_lshlrev_b32_e32 v2, 24, v2
	v_lshlrev_b32_e32 v12, 20, v12
	v_and_b32_e32 v2, 0x80000000, v2
	v_lshl_add_u32 v13, v13, 23, v5
	v_or3_b32 v13, v2, v13, v12
.LBB4_7246:                             ;   in Loop: Header=BB4_6216 Depth=3
	s_or_b64 exec, exec, s[34:35]
.LBB4_7247:                             ;   in Loop: Header=BB4_6216 Depth=3
	s_or_b64 exec, exec, s[30:31]
.LBB4_7248:                             ;   in Loop: Header=BB4_6216 Depth=3
	s_or_b64 exec, exec, s[28:29]
	v_add_f32_e32 v12, v36, v13
	v_and_b32_e32 v2, 0x7f800000, v12
	v_cmp_ne_u64_e32 vcc, s[62:63], v[2:3]
                                        ; implicit-def: $vgpr36
	s_and_saveexec_b64 s[28:29], vcc
	s_xor_b64 s[30:31], exec, s[28:29]
	s_cbranch_execz .LBB4_7262
; %bb.7249:                             ;   in Loop: Header=BB4_6216 Depth=3
	v_and_b32_e32 v2, 0x7fffffff, v12
	v_cmp_gt_u64_e32 vcc, s[72:73], v[2:3]
	v_and_b32_sdwa v37, v12, s70 dst_sel:DWORD dst_unused:UNUSED_PAD src0_sel:BYTE_3 src1_sel:DWORD
                                        ; implicit-def: $vgpr36
	s_and_saveexec_b64 s[28:29], vcc
	s_xor_b64 s[34:35], exec, s[28:29]
	s_cbranch_execz .LBB4_7259
; %bb.7250:                             ;   in Loop: Header=BB4_6216 Depth=3
	v_mov_b32_e32 v36, 0
	v_cmp_ne_u32_e32 vcc, 0, v12
	s_and_saveexec_b64 s[36:37], vcc
	s_cbranch_execz .LBB4_7258
; %bb.7251:                             ;   in Loop: Header=BB4_6216 Depth=3
	v_bfe_u32 v36, v12, 23, 8
	v_and_b32_e32 v2, 0x7fffff, v12
	v_cmp_gt_u32_e64 s[28:29], s71, v36
	v_sub_u32_e32 v12, 0x79, v36
	v_cmp_eq_u32_e32 vcc, 0, v36
	v_cndmask_b32_e64 v12, 0, v12, s[28:29]
	v_mov_b32_e32 v22, 0x78
	v_cndmask_b32_e32 v49, v12, v22, vcc
	v_or_b32_e32 v13, 0x800000, v2
	v_add_u32_e32 v12, 20, v49
	v_cndmask_b32_e32 v2, v13, v2, vcc
	v_lshlrev_b64 v[12:13], v12, -1
	v_add_u32_e32 v22, 19, v49
	v_lshlrev_b64 v[52:53], v22, 1
	v_bfi_b32 v13, v13, 0, 0
	v_bfi_b32 v12, v12, 0, v2
	v_cmp_eq_u64_e64 s[28:29], v[12:13], v[52:53]
	v_lshrrev_b64 v[12:13], v49, v[2:3]
	v_mov_b32_e32 v60, v13
	v_mov_b32_e32 v59, v12
	s_and_saveexec_b64 s[38:39], s[28:29]
; %bb.7252:                             ;   in Loop: Header=BB4_6216 Depth=3
	v_bfe_u32 v2, v12, 20, 1
	v_add_co_u32_e64 v2, s[28:29], v12, v2
	v_add_co_u32_e64 v59, s[28:29], -1, v2
; %bb.7253:                             ;   in Loop: Header=BB4_6216 Depth=3
	s_or_b64 exec, exec, s[38:39]
	v_add_u32_e32 v2, 0xffffff81, v36
	v_mov_b32_e32 v13, 0xffffff82
	v_cndmask_b32_e32 v2, v2, v13, vcc
	v_lshrrev_b32_e32 v13, 23, v12
	v_add3_u32 v52, v49, v2, v13
	v_add_u32_e32 v49, 6, v52
	v_and_b32_e32 v2, 0xfffff, v59
	v_add_u32_e32 v2, v2, v12
	v_cmp_ne_u32_e32 vcc, 0, v49
                                        ; implicit-def: $vgpr12_vgpr13
                                        ; implicit-def: $vgpr36
	s_and_saveexec_b64 s[28:29], vcc
	s_xor_b64 s[28:29], exec, s[28:29]
; %bb.7254:                             ;   in Loop: Header=BB4_6216 Depth=3
	v_cmp_lt_u64_e32 vcc, s[74:75], v[2:3]
	v_add_u32_e32 v12, 7, v52
	v_cndmask_b32_e32 v36, v49, v12, vcc
	v_cndmask_b32_e64 v12, 0, 1, vcc
	v_lshrrev_b64 v[12:13], v12, v[2:3]
; %bb.7255:                             ;   in Loop: Header=BB4_6216 Depth=3
	s_andn2_saveexec_b64 s[28:29], s[28:29]
; %bb.7256:                             ;   in Loop: Header=BB4_6216 Depth=3
	v_mov_b32_e32 v13, v3
	v_mov_b32_e32 v12, v2
	v_bfe_u32 v36, v2, 23, 1
; %bb.7257:                             ;   in Loop: Header=BB4_6216 Depth=3
	s_or_b64 exec, exec, s[28:29]
	v_lshrrev_b64 v[12:13], 20, v[12:13]
	v_cmp_gt_i32_e32 vcc, 16, v36
	v_cndmask_b32_e32 v13, 0, v13, vcc
	v_cndmask_b32_e32 v12, 7, v12, vcc
	v_min_i32_e32 v2, 15, v36
	v_cmp_eq_u64_e64 s[28:29], 0, v[12:13]
	v_lshlrev_b32_e32 v2, 3, v2
	v_cmp_eq_u32_e32 vcc, 0, v36
	v_and_b32_e32 v2, 0xf8, v2
	v_and_or_b32 v2, v12, 7, v2
	s_and_b64 s[28:29], vcc, s[28:29]
	v_cndmask_b32_e64 v2, v2, 0, s[28:29]
	v_or_b32_e32 v36, v2, v37
.LBB4_7258:                             ;   in Loop: Header=BB4_6216 Depth=3
	s_or_b64 exec, exec, s[36:37]
                                        ; implicit-def: $vgpr37
.LBB4_7259:                             ;   in Loop: Header=BB4_6216 Depth=3
	s_andn2_saveexec_b64 s[28:29], s[34:35]
; %bb.7260:                             ;   in Loop: Header=BB4_6216 Depth=3
	v_or_b32_e32 v36, 0x7e, v37
; %bb.7261:                             ;   in Loop: Header=BB4_6216 Depth=3
	s_or_b64 exec, exec, s[28:29]
                                        ; implicit-def: $vgpr12
.LBB4_7262:                             ;   in Loop: Header=BB4_6216 Depth=3
	s_andn2_saveexec_b64 s[28:29], s[30:31]
; %bb.7263:                             ;   in Loop: Header=BB4_6216 Depth=3
	v_or_b32_sdwa v36, v12, s68 dst_sel:DWORD dst_unused:UNUSED_PAD src0_sel:BYTE_3 src1_sel:DWORD
; %bb.7264:                             ;   in Loop: Header=BB4_6216 Depth=3
	s_or_b64 exec, exec, s[28:29]
	v_lshlrev_b32_e32 v2, 24, v48
	v_lshlrev_b32_e32 v12, 16, v41
	v_lshl_or_b32 v37, v21, 8, v34
	v_or3_b32 v2, v12, v2, v37
	v_cmp_ne_u32_e32 vcc, 0, v34
	v_mov_b32_e32 v13, 0
	v_mov_b32_e32 v12, 0
	s_and_saveexec_b64 s[28:29], vcc
	s_cbranch_execz .LBB4_7270
; %bb.7265:                             ;   in Loop: Header=BB4_6216 Depth=3
	v_cmp_ne_u32_e32 vcc, s70, v34
	v_bfrev_b32_e32 v12, 1
	s_and_saveexec_b64 s[30:31], vcc
	s_cbranch_execz .LBB4_7269
; %bb.7266:                             ;   in Loop: Header=BB4_6216 Depth=3
	v_and_b32_e32 v21, 0x7f, v34
	v_cmp_ne_u32_e32 vcc, s68, v21
	v_mov_b32_e32 v12, 0x7f800001
	s_and_saveexec_b64 s[34:35], vcc
	s_cbranch_execz .LBB4_7268
; %bb.7267:                             ;   in Loop: Header=BB4_6216 Depth=3
	v_and_b32_e32 v12, 7, v34
	v_ffbh_u32_e32 v12, v12
	v_min_u32_e32 v12, 32, v12
	v_lshrrev_b32_e32 v22, 3, v21
	v_cmp_gt_u32_e32 vcc, 8, v21
	v_subrev_u32_e32 v21, 28, v12
	v_cndmask_b32_e32 v21, 0, v21, vcc
	v_lshlrev_b64 v[48:49], v21, v[2:3]
	v_sub_u32_e32 v12, 29, v12
	v_cndmask_b32_e32 v12, v22, v12, vcc
	v_lshlrev_b32_e32 v21, 20, v48
	v_lshlrev_b32_e32 v22, 24, v2
	v_and_b32_e32 v21, 0x700000, v21
	v_and_b32_e32 v22, 0x80000000, v22
	v_lshl_add_u32 v12, v12, 23, v5
	v_or3_b32 v12, v22, v12, v21
.LBB4_7268:                             ;   in Loop: Header=BB4_6216 Depth=3
	s_or_b64 exec, exec, s[34:35]
.LBB4_7269:                             ;   in Loop: Header=BB4_6216 Depth=3
	s_or_b64 exec, exec, s[30:31]
.LBB4_7270:                             ;   in Loop: Header=BB4_6216 Depth=3
	s_or_b64 exec, exec, s[28:29]
	v_cmp_ne_u16_sdwa vcc, v15, v3 src0_sel:BYTE_0 src1_sel:DWORD
	s_and_saveexec_b64 s[28:29], vcc
	s_cbranch_execz .LBB4_7276
; %bb.7271:                             ;   in Loop: Header=BB4_6216 Depth=3
	v_cmp_ne_u16_sdwa vcc, v15, s70 src0_sel:BYTE_0 src1_sel:DWORD
	v_bfrev_b32_e32 v13, 1
	s_and_saveexec_b64 s[30:31], vcc
	s_cbranch_execz .LBB4_7275
; %bb.7272:                             ;   in Loop: Header=BB4_6216 Depth=3
	v_and_b32_e32 v21, 0x7f, v15
	v_cmp_ne_u32_e32 vcc, s68, v21
	v_mov_b32_e32 v13, 0x7f800001
	s_and_saveexec_b64 s[34:35], vcc
	s_cbranch_execz .LBB4_7274
; %bb.7273:                             ;   in Loop: Header=BB4_6216 Depth=3
	v_and_b32_e32 v13, 7, v15
	v_ffbh_u32_e32 v13, v13
	v_min_u32_e32 v13, 32, v13
	v_lshrrev_b32_e32 v22, 3, v21
	v_cmp_gt_u32_e32 vcc, 8, v21
	v_subrev_u32_e32 v21, 28, v13
	v_mov_b32_e32 v48, v15
	v_mov_b32_e32 v49, v3
	v_cndmask_b32_e32 v21, 0, v21, vcc
	v_lshlrev_b64 v[52:53], v21, v[48:49]
	v_sub_u32_e32 v13, 29, v13
	v_cndmask_b32_e32 v13, v22, v13, vcc
	v_lshlrev_b32_e32 v21, 20, v52
	v_lshlrev_b32_e32 v22, 24, v48
	v_and_b32_e32 v21, 0x700000, v21
	v_and_b32_e32 v22, 0x80000000, v22
	v_lshl_add_u32 v13, v13, 23, v5
	v_or3_b32 v13, v22, v13, v21
.LBB4_7274:                             ;   in Loop: Header=BB4_6216 Depth=3
	s_or_b64 exec, exec, s[34:35]
.LBB4_7275:                             ;   in Loop: Header=BB4_6216 Depth=3
	s_or_b64 exec, exec, s[30:31]
.LBB4_7276:                             ;   in Loop: Header=BB4_6216 Depth=3
	s_or_b64 exec, exec, s[28:29]
	v_add_f32_e32 v12, v12, v13
	v_and_b32_e32 v48, 0x7f800000, v12
	v_mov_b32_e32 v49, v3
	v_cmp_ne_u64_e32 vcc, s[62:63], v[48:49]
                                        ; implicit-def: $vgpr21
	s_and_saveexec_b64 s[28:29], vcc
	s_xor_b64 s[30:31], exec, s[28:29]
	s_cbranch_execz .LBB4_7290
; %bb.7277:                             ;   in Loop: Header=BB4_6216 Depth=3
	v_and_b32_e32 v48, 0x7fffffff, v12
	v_mov_b32_e32 v49, v3
	v_cmp_gt_u64_e32 vcc, s[72:73], v[48:49]
	v_and_b32_sdwa v34, v12, s70 dst_sel:DWORD dst_unused:UNUSED_PAD src0_sel:BYTE_3 src1_sel:DWORD
                                        ; implicit-def: $vgpr21
	s_and_saveexec_b64 s[28:29], vcc
	s_xor_b64 s[34:35], exec, s[28:29]
	s_cbranch_execz .LBB4_7287
; %bb.7278:                             ;   in Loop: Header=BB4_6216 Depth=3
	v_mov_b32_e32 v21, 0
	v_cmp_ne_u32_e32 vcc, 0, v12
	s_and_saveexec_b64 s[36:37], vcc
	s_cbranch_execz .LBB4_7286
; %bb.7279:                             ;   in Loop: Header=BB4_6216 Depth=3
	v_bfe_u32 v21, v12, 23, 8
	v_and_b32_e32 v13, 0x7fffff, v12
	v_cmp_gt_u32_e64 s[28:29], s71, v21
	v_sub_u32_e32 v12, 0x79, v21
	v_cmp_eq_u32_e32 vcc, 0, v21
	v_cndmask_b32_e64 v12, 0, v12, s[28:29]
	v_mov_b32_e32 v23, 0x78
	v_or_b32_e32 v22, 0x800000, v13
	v_cndmask_b32_e32 v48, v12, v23, vcc
	v_cndmask_b32_e32 v12, v22, v13, vcc
	v_add_u32_e32 v22, 20, v48
	v_lshlrev_b64 v[52:53], v22, -1
	v_mov_b32_e32 v13, v3
	v_add_u32_e32 v22, 19, v48
	v_bfi_b32 v52, v52, 0, v12
	v_lshlrev_b64 v[41:42], v22, 1
	v_lshrrev_b64 v[12:13], v48, v[12:13]
	v_bfi_b32 v53, v53, 0, 0
	v_cmp_eq_u64_e64 s[28:29], v[52:53], v[41:42]
	v_mov_b32_e32 v60, v13
	v_mov_b32_e32 v59, v12
	s_and_saveexec_b64 s[38:39], s[28:29]
; %bb.7280:                             ;   in Loop: Header=BB4_6216 Depth=3
	v_bfe_u32 v13, v12, 20, 1
	v_add_co_u32_e64 v13, s[28:29], v12, v13
	v_add_co_u32_e64 v59, s[28:29], -1, v13
; %bb.7281:                             ;   in Loop: Header=BB4_6216 Depth=3
	s_or_b64 exec, exec, s[38:39]
	v_add_u32_e32 v13, 0xffffff81, v21
	v_mov_b32_e32 v21, 0xffffff82
	v_cndmask_b32_e32 v13, v13, v21, vcc
	v_lshrrev_b32_e32 v21, 23, v12
	v_add3_u32 v49, v48, v13, v21
	v_add_u32_e32 v48, 6, v49
	v_and_b32_e32 v13, 0xfffff, v59
	v_add_u32_e32 v12, v13, v12
	v_mov_b32_e32 v13, v3
	v_cmp_ne_u32_e32 vcc, 0, v48
                                        ; implicit-def: $vgpr21
	s_and_saveexec_b64 s[28:29], vcc
	s_xor_b64 s[28:29], exec, s[28:29]
; %bb.7282:                             ;   in Loop: Header=BB4_6216 Depth=3
	v_cmp_lt_u64_e32 vcc, s[74:75], v[12:13]
	v_add_u32_e32 v21, 7, v49
	v_cndmask_b32_e64 v22, 0, 1, vcc
	v_cndmask_b32_e32 v21, v48, v21, vcc
	v_lshrrev_b64 v[12:13], v22, v[12:13]
; %bb.7283:                             ;   in Loop: Header=BB4_6216 Depth=3
	s_andn2_saveexec_b64 s[28:29], s[28:29]
; %bb.7284:                             ;   in Loop: Header=BB4_6216 Depth=3
	v_bfe_u32 v21, v12, 23, 1
; %bb.7285:                             ;   in Loop: Header=BB4_6216 Depth=3
	s_or_b64 exec, exec, s[28:29]
	v_lshrrev_b64 v[12:13], 20, v[12:13]
	v_cmp_gt_i32_e32 vcc, 16, v21
	v_cndmask_b32_e32 v13, 0, v13, vcc
	v_cndmask_b32_e32 v12, 7, v12, vcc
	v_cmp_eq_u64_e64 s[28:29], 0, v[12:13]
	v_min_i32_e32 v13, 15, v21
	v_lshlrev_b32_e32 v13, 3, v13
	v_cmp_eq_u32_e32 vcc, 0, v21
	v_and_b32_e32 v13, 0xf8, v13
	v_and_or_b32 v12, v12, 7, v13
	s_and_b64 s[28:29], vcc, s[28:29]
	v_cndmask_b32_e64 v12, v12, 0, s[28:29]
	v_or_b32_e32 v21, v12, v34
.LBB4_7286:                             ;   in Loop: Header=BB4_6216 Depth=3
	s_or_b64 exec, exec, s[36:37]
                                        ; implicit-def: $vgpr34
.LBB4_7287:                             ;   in Loop: Header=BB4_6216 Depth=3
	s_andn2_saveexec_b64 s[28:29], s[34:35]
; %bb.7288:                             ;   in Loop: Header=BB4_6216 Depth=3
	v_or_b32_e32 v21, 0x7e, v34
; %bb.7289:                             ;   in Loop: Header=BB4_6216 Depth=3
	s_or_b64 exec, exec, s[28:29]
                                        ; implicit-def: $vgpr12
.LBB4_7290:                             ;   in Loop: Header=BB4_6216 Depth=3
	s_andn2_saveexec_b64 s[28:29], s[30:31]
; %bb.7291:                             ;   in Loop: Header=BB4_6216 Depth=3
	v_or_b32_sdwa v21, v12, s68 dst_sel:DWORD dst_unused:UNUSED_PAD src0_sel:BYTE_3 src1_sel:DWORD
; %bb.7292:                             ;   in Loop: Header=BB4_6216 Depth=3
	s_or_b64 exec, exec, s[28:29]
	v_lshrrev_b16_e32 v12, 8, v37
	v_cmp_ne_u16_e32 vcc, 0, v12
	v_mov_b32_e32 v13, 0
	v_mov_b32_e32 v34, 0
	s_and_saveexec_b64 s[28:29], vcc
	s_cbranch_execz .LBB4_7298
; %bb.7293:                             ;   in Loop: Header=BB4_6216 Depth=3
	v_cmp_ne_u16_e32 vcc, s70, v12
	v_bfrev_b32_e32 v34, 1
	s_and_saveexec_b64 s[30:31], vcc
	s_cbranch_execz .LBB4_7297
; %bb.7294:                             ;   in Loop: Header=BB4_6216 Depth=3
	v_and_b32_e32 v48, 0x7f, v12
	v_cmp_ne_u32_e32 vcc, s68, v48
	v_mov_b32_e32 v34, 0x7f800001
	s_and_saveexec_b64 s[34:35], vcc
	s_cbranch_execz .LBB4_7296
; %bb.7295:                             ;   in Loop: Header=BB4_6216 Depth=3
	v_and_b32_e32 v22, 7, v12
	v_ffbh_u32_e32 v32, v22
	v_min_u32_e32 v32, 32, v32
	v_mov_b32_e32 v34, v33
	v_subrev_u32_e32 v33, 28, v32
	v_lshrrev_b32_e32 v23, 3, v48
	v_cmp_gt_u32_e32 vcc, 8, v48
	v_lshlrev_b64 v[48:49], v33, v[12:13]
	v_sub_u32_e32 v12, 29, v32
	v_and_b32_e32 v32, 7, v48
	v_cndmask_b32_e32 v12, v23, v12, vcc
	v_cndmask_b32_e32 v22, v22, v32, vcc
	v_lshlrev_b32_e32 v23, 16, v37
	v_lshlrev_b32_e32 v22, 20, v22
	v_and_b32_e32 v23, 0x80000000, v23
	v_lshl_add_u32 v12, v12, 23, v5
	v_mov_b32_e32 v33, v34
	v_or3_b32 v34, v23, v12, v22
.LBB4_7296:                             ;   in Loop: Header=BB4_6216 Depth=3
	s_or_b64 exec, exec, s[34:35]
.LBB4_7297:                             ;   in Loop: Header=BB4_6216 Depth=3
	s_or_b64 exec, exec, s[30:31]
.LBB4_7298:                             ;   in Loop: Header=BB4_6216 Depth=3
	s_or_b64 exec, exec, s[28:29]
	v_lshrrev_b16_e32 v12, 8, v15
	v_cmp_ne_u16_e32 vcc, 0, v12
	s_and_saveexec_b64 s[28:29], vcc
	s_cbranch_execz .LBB4_7304
; %bb.7299:                             ;   in Loop: Header=BB4_6216 Depth=3
	v_cmp_ne_u16_e32 vcc, s70, v12
	v_bfrev_b32_e32 v13, 1
	s_and_saveexec_b64 s[30:31], vcc
	s_cbranch_execz .LBB4_7303
; %bb.7300:                             ;   in Loop: Header=BB4_6216 Depth=3
	v_and_b32_e32 v37, 0x7f, v12
	v_cmp_ne_u32_e32 vcc, s68, v37
	v_mov_b32_e32 v13, 0x7f800001
	s_and_saveexec_b64 s[34:35], vcc
	s_cbranch_execz .LBB4_7302
; %bb.7301:                             ;   in Loop: Header=BB4_6216 Depth=3
	v_and_b32_e32 v22, 7, v12
	v_ffbh_u32_e32 v13, v22
	v_min_u32_e32 v32, 32, v13
	v_subrev_u32_e32 v13, 28, v32
	v_lshlrev_b64 v[12:13], v13, v[12:13]
	v_lshrrev_b32_e32 v23, 3, v37
	v_cmp_gt_u32_e32 vcc, 8, v37
	v_sub_u32_e32 v13, 29, v32
	v_and_b32_e32 v12, 7, v12
	v_cndmask_b32_e32 v13, v23, v13, vcc
	v_cndmask_b32_e32 v12, v22, v12, vcc
	v_lshlrev_b32_e32 v22, 16, v15
	v_lshlrev_b32_e32 v12, 20, v12
	v_and_b32_e32 v22, 0x80000000, v22
	v_lshl_add_u32 v13, v13, 23, v5
	v_or3_b32 v13, v22, v13, v12
.LBB4_7302:                             ;   in Loop: Header=BB4_6216 Depth=3
	s_or_b64 exec, exec, s[34:35]
.LBB4_7303:                             ;   in Loop: Header=BB4_6216 Depth=3
	s_or_b64 exec, exec, s[30:31]
.LBB4_7304:                             ;   in Loop: Header=BB4_6216 Depth=3
	s_or_b64 exec, exec, s[28:29]
	v_add_f32_e32 v12, v34, v13
	v_and_b32_e32 v37, 0x7f800000, v12
	v_mov_b32_e32 v38, v3
	v_cmp_ne_u64_e32 vcc, s[62:63], v[37:38]
                                        ; implicit-def: $vgpr34
	s_and_saveexec_b64 s[28:29], vcc
	s_xor_b64 s[30:31], exec, s[28:29]
	s_cbranch_execz .LBB4_7318
; %bb.7305:                             ;   in Loop: Header=BB4_6216 Depth=3
	v_and_b32_e32 v37, 0x7fffffff, v12
	v_mov_b32_e32 v38, v3
	v_cmp_gt_u64_e32 vcc, s[72:73], v[37:38]
	v_and_b32_sdwa v37, v12, s70 dst_sel:DWORD dst_unused:UNUSED_PAD src0_sel:BYTE_3 src1_sel:DWORD
                                        ; implicit-def: $vgpr34
	s_and_saveexec_b64 s[28:29], vcc
	s_xor_b64 s[34:35], exec, s[28:29]
	s_cbranch_execz .LBB4_7315
; %bb.7306:                             ;   in Loop: Header=BB4_6216 Depth=3
	v_mov_b32_e32 v34, 0
	v_cmp_ne_u32_e32 vcc, 0, v12
	s_and_saveexec_b64 s[36:37], vcc
	s_cbranch_execz .LBB4_7314
; %bb.7307:                             ;   in Loop: Header=BB4_6216 Depth=3
	v_bfe_u32 v34, v12, 23, 8
	v_and_b32_e32 v13, 0x7fffff, v12
	v_cmp_gt_u32_e64 s[28:29], s71, v34
	v_sub_u32_e32 v12, 0x79, v34
	v_cmp_eq_u32_e32 vcc, 0, v34
	v_cndmask_b32_e64 v12, 0, v12, s[28:29]
	v_mov_b32_e32 v23, 0x78
	v_or_b32_e32 v22, 0x800000, v13
	v_cndmask_b32_e32 v48, v12, v23, vcc
	v_cndmask_b32_e32 v12, v22, v13, vcc
	v_add_u32_e32 v22, 20, v48
	v_lshlrev_b64 v[52:53], v22, -1
	v_mov_b32_e32 v13, v3
	v_add_u32_e32 v22, 19, v48
	v_bfi_b32 v52, v52, 0, v12
	v_lshlrev_b64 v[41:42], v22, 1
	v_lshrrev_b64 v[12:13], v48, v[12:13]
	v_bfi_b32 v53, v53, 0, 0
	v_cmp_eq_u64_e64 s[28:29], v[52:53], v[41:42]
	v_mov_b32_e32 v60, v13
	v_mov_b32_e32 v59, v12
	s_and_saveexec_b64 s[38:39], s[28:29]
; %bb.7308:                             ;   in Loop: Header=BB4_6216 Depth=3
	v_bfe_u32 v13, v12, 20, 1
	v_add_co_u32_e64 v13, s[28:29], v12, v13
	v_add_co_u32_e64 v59, s[28:29], -1, v13
; %bb.7309:                             ;   in Loop: Header=BB4_6216 Depth=3
	s_or_b64 exec, exec, s[38:39]
	v_add_u32_e32 v13, 0xffffff81, v34
	v_mov_b32_e32 v22, 0xffffff82
	v_cndmask_b32_e32 v13, v13, v22, vcc
	v_lshrrev_b32_e32 v22, 23, v12
	v_add3_u32 v49, v48, v13, v22
	v_add_u32_e32 v48, 6, v49
	v_and_b32_e32 v13, 0xfffff, v59
	v_add_u32_e32 v12, v13, v12
	v_mov_b32_e32 v13, v3
	v_cmp_ne_u32_e32 vcc, 0, v48
                                        ; implicit-def: $vgpr34
	s_and_saveexec_b64 s[28:29], vcc
	s_xor_b64 s[28:29], exec, s[28:29]
; %bb.7310:                             ;   in Loop: Header=BB4_6216 Depth=3
	v_cmp_lt_u64_e32 vcc, s[74:75], v[12:13]
	v_add_u32_e32 v22, 7, v49
	v_cndmask_b32_e32 v34, v48, v22, vcc
	v_cndmask_b32_e64 v22, 0, 1, vcc
	v_lshrrev_b64 v[12:13], v22, v[12:13]
; %bb.7311:                             ;   in Loop: Header=BB4_6216 Depth=3
	s_andn2_saveexec_b64 s[28:29], s[28:29]
; %bb.7312:                             ;   in Loop: Header=BB4_6216 Depth=3
	v_bfe_u32 v34, v12, 23, 1
; %bb.7313:                             ;   in Loop: Header=BB4_6216 Depth=3
	s_or_b64 exec, exec, s[28:29]
	v_lshrrev_b64 v[12:13], 20, v[12:13]
	v_cmp_gt_i32_e32 vcc, 16, v34
	v_cndmask_b32_e32 v13, 0, v13, vcc
	v_cndmask_b32_e32 v12, 7, v12, vcc
	v_cmp_eq_u64_e64 s[28:29], 0, v[12:13]
	v_min_i32_e32 v13, 15, v34
	v_lshlrev_b32_e32 v13, 3, v13
	v_cmp_eq_u32_e32 vcc, 0, v34
	v_and_b32_e32 v13, 0xf8, v13
	v_and_or_b32 v12, v12, 7, v13
	s_and_b64 s[28:29], vcc, s[28:29]
	v_cndmask_b32_e64 v12, v12, 0, s[28:29]
	v_or_b32_e32 v34, v12, v37
.LBB4_7314:                             ;   in Loop: Header=BB4_6216 Depth=3
	s_or_b64 exec, exec, s[36:37]
                                        ; implicit-def: $vgpr37
.LBB4_7315:                             ;   in Loop: Header=BB4_6216 Depth=3
	s_andn2_saveexec_b64 s[28:29], s[34:35]
; %bb.7316:                             ;   in Loop: Header=BB4_6216 Depth=3
	v_or_b32_e32 v34, 0x7e, v37
; %bb.7317:                             ;   in Loop: Header=BB4_6216 Depth=3
	s_or_b64 exec, exec, s[28:29]
                                        ; implicit-def: $vgpr12
.LBB4_7318:                             ;   in Loop: Header=BB4_6216 Depth=3
	s_andn2_saveexec_b64 s[28:29], s[30:31]
; %bb.7319:                             ;   in Loop: Header=BB4_6216 Depth=3
	v_or_b32_sdwa v34, v12, s68 dst_sel:DWORD dst_unused:UNUSED_PAD src0_sel:BYTE_3 src1_sel:DWORD
; %bb.7320:                             ;   in Loop: Header=BB4_6216 Depth=3
	s_or_b64 exec, exec, s[28:29]
	v_lshrrev_b32_e32 v12, 16, v2
	v_cmp_ne_u16_sdwa vcc, v12, v3 src0_sel:BYTE_0 src1_sel:DWORD
	v_mov_b32_e32 v13, 0
	v_mov_b32_e32 v37, 0
	s_and_saveexec_b64 s[28:29], vcc
	s_cbranch_execz .LBB4_7326
; %bb.7321:                             ;   in Loop: Header=BB4_6216 Depth=3
	v_cmp_ne_u16_sdwa vcc, v12, s70 src0_sel:BYTE_0 src1_sel:DWORD
	v_bfrev_b32_e32 v37, 1
	s_and_saveexec_b64 s[30:31], vcc
	s_cbranch_execz .LBB4_7325
; %bb.7322:                             ;   in Loop: Header=BB4_6216 Depth=3
	v_bfe_u32 v48, v2, 16, 7
	v_cmp_ne_u32_e32 vcc, s68, v48
	v_mov_b32_e32 v37, 0x7f800001
	s_and_saveexec_b64 s[34:35], vcc
	s_cbranch_execz .LBB4_7324
; %bb.7323:                             ;   in Loop: Header=BB4_6216 Depth=3
	v_and_b32_e32 v22, 7, v12
	v_ffbh_u32_e32 v32, v22
	v_min_u32_e32 v32, 32, v32
	v_lshrrev_b32_e32 v23, 3, v48
	v_cmp_gt_u32_e32 vcc, 8, v48
	v_mov_b32_e32 v48, v33
	v_subrev_u32_e32 v33, 28, v32
	v_lshlrev_b64 v[37:38], v33, v[12:13]
	v_sub_u32_e32 v32, 29, v32
	v_and_b32_e32 v33, 7, v37
	v_cndmask_b32_e32 v23, v23, v32, vcc
	v_cndmask_b32_e32 v22, v22, v33, vcc
	v_lshlrev_b32_e32 v12, 24, v12
	v_lshlrev_b32_e32 v22, 20, v22
	v_and_b32_e32 v12, 0x80000000, v12
	v_lshl_add_u32 v23, v23, 23, v5
	v_mov_b32_e32 v33, v48
	v_or3_b32 v37, v12, v23, v22
.LBB4_7324:                             ;   in Loop: Header=BB4_6216 Depth=3
	s_or_b64 exec, exec, s[34:35]
.LBB4_7325:                             ;   in Loop: Header=BB4_6216 Depth=3
	s_or_b64 exec, exec, s[30:31]
.LBB4_7326:                             ;   in Loop: Header=BB4_6216 Depth=3
	s_or_b64 exec, exec, s[28:29]
	v_lshrrev_b32_e32 v12, 16, v15
	v_cmp_ne_u16_sdwa vcc, v12, v3 src0_sel:BYTE_0 src1_sel:DWORD
	s_and_saveexec_b64 s[28:29], vcc
	s_cbranch_execz .LBB4_7332
; %bb.7327:                             ;   in Loop: Header=BB4_6216 Depth=3
	v_cmp_ne_u16_sdwa vcc, v12, s70 src0_sel:BYTE_0 src1_sel:DWORD
	v_bfrev_b32_e32 v13, 1
	s_and_saveexec_b64 s[30:31], vcc
	s_cbranch_execz .LBB4_7331
; %bb.7328:                             ;   in Loop: Header=BB4_6216 Depth=3
	v_bfe_u32 v48, v15, 16, 7
	v_cmp_ne_u32_e32 vcc, s68, v48
	v_mov_b32_e32 v13, 0x7f800001
	s_and_saveexec_b64 s[34:35], vcc
	s_cbranch_execz .LBB4_7330
; %bb.7329:                             ;   in Loop: Header=BB4_6216 Depth=3
	v_and_b32_e32 v22, 7, v12
	v_ffbh_u32_e32 v13, v22
	v_min_u32_e32 v32, 32, v13
	v_subrev_u32_e32 v13, 28, v32
	v_lshlrev_b64 v[12:13], v13, v[12:13]
	v_lshrrev_b32_e32 v23, 3, v48
	v_cmp_gt_u32_e32 vcc, 8, v48
	v_sub_u32_e32 v13, 29, v32
	v_and_b32_e32 v12, 7, v12
	v_cndmask_b32_e32 v13, v23, v13, vcc
	v_cndmask_b32_e32 v12, v22, v12, vcc
	v_lshlrev_b32_e32 v22, 8, v15
	v_lshlrev_b32_e32 v12, 20, v12
	v_and_b32_e32 v22, 0x80000000, v22
	v_lshl_add_u32 v13, v13, 23, v5
	v_or3_b32 v13, v22, v13, v12
.LBB4_7330:                             ;   in Loop: Header=BB4_6216 Depth=3
	s_or_b64 exec, exec, s[34:35]
.LBB4_7331:                             ;   in Loop: Header=BB4_6216 Depth=3
	s_or_b64 exec, exec, s[30:31]
.LBB4_7332:                             ;   in Loop: Header=BB4_6216 Depth=3
	s_or_b64 exec, exec, s[28:29]
	v_add_f32_e32 v12, v37, v13
	v_and_b32_e32 v37, 0x7f800000, v12
	v_mov_b32_e32 v38, v3
	v_cmp_ne_u64_e32 vcc, s[62:63], v[37:38]
                                        ; implicit-def: $vgpr37
	s_and_saveexec_b64 s[28:29], vcc
	s_xor_b64 s[30:31], exec, s[28:29]
	s_cbranch_execz .LBB4_7346
; %bb.7333:                             ;   in Loop: Header=BB4_6216 Depth=3
	v_and_b32_e32 v37, 0x7fffffff, v12
	v_mov_b32_e32 v38, v3
	v_cmp_gt_u64_e32 vcc, s[72:73], v[37:38]
	v_and_b32_sdwa v48, v12, s70 dst_sel:DWORD dst_unused:UNUSED_PAD src0_sel:BYTE_3 src1_sel:DWORD
                                        ; implicit-def: $vgpr37
	s_and_saveexec_b64 s[28:29], vcc
	s_xor_b64 s[34:35], exec, s[28:29]
	s_cbranch_execz .LBB4_7343
; %bb.7334:                             ;   in Loop: Header=BB4_6216 Depth=3
	v_mov_b32_e32 v37, 0
	v_cmp_ne_u32_e32 vcc, 0, v12
	s_and_saveexec_b64 s[36:37], vcc
	s_cbranch_execz .LBB4_7342
; %bb.7335:                             ;   in Loop: Header=BB4_6216 Depth=3
	v_bfe_u32 v37, v12, 23, 8
	v_and_b32_e32 v13, 0x7fffff, v12
	v_cmp_gt_u32_e64 s[28:29], s71, v37
	v_sub_u32_e32 v12, 0x79, v37
	v_cmp_eq_u32_e32 vcc, 0, v37
	v_cndmask_b32_e64 v12, 0, v12, s[28:29]
	v_mov_b32_e32 v23, 0x78
	v_or_b32_e32 v22, 0x800000, v13
	v_cndmask_b32_e32 v49, v12, v23, vcc
	v_cndmask_b32_e32 v12, v22, v13, vcc
	v_add_u32_e32 v22, 20, v49
	v_lshlrev_b64 v[52:53], v22, -1
	v_mov_b32_e32 v13, v3
	v_add_u32_e32 v22, 19, v49
	v_bfi_b32 v52, v52, 0, v12
	v_lshlrev_b64 v[41:42], v22, 1
	v_lshrrev_b64 v[12:13], v49, v[12:13]
	v_bfi_b32 v53, v53, 0, 0
	v_cmp_eq_u64_e64 s[28:29], v[52:53], v[41:42]
	v_mov_b32_e32 v60, v13
	v_mov_b32_e32 v59, v12
	s_and_saveexec_b64 s[38:39], s[28:29]
; %bb.7336:                             ;   in Loop: Header=BB4_6216 Depth=3
	v_bfe_u32 v13, v12, 20, 1
	v_add_co_u32_e64 v13, s[28:29], v12, v13
	v_add_co_u32_e64 v59, s[28:29], -1, v13
; %bb.7337:                             ;   in Loop: Header=BB4_6216 Depth=3
	s_or_b64 exec, exec, s[38:39]
	v_add_u32_e32 v13, 0xffffff81, v37
	v_mov_b32_e32 v22, 0xffffff82
	v_cndmask_b32_e32 v13, v13, v22, vcc
	v_lshrrev_b32_e32 v22, 23, v12
	v_add3_u32 v52, v49, v13, v22
	v_add_u32_e32 v49, 6, v52
	v_and_b32_e32 v13, 0xfffff, v59
	v_add_u32_e32 v12, v13, v12
	v_mov_b32_e32 v13, v3
	v_cmp_ne_u32_e32 vcc, 0, v49
                                        ; implicit-def: $vgpr37
	s_and_saveexec_b64 s[28:29], vcc
	s_xor_b64 s[28:29], exec, s[28:29]
; %bb.7338:                             ;   in Loop: Header=BB4_6216 Depth=3
	v_cmp_lt_u64_e32 vcc, s[74:75], v[12:13]
	v_add_u32_e32 v22, 7, v52
	v_cndmask_b32_e32 v37, v49, v22, vcc
	v_cndmask_b32_e64 v22, 0, 1, vcc
	v_lshrrev_b64 v[12:13], v22, v[12:13]
; %bb.7339:                             ;   in Loop: Header=BB4_6216 Depth=3
	s_andn2_saveexec_b64 s[28:29], s[28:29]
; %bb.7340:                             ;   in Loop: Header=BB4_6216 Depth=3
	v_bfe_u32 v37, v12, 23, 1
; %bb.7341:                             ;   in Loop: Header=BB4_6216 Depth=3
	s_or_b64 exec, exec, s[28:29]
	v_lshrrev_b64 v[12:13], 20, v[12:13]
	v_cmp_gt_i32_e32 vcc, 16, v37
	v_cndmask_b32_e32 v13, 0, v13, vcc
	v_cndmask_b32_e32 v12, 7, v12, vcc
	v_cmp_eq_u64_e64 s[28:29], 0, v[12:13]
	v_min_i32_e32 v13, 15, v37
	v_lshlrev_b32_e32 v13, 3, v13
	v_cmp_eq_u32_e32 vcc, 0, v37
	v_and_b32_e32 v13, 0xf8, v13
	v_and_or_b32 v12, v12, 7, v13
	s_and_b64 s[28:29], vcc, s[28:29]
	v_cndmask_b32_e64 v12, v12, 0, s[28:29]
	v_or_b32_e32 v37, v12, v48
.LBB4_7342:                             ;   in Loop: Header=BB4_6216 Depth=3
	s_or_b64 exec, exec, s[36:37]
                                        ; implicit-def: $vgpr48
.LBB4_7343:                             ;   in Loop: Header=BB4_6216 Depth=3
	s_andn2_saveexec_b64 s[28:29], s[34:35]
; %bb.7344:                             ;   in Loop: Header=BB4_6216 Depth=3
	v_or_b32_e32 v37, 0x7e, v48
; %bb.7345:                             ;   in Loop: Header=BB4_6216 Depth=3
	s_or_b64 exec, exec, s[28:29]
                                        ; implicit-def: $vgpr12
.LBB4_7346:                             ;   in Loop: Header=BB4_6216 Depth=3
	s_andn2_saveexec_b64 s[28:29], s[30:31]
; %bb.7347:                             ;   in Loop: Header=BB4_6216 Depth=3
	v_or_b32_sdwa v37, v12, s68 dst_sel:DWORD dst_unused:UNUSED_PAD src0_sel:BYTE_3 src1_sel:DWORD
; %bb.7348:                             ;   in Loop: Header=BB4_6216 Depth=3
	s_or_b64 exec, exec, s[28:29]
	v_cmp_lt_u32_e32 vcc, s57, v2
	v_mov_b32_e32 v13, 0
	v_mov_b32_e32 v48, 0
	s_and_saveexec_b64 s[28:29], vcc
	s_cbranch_execz .LBB4_7354
; %bb.7349:                             ;   in Loop: Header=BB4_6216 Depth=3
	v_lshrrev_b32_e32 v12, 24, v2
	v_cmp_ne_u32_sdwa vcc, v2, s70 src0_sel:BYTE_3 src1_sel:DWORD
	v_bfrev_b32_e32 v48, 1
	s_and_saveexec_b64 s[30:31], vcc
	s_cbranch_execz .LBB4_7353
; %bb.7350:                             ;   in Loop: Header=BB4_6216 Depth=3
	v_bfe_u32 v49, v2, 24, 7
	v_cmp_ne_u32_e32 vcc, s68, v49
	v_mov_b32_e32 v48, 0x7f800001
	s_and_saveexec_b64 s[34:35], vcc
	s_cbranch_execz .LBB4_7352
; %bb.7351:                             ;   in Loop: Header=BB4_6216 Depth=3
	v_and_b32_e32 v22, 7, v12
	v_ffbh_u32_e32 v32, v22
	v_min_u32_e32 v32, 32, v32
	v_mov_b32_e32 v38, v33
	v_subrev_u32_e32 v33, 28, v32
	v_lshrrev_b32_e32 v23, 3, v49
	v_cmp_gt_u32_e32 vcc, 8, v49
	v_lshlrev_b64 v[48:49], v33, v[12:13]
	v_sub_u32_e32 v12, 29, v32
	v_and_b32_e32 v32, 7, v48
	v_cndmask_b32_e32 v12, v23, v12, vcc
	v_mov_b32_e32 v23, 24
	v_cndmask_b32_e32 v22, v22, v32, vcc
	v_lshlrev_b32_sdwa v2, v23, v2 dst_sel:DWORD dst_unused:UNUSED_PAD src0_sel:DWORD src1_sel:BYTE_3
	v_lshlrev_b32_e32 v22, 20, v22
	v_and_b32_e32 v2, 0x80000000, v2
	v_lshl_add_u32 v12, v12, 23, v5
	v_mov_b32_e32 v33, v38
	v_or3_b32 v48, v2, v12, v22
.LBB4_7352:                             ;   in Loop: Header=BB4_6216 Depth=3
	s_or_b64 exec, exec, s[34:35]
.LBB4_7353:                             ;   in Loop: Header=BB4_6216 Depth=3
	s_or_b64 exec, exec, s[30:31]
.LBB4_7354:                             ;   in Loop: Header=BB4_6216 Depth=3
	s_or_b64 exec, exec, s[28:29]
	v_cmp_lt_u64_e32 vcc, s[56:57], v[14:15]
	s_and_saveexec_b64 s[28:29], vcc
	s_cbranch_execz .LBB4_7360
; %bb.7355:                             ;   in Loop: Header=BB4_6216 Depth=3
	v_lshrrev_b32_e32 v2, 24, v15
	v_cmp_ne_u32_e32 vcc, s70, v2
	v_bfrev_b32_e32 v13, 1
	s_and_saveexec_b64 s[30:31], vcc
	s_cbranch_execz .LBB4_7359
; %bb.7356:                             ;   in Loop: Header=BB4_6216 Depth=3
	v_bfe_u32 v12, v15, 24, 7
	v_cmp_ne_u32_e32 vcc, s68, v12
	v_mov_b32_e32 v13, 0x7f800001
	s_and_saveexec_b64 s[34:35], vcc
	s_cbranch_execz .LBB4_7358
; %bb.7357:                             ;   in Loop: Header=BB4_6216 Depth=3
	v_and_b32_e32 v14, 7, v2
	v_lshrrev_b32_e32 v15, 3, v12
	v_cmp_gt_u32_e32 vcc, 8, v12
	v_ffbh_u32_e32 v12, v14
	v_min_u32_e32 v22, 32, v12
	v_subrev_u32_e32 v12, 28, v22
	v_lshlrev_b64 v[12:13], v12, v[2:3]
	v_sub_u32_e32 v13, 29, v22
	v_and_b32_e32 v12, 7, v12
	v_cndmask_b32_e32 v13, v15, v13, vcc
	v_cndmask_b32_e32 v12, v14, v12, vcc
	v_lshlrev_b32_e32 v2, 24, v2
	v_lshlrev_b32_e32 v12, 20, v12
	v_and_b32_e32 v2, 0x80000000, v2
	v_lshl_add_u32 v13, v13, 23, v5
	v_or3_b32 v13, v2, v13, v12
.LBB4_7358:                             ;   in Loop: Header=BB4_6216 Depth=3
	s_or_b64 exec, exec, s[34:35]
.LBB4_7359:                             ;   in Loop: Header=BB4_6216 Depth=3
	s_or_b64 exec, exec, s[30:31]
.LBB4_7360:                             ;   in Loop: Header=BB4_6216 Depth=3
	s_or_b64 exec, exec, s[28:29]
	v_add_f32_e32 v12, v48, v13
	v_and_b32_e32 v2, 0x7f800000, v12
	v_cmp_ne_u64_e32 vcc, s[62:63], v[2:3]
                                        ; implicit-def: $vgpr15
	s_and_saveexec_b64 s[28:29], vcc
	s_xor_b64 s[30:31], exec, s[28:29]
	s_cbranch_execz .LBB4_7374
; %bb.7361:                             ;   in Loop: Header=BB4_6216 Depth=3
	v_and_b32_e32 v2, 0x7fffffff, v12
	v_cmp_gt_u64_e32 vcc, s[72:73], v[2:3]
	v_and_b32_sdwa v48, v12, s70 dst_sel:DWORD dst_unused:UNUSED_PAD src0_sel:BYTE_3 src1_sel:DWORD
                                        ; implicit-def: $vgpr15
	s_and_saveexec_b64 s[28:29], vcc
	s_xor_b64 s[34:35], exec, s[28:29]
	s_cbranch_execz .LBB4_7371
; %bb.7362:                             ;   in Loop: Header=BB4_6216 Depth=3
	v_mov_b32_e32 v15, 0
	v_cmp_ne_u32_e32 vcc, 0, v12
	s_and_saveexec_b64 s[36:37], vcc
	s_cbranch_execz .LBB4_7370
; %bb.7363:                             ;   in Loop: Header=BB4_6216 Depth=3
	v_bfe_u32 v15, v12, 23, 8
	v_and_b32_e32 v2, 0x7fffff, v12
	v_cmp_gt_u32_e64 s[28:29], s71, v15
	v_sub_u32_e32 v12, 0x79, v15
	v_cmp_eq_u32_e32 vcc, 0, v15
	v_cndmask_b32_e64 v12, 0, v12, s[28:29]
	v_mov_b32_e32 v14, 0x78
	v_cndmask_b32_e32 v49, v12, v14, vcc
	v_or_b32_e32 v13, 0x800000, v2
	v_add_u32_e32 v12, 20, v49
	v_cndmask_b32_e32 v2, v13, v2, vcc
	v_lshlrev_b64 v[12:13], v12, -1
	v_add_u32_e32 v14, 19, v49
	v_lshlrev_b64 v[52:53], v14, 1
	v_bfi_b32 v13, v13, 0, 0
	v_bfi_b32 v12, v12, 0, v2
	v_cmp_eq_u64_e64 s[28:29], v[12:13], v[52:53]
	v_lshrrev_b64 v[12:13], v49, v[2:3]
	v_mov_b32_e32 v14, v13
	v_mov_b32_e32 v13, v12
	s_and_saveexec_b64 s[38:39], s[28:29]
; %bb.7364:                             ;   in Loop: Header=BB4_6216 Depth=3
	v_bfe_u32 v2, v12, 20, 1
	v_add_co_u32_e64 v2, s[28:29], v12, v2
	v_add_co_u32_e64 v13, s[28:29], -1, v2
; %bb.7365:                             ;   in Loop: Header=BB4_6216 Depth=3
	s_or_b64 exec, exec, s[38:39]
	v_add_u32_e32 v2, 0xffffff81, v15
	v_mov_b32_e32 v14, 0xffffff82
	v_cndmask_b32_e32 v2, v2, v14, vcc
	v_lshrrev_b32_e32 v14, 23, v12
	v_add3_u32 v49, v49, v2, v14
	v_add_u32_e32 v15, 6, v49
	v_and_b32_e32 v2, 0xfffff, v13
	v_add_u32_e32 v2, v2, v12
	v_cmp_ne_u32_e32 vcc, 0, v15
                                        ; implicit-def: $vgpr12_vgpr13
                                        ; implicit-def: $vgpr14
	s_and_saveexec_b64 s[28:29], vcc
	s_xor_b64 s[28:29], exec, s[28:29]
; %bb.7366:                             ;   in Loop: Header=BB4_6216 Depth=3
	v_cmp_lt_u64_e32 vcc, s[74:75], v[2:3]
	v_add_u32_e32 v12, 7, v49
	v_cndmask_b32_e32 v14, v15, v12, vcc
	v_cndmask_b32_e64 v12, 0, 1, vcc
	v_lshrrev_b64 v[12:13], v12, v[2:3]
; %bb.7367:                             ;   in Loop: Header=BB4_6216 Depth=3
	s_andn2_saveexec_b64 s[28:29], s[28:29]
; %bb.7368:                             ;   in Loop: Header=BB4_6216 Depth=3
	v_mov_b32_e32 v13, v3
	v_mov_b32_e32 v12, v2
	v_bfe_u32 v14, v2, 23, 1
; %bb.7369:                             ;   in Loop: Header=BB4_6216 Depth=3
	s_or_b64 exec, exec, s[28:29]
	v_lshrrev_b64 v[12:13], 20, v[12:13]
	v_cmp_gt_i32_e32 vcc, 16, v14
	v_cndmask_b32_e32 v13, 0, v13, vcc
	v_cndmask_b32_e32 v12, 7, v12, vcc
	v_min_i32_e32 v2, 15, v14
	v_cmp_eq_u64_e64 s[28:29], 0, v[12:13]
	v_lshlrev_b32_e32 v2, 3, v2
	v_cmp_eq_u32_e32 vcc, 0, v14
	v_and_b32_e32 v2, 0xf8, v2
	v_and_or_b32 v2, v12, 7, v2
	s_and_b64 s[28:29], vcc, s[28:29]
	v_cndmask_b32_e64 v2, v2, 0, s[28:29]
	v_or_b32_e32 v15, v2, v48
.LBB4_7370:                             ;   in Loop: Header=BB4_6216 Depth=3
	s_or_b64 exec, exec, s[36:37]
                                        ; implicit-def: $vgpr48
.LBB4_7371:                             ;   in Loop: Header=BB4_6216 Depth=3
	s_andn2_saveexec_b64 s[28:29], s[34:35]
; %bb.7372:                             ;   in Loop: Header=BB4_6216 Depth=3
	v_or_b32_e32 v15, 0x7e, v48
; %bb.7373:                             ;   in Loop: Header=BB4_6216 Depth=3
	s_or_b64 exec, exec, s[28:29]
                                        ; implicit-def: $vgpr12
.LBB4_7374:                             ;   in Loop: Header=BB4_6216 Depth=3
	s_andn2_saveexec_b64 s[28:29], s[30:31]
; %bb.7375:                             ;   in Loop: Header=BB4_6216 Depth=3
	v_or_b32_sdwa v15, v12, s68 dst_sel:DWORD dst_unused:UNUSED_PAD src0_sel:BYTE_3 src1_sel:DWORD
; %bb.7376:                             ;   in Loop: Header=BB4_6216 Depth=3
	s_or_b64 exec, exec, s[28:29]
	v_lshl_or_b32 v48, v27, 8, v35
	v_lshlrev_b32_e32 v2, 16, v43
	v_lshlrev_b32_e32 v1, 24, v1
	v_or3_b32 v2, v2, v1, v48
	v_cmp_ne_u32_e32 vcc, 0, v35
	v_mov_b32_e32 v1, 0
	v_mov_b32_e32 v12, 0
	s_and_saveexec_b64 s[28:29], vcc
	s_cbranch_execz .LBB4_7382
; %bb.7377:                             ;   in Loop: Header=BB4_6216 Depth=3
	v_cmp_ne_u32_e32 vcc, s70, v35
	v_bfrev_b32_e32 v12, 1
	s_and_saveexec_b64 s[30:31], vcc
	s_cbranch_execz .LBB4_7381
; %bb.7378:                             ;   in Loop: Header=BB4_6216 Depth=3
	v_and_b32_e32 v13, 0x7f, v35
	v_cmp_ne_u32_e32 vcc, s68, v13
	v_mov_b32_e32 v12, 0x7f800001
	s_and_saveexec_b64 s[34:35], vcc
	s_cbranch_execz .LBB4_7380
; %bb.7379:                             ;   in Loop: Header=BB4_6216 Depth=3
	v_and_b32_e32 v12, 7, v35
	v_ffbh_u32_e32 v12, v12
	v_min_u32_e32 v12, 32, v12
	v_lshrrev_b32_e32 v14, 3, v13
	v_cmp_gt_u32_e32 vcc, 8, v13
	v_subrev_u32_e32 v13, 28, v12
	v_sub_u32_e32 v12, 29, v12
	v_cndmask_b32_e32 v14, v14, v12, vcc
	v_cndmask_b32_e32 v12, 0, v13, vcc
	v_lshlrev_b64 v[12:13], v12, v[2:3]
	v_lshlrev_b32_e32 v13, 24, v2
	v_lshlrev_b32_e32 v12, 20, v12
	v_and_b32_e32 v12, 0x700000, v12
	v_and_b32_e32 v13, 0x80000000, v13
	v_lshl_add_u32 v14, v14, 23, v5
	v_or3_b32 v12, v13, v14, v12
.LBB4_7380:                             ;   in Loop: Header=BB4_6216 Depth=3
	s_or_b64 exec, exec, s[34:35]
.LBB4_7381:                             ;   in Loop: Header=BB4_6216 Depth=3
	s_or_b64 exec, exec, s[30:31]
.LBB4_7382:                             ;   in Loop: Header=BB4_6216 Depth=3
	s_or_b64 exec, exec, s[28:29]
	s_waitcnt vmcnt(0)
	v_cmp_ne_u16_sdwa vcc, v8, v3 src0_sel:BYTE_0 src1_sel:DWORD
	s_and_saveexec_b64 s[28:29], vcc
	s_cbranch_execz .LBB4_7388
; %bb.7383:                             ;   in Loop: Header=BB4_6216 Depth=3
	v_cmp_ne_u16_sdwa vcc, v8, s70 src0_sel:BYTE_0 src1_sel:DWORD
	v_bfrev_b32_e32 v1, 1
	s_and_saveexec_b64 s[30:31], vcc
	s_cbranch_execz .LBB4_7387
; %bb.7384:                             ;   in Loop: Header=BB4_6216 Depth=3
	v_and_b32_e32 v13, 0x7f, v8
	v_cmp_ne_u32_e32 vcc, s68, v13
	v_mov_b32_e32 v1, 0x7f800001
	s_and_saveexec_b64 s[34:35], vcc
	s_cbranch_execz .LBB4_7386
; %bb.7385:                             ;   in Loop: Header=BB4_6216 Depth=3
	v_and_b32_e32 v1, 7, v8
	v_ffbh_u32_e32 v1, v1
	v_min_u32_e32 v1, 32, v1
	v_lshrrev_b32_e32 v14, 3, v13
	v_cmp_gt_u32_e32 vcc, 8, v13
	v_subrev_u32_e32 v13, 28, v1
	v_sub_u32_e32 v1, 29, v1
	v_cndmask_b32_e32 v13, 0, v13, vcc
	v_cndmask_b32_e32 v1, v14, v1, vcc
	v_lshlrev_b64 v[13:14], v13, v[8:9]
	v_lshlrev_b32_e32 v14, 24, v8
	v_lshlrev_b32_e32 v13, 20, v13
	v_and_b32_e32 v13, 0x700000, v13
	v_and_b32_e32 v14, 0x80000000, v14
	v_lshl_add_u32 v1, v1, 23, v5
	v_or3_b32 v1, v14, v1, v13
.LBB4_7386:                             ;   in Loop: Header=BB4_6216 Depth=3
	s_or_b64 exec, exec, s[34:35]
.LBB4_7387:                             ;   in Loop: Header=BB4_6216 Depth=3
	s_or_b64 exec, exec, s[30:31]
.LBB4_7388:                             ;   in Loop: Header=BB4_6216 Depth=3
	s_or_b64 exec, exec, s[28:29]
	v_add_f32_e32 v12, v12, v1
	v_and_b32_e32 v13, 0x7f800000, v12
	v_mov_b32_e32 v14, v3
	v_cmp_ne_u64_e32 vcc, s[62:63], v[13:14]
                                        ; implicit-def: $vgpr1
	s_and_saveexec_b64 s[28:29], vcc
	s_xor_b64 s[30:31], exec, s[28:29]
	s_cbranch_execz .LBB4_7402
; %bb.7389:                             ;   in Loop: Header=BB4_6216 Depth=3
	v_and_b32_e32 v13, 0x7fffffff, v12
	v_mov_b32_e32 v14, v3
	v_cmp_gt_u64_e32 vcc, s[72:73], v[13:14]
	v_and_b32_sdwa v35, v12, s70 dst_sel:DWORD dst_unused:UNUSED_PAD src0_sel:BYTE_3 src1_sel:DWORD
                                        ; implicit-def: $vgpr1
	s_and_saveexec_b64 s[28:29], vcc
	s_xor_b64 s[34:35], exec, s[28:29]
	s_cbranch_execz .LBB4_7399
; %bb.7390:                             ;   in Loop: Header=BB4_6216 Depth=3
	v_mov_b32_e32 v1, 0
	v_cmp_ne_u32_e32 vcc, 0, v12
	s_and_saveexec_b64 s[36:37], vcc
	s_cbranch_execz .LBB4_7398
; %bb.7391:                             ;   in Loop: Header=BB4_6216 Depth=3
	v_bfe_u32 v1, v12, 23, 8
	v_and_b32_e32 v13, 0x7fffff, v12
	v_cmp_gt_u32_e64 s[28:29], s71, v1
	v_sub_u32_e32 v12, 0x79, v1
	v_cmp_eq_u32_e32 vcc, 0, v1
	v_cndmask_b32_e64 v12, 0, v12, s[28:29]
	v_mov_b32_e32 v22, 0x78
	v_or_b32_e32 v14, 0x800000, v13
	v_cndmask_b32_e32 v49, v12, v22, vcc
	v_cndmask_b32_e32 v12, v14, v13, vcc
	v_add_u32_e32 v14, 20, v49
	v_lshlrev_b64 v[52:53], v14, -1
	v_mov_b32_e32 v13, v3
	v_add_u32_e32 v14, 19, v49
	v_bfi_b32 v52, v52, 0, v12
	v_lshlrev_b64 v[41:42], v14, 1
	v_lshrrev_b64 v[12:13], v49, v[12:13]
	v_bfi_b32 v53, v53, 0, 0
	v_cmp_eq_u64_e64 s[28:29], v[52:53], v[41:42]
	v_mov_b32_e32 v14, v13
	v_mov_b32_e32 v13, v12
	s_and_saveexec_b64 s[38:39], s[28:29]
; %bb.7392:                             ;   in Loop: Header=BB4_6216 Depth=3
	v_bfe_u32 v13, v12, 20, 1
	v_add_co_u32_e64 v13, s[28:29], v12, v13
	v_add_co_u32_e64 v13, s[28:29], -1, v13
; %bb.7393:                             ;   in Loop: Header=BB4_6216 Depth=3
	s_or_b64 exec, exec, s[38:39]
	v_add_u32_e32 v1, 0xffffff81, v1
	v_mov_b32_e32 v14, 0xffffff82
	v_cndmask_b32_e32 v1, v1, v14, vcc
	v_lshrrev_b32_e32 v14, 23, v12
	v_add3_u32 v49, v49, v1, v14
	v_add_u32_e32 v14, 6, v49
	v_and_b32_e32 v1, 0xfffff, v13
	v_add_u32_e32 v12, v1, v12
	v_mov_b32_e32 v13, v3
	v_cmp_ne_u32_e32 vcc, 0, v14
                                        ; implicit-def: $vgpr1
	s_and_saveexec_b64 s[28:29], vcc
	s_xor_b64 s[28:29], exec, s[28:29]
; %bb.7394:                             ;   in Loop: Header=BB4_6216 Depth=3
	v_cmp_lt_u64_e32 vcc, s[74:75], v[12:13]
	v_add_u32_e32 v1, 7, v49
	v_cndmask_b32_e32 v1, v14, v1, vcc
	v_cndmask_b32_e64 v14, 0, 1, vcc
	v_lshrrev_b64 v[12:13], v14, v[12:13]
; %bb.7395:                             ;   in Loop: Header=BB4_6216 Depth=3
	s_andn2_saveexec_b64 s[28:29], s[28:29]
; %bb.7396:                             ;   in Loop: Header=BB4_6216 Depth=3
	v_bfe_u32 v1, v12, 23, 1
; %bb.7397:                             ;   in Loop: Header=BB4_6216 Depth=3
	s_or_b64 exec, exec, s[28:29]
	v_lshrrev_b64 v[12:13], 20, v[12:13]
	v_cmp_gt_i32_e32 vcc, 16, v1
	v_cndmask_b32_e32 v13, 0, v13, vcc
	v_cndmask_b32_e32 v12, 7, v12, vcc
	v_cmp_eq_u32_e32 vcc, 0, v1
	v_min_i32_e32 v1, 15, v1
	v_cmp_eq_u64_e64 s[28:29], 0, v[12:13]
	v_lshlrev_b32_e32 v1, 3, v1
	v_and_b32_e32 v1, 0xf8, v1
	v_and_or_b32 v1, v12, 7, v1
	s_and_b64 s[28:29], vcc, s[28:29]
	v_cndmask_b32_e64 v1, v1, 0, s[28:29]
	v_or_b32_e32 v1, v1, v35
.LBB4_7398:                             ;   in Loop: Header=BB4_6216 Depth=3
	s_or_b64 exec, exec, s[36:37]
                                        ; implicit-def: $vgpr35
.LBB4_7399:                             ;   in Loop: Header=BB4_6216 Depth=3
	s_andn2_saveexec_b64 s[28:29], s[34:35]
; %bb.7400:                             ;   in Loop: Header=BB4_6216 Depth=3
	v_or_b32_e32 v1, 0x7e, v35
; %bb.7401:                             ;   in Loop: Header=BB4_6216 Depth=3
	s_or_b64 exec, exec, s[28:29]
                                        ; implicit-def: $vgpr12
.LBB4_7402:                             ;   in Loop: Header=BB4_6216 Depth=3
	s_andn2_saveexec_b64 s[28:29], s[30:31]
; %bb.7403:                             ;   in Loop: Header=BB4_6216 Depth=3
	v_or_b32_sdwa v1, v12, s68 dst_sel:DWORD dst_unused:UNUSED_PAD src0_sel:BYTE_3 src1_sel:DWORD
; %bb.7404:                             ;   in Loop: Header=BB4_6216 Depth=3
	s_or_b64 exec, exec, s[28:29]
	v_lshrrev_b16_e32 v12, 8, v48
	v_cmp_ne_u16_e32 vcc, 0, v12
	v_mov_b32_e32 v13, 0
	v_mov_b32_e32 v14, 0
	s_and_saveexec_b64 s[28:29], vcc
	s_cbranch_execz .LBB4_7410
; %bb.7405:                             ;   in Loop: Header=BB4_6216 Depth=3
	v_cmp_ne_u16_e32 vcc, s70, v12
	v_bfrev_b32_e32 v14, 1
	s_and_saveexec_b64 s[30:31], vcc
	s_cbranch_execz .LBB4_7409
; %bb.7406:                             ;   in Loop: Header=BB4_6216 Depth=3
	v_and_b32_e32 v35, 0x7f, v12
	v_cmp_ne_u32_e32 vcc, s68, v35
	v_mov_b32_e32 v14, 0x7f800001
	s_and_saveexec_b64 s[34:35], vcc
	s_cbranch_execz .LBB4_7408
; %bb.7407:                             ;   in Loop: Header=BB4_6216 Depth=3
	v_and_b32_e32 v14, 7, v12
	v_ffbh_u32_e32 v23, v14
	v_min_u32_e32 v23, 32, v23
	v_subrev_u32_e32 v27, 28, v23
	v_lshlrev_b64 v[52:53], v27, v[12:13]
	v_lshrrev_b32_e32 v22, 3, v35
	v_cmp_gt_u32_e32 vcc, 8, v35
	v_sub_u32_e32 v12, 29, v23
	v_and_b32_e32 v23, 7, v52
	v_cndmask_b32_e32 v12, v22, v12, vcc
	v_cndmask_b32_e32 v14, v14, v23, vcc
	v_lshlrev_b32_e32 v22, 16, v48
	v_lshlrev_b32_e32 v14, 20, v14
	v_and_b32_e32 v22, 0x80000000, v22
	v_lshl_add_u32 v12, v12, 23, v5
	v_or3_b32 v14, v22, v12, v14
.LBB4_7408:                             ;   in Loop: Header=BB4_6216 Depth=3
	s_or_b64 exec, exec, s[34:35]
.LBB4_7409:                             ;   in Loop: Header=BB4_6216 Depth=3
	s_or_b64 exec, exec, s[30:31]
.LBB4_7410:                             ;   in Loop: Header=BB4_6216 Depth=3
	s_or_b64 exec, exec, s[28:29]
	v_lshrrev_b16_e32 v12, 8, v8
	v_cmp_ne_u16_e32 vcc, 0, v12
	s_and_saveexec_b64 s[28:29], vcc
	s_cbranch_execz .LBB4_7416
; %bb.7411:                             ;   in Loop: Header=BB4_6216 Depth=3
	v_cmp_ne_u16_e32 vcc, s70, v12
	v_bfrev_b32_e32 v13, 1
	s_and_saveexec_b64 s[30:31], vcc
	s_cbranch_execz .LBB4_7415
; %bb.7412:                             ;   in Loop: Header=BB4_6216 Depth=3
	v_and_b32_e32 v35, 0x7f, v12
	v_cmp_ne_u32_e32 vcc, s68, v35
	v_mov_b32_e32 v13, 0x7f800001
	s_and_saveexec_b64 s[34:35], vcc
	s_cbranch_execz .LBB4_7414
; %bb.7413:                             ;   in Loop: Header=BB4_6216 Depth=3
	v_and_b32_e32 v22, 7, v12
	v_ffbh_u32_e32 v13, v22
	v_min_u32_e32 v27, 32, v13
	v_subrev_u32_e32 v13, 28, v27
	v_lshlrev_b64 v[12:13], v13, v[12:13]
	v_lshrrev_b32_e32 v23, 3, v35
	v_cmp_gt_u32_e32 vcc, 8, v35
	v_sub_u32_e32 v13, 29, v27
	v_and_b32_e32 v12, 7, v12
	v_cndmask_b32_e32 v13, v23, v13, vcc
	v_cndmask_b32_e32 v12, v22, v12, vcc
	v_lshlrev_b32_e32 v22, 16, v8
	v_lshlrev_b32_e32 v12, 20, v12
	v_and_b32_e32 v22, 0x80000000, v22
	v_lshl_add_u32 v13, v13, 23, v5
	v_or3_b32 v13, v22, v13, v12
.LBB4_7414:                             ;   in Loop: Header=BB4_6216 Depth=3
	s_or_b64 exec, exec, s[34:35]
.LBB4_7415:                             ;   in Loop: Header=BB4_6216 Depth=3
	s_or_b64 exec, exec, s[30:31]
.LBB4_7416:                             ;   in Loop: Header=BB4_6216 Depth=3
	s_or_b64 exec, exec, s[28:29]
	v_add_f32_e32 v12, v14, v13
	v_and_b32_e32 v13, 0x7f800000, v12
	v_mov_b32_e32 v14, v3
	v_cmp_ne_u64_e32 vcc, s[62:63], v[13:14]
                                        ; implicit-def: $vgpr35
	s_and_saveexec_b64 s[28:29], vcc
	s_xor_b64 s[30:31], exec, s[28:29]
	s_cbranch_execz .LBB4_7430
; %bb.7417:                             ;   in Loop: Header=BB4_6216 Depth=3
	v_and_b32_e32 v13, 0x7fffffff, v12
	v_mov_b32_e32 v14, v3
	v_cmp_gt_u64_e32 vcc, s[72:73], v[13:14]
	v_and_b32_sdwa v48, v12, s70 dst_sel:DWORD dst_unused:UNUSED_PAD src0_sel:BYTE_3 src1_sel:DWORD
                                        ; implicit-def: $vgpr35
	s_and_saveexec_b64 s[28:29], vcc
	s_xor_b64 s[34:35], exec, s[28:29]
	s_cbranch_execz .LBB4_7427
; %bb.7418:                             ;   in Loop: Header=BB4_6216 Depth=3
	v_mov_b32_e32 v35, 0
	v_cmp_ne_u32_e32 vcc, 0, v12
	s_and_saveexec_b64 s[36:37], vcc
	s_cbranch_execz .LBB4_7426
; %bb.7419:                             ;   in Loop: Header=BB4_6216 Depth=3
	v_bfe_u32 v35, v12, 23, 8
	v_and_b32_e32 v13, 0x7fffff, v12
	v_cmp_gt_u32_e64 s[28:29], s71, v35
	v_sub_u32_e32 v12, 0x79, v35
	v_cmp_eq_u32_e32 vcc, 0, v35
	v_cndmask_b32_e64 v12, 0, v12, s[28:29]
	v_mov_b32_e32 v22, 0x78
	v_or_b32_e32 v14, 0x800000, v13
	v_cndmask_b32_e32 v49, v12, v22, vcc
	v_cndmask_b32_e32 v12, v14, v13, vcc
	v_add_u32_e32 v14, 20, v49
	v_lshlrev_b64 v[52:53], v14, -1
	v_mov_b32_e32 v13, v3
	v_add_u32_e32 v14, 19, v49
	v_bfi_b32 v52, v52, 0, v12
	v_lshlrev_b64 v[41:42], v14, 1
	v_lshrrev_b64 v[12:13], v49, v[12:13]
	v_bfi_b32 v53, v53, 0, 0
	v_cmp_eq_u64_e64 s[28:29], v[52:53], v[41:42]
	v_mov_b32_e32 v14, v13
	v_mov_b32_e32 v13, v12
	s_and_saveexec_b64 s[38:39], s[28:29]
; %bb.7420:                             ;   in Loop: Header=BB4_6216 Depth=3
	v_bfe_u32 v13, v12, 20, 1
	v_add_co_u32_e64 v13, s[28:29], v12, v13
	v_add_co_u32_e64 v13, s[28:29], -1, v13
; %bb.7421:                             ;   in Loop: Header=BB4_6216 Depth=3
	s_or_b64 exec, exec, s[38:39]
	v_add_u32_e32 v14, 0xffffff81, v35
	v_mov_b32_e32 v22, 0xffffff82
	v_cndmask_b32_e32 v14, v14, v22, vcc
	v_lshrrev_b32_e32 v22, 23, v12
	v_add3_u32 v49, v49, v14, v22
	v_add_u32_e32 v35, 6, v49
	v_and_b32_e32 v13, 0xfffff, v13
	v_add_u32_e32 v12, v13, v12
	v_mov_b32_e32 v13, v3
	v_cmp_ne_u32_e32 vcc, 0, v35
                                        ; implicit-def: $vgpr14
	s_and_saveexec_b64 s[28:29], vcc
	s_xor_b64 s[28:29], exec, s[28:29]
; %bb.7422:                             ;   in Loop: Header=BB4_6216 Depth=3
	v_cmp_lt_u64_e32 vcc, s[74:75], v[12:13]
	v_add_u32_e32 v14, 7, v49
	v_cndmask_b32_e64 v22, 0, 1, vcc
	v_lshrrev_b64 v[12:13], v22, v[12:13]
	v_cndmask_b32_e32 v14, v35, v14, vcc
; %bb.7423:                             ;   in Loop: Header=BB4_6216 Depth=3
	s_andn2_saveexec_b64 s[28:29], s[28:29]
; %bb.7424:                             ;   in Loop: Header=BB4_6216 Depth=3
	v_bfe_u32 v14, v12, 23, 1
; %bb.7425:                             ;   in Loop: Header=BB4_6216 Depth=3
	s_or_b64 exec, exec, s[28:29]
	v_lshrrev_b64 v[12:13], 20, v[12:13]
	v_cmp_gt_i32_e32 vcc, 16, v14
	v_cndmask_b32_e32 v13, 0, v13, vcc
	v_cndmask_b32_e32 v12, 7, v12, vcc
	v_cmp_eq_u64_e64 s[28:29], 0, v[12:13]
	v_min_i32_e32 v13, 15, v14
	v_lshlrev_b32_e32 v13, 3, v13
	v_cmp_eq_u32_e32 vcc, 0, v14
	v_and_b32_e32 v13, 0xf8, v13
	v_and_or_b32 v12, v12, 7, v13
	s_and_b64 s[28:29], vcc, s[28:29]
	v_cndmask_b32_e64 v12, v12, 0, s[28:29]
	v_or_b32_e32 v35, v12, v48
.LBB4_7426:                             ;   in Loop: Header=BB4_6216 Depth=3
	s_or_b64 exec, exec, s[36:37]
                                        ; implicit-def: $vgpr48
.LBB4_7427:                             ;   in Loop: Header=BB4_6216 Depth=3
	s_andn2_saveexec_b64 s[28:29], s[34:35]
; %bb.7428:                             ;   in Loop: Header=BB4_6216 Depth=3
	v_or_b32_e32 v35, 0x7e, v48
; %bb.7429:                             ;   in Loop: Header=BB4_6216 Depth=3
	s_or_b64 exec, exec, s[28:29]
                                        ; implicit-def: $vgpr12
.LBB4_7430:                             ;   in Loop: Header=BB4_6216 Depth=3
	s_andn2_saveexec_b64 s[28:29], s[30:31]
; %bb.7431:                             ;   in Loop: Header=BB4_6216 Depth=3
	v_or_b32_sdwa v35, v12, s68 dst_sel:DWORD dst_unused:UNUSED_PAD src0_sel:BYTE_3 src1_sel:DWORD
; %bb.7432:                             ;   in Loop: Header=BB4_6216 Depth=3
	s_or_b64 exec, exec, s[28:29]
	v_lshrrev_b32_e32 v12, 16, v2
	v_cmp_ne_u16_sdwa vcc, v12, v3 src0_sel:BYTE_0 src1_sel:DWORD
	v_mov_b32_e32 v13, 0
	v_mov_b32_e32 v14, 0
	s_and_saveexec_b64 s[28:29], vcc
	s_cbranch_execz .LBB4_7438
; %bb.7433:                             ;   in Loop: Header=BB4_6216 Depth=3
	v_cmp_ne_u16_sdwa vcc, v12, s70 src0_sel:BYTE_0 src1_sel:DWORD
	v_bfrev_b32_e32 v14, 1
	s_and_saveexec_b64 s[30:31], vcc
	s_cbranch_execz .LBB4_7437
; %bb.7434:                             ;   in Loop: Header=BB4_6216 Depth=3
	v_bfe_u32 v48, v2, 16, 7
	v_cmp_ne_u32_e32 vcc, s68, v48
	v_mov_b32_e32 v14, 0x7f800001
	s_and_saveexec_b64 s[34:35], vcc
	s_cbranch_execz .LBB4_7436
; %bb.7435:                             ;   in Loop: Header=BB4_6216 Depth=3
	v_and_b32_e32 v14, 7, v12
	v_ffbh_u32_e32 v23, v14
	v_min_u32_e32 v23, 32, v23
	v_subrev_u32_e32 v27, 28, v23
	v_lshrrev_b32_e32 v22, 3, v48
	v_cmp_gt_u32_e32 vcc, 8, v48
	v_lshlrev_b64 v[48:49], v27, v[12:13]
	v_sub_u32_e32 v23, 29, v23
	v_and_b32_e32 v27, 7, v48
	v_cndmask_b32_e32 v22, v22, v23, vcc
	v_cndmask_b32_e32 v14, v14, v27, vcc
	v_lshlrev_b32_e32 v12, 24, v12
	v_lshlrev_b32_e32 v14, 20, v14
	v_and_b32_e32 v12, 0x80000000, v12
	v_lshl_add_u32 v22, v22, 23, v5
	v_or3_b32 v14, v12, v22, v14
.LBB4_7436:                             ;   in Loop: Header=BB4_6216 Depth=3
	s_or_b64 exec, exec, s[34:35]
.LBB4_7437:                             ;   in Loop: Header=BB4_6216 Depth=3
	s_or_b64 exec, exec, s[30:31]
.LBB4_7438:                             ;   in Loop: Header=BB4_6216 Depth=3
	s_or_b64 exec, exec, s[28:29]
	v_lshrrev_b32_e32 v12, 16, v8
	v_cmp_ne_u16_sdwa vcc, v12, v3 src0_sel:BYTE_0 src1_sel:DWORD
	s_and_saveexec_b64 s[28:29], vcc
	s_cbranch_execz .LBB4_7444
; %bb.7439:                             ;   in Loop: Header=BB4_6216 Depth=3
	v_cmp_ne_u16_sdwa vcc, v12, s70 src0_sel:BYTE_0 src1_sel:DWORD
	v_bfrev_b32_e32 v13, 1
	s_and_saveexec_b64 s[30:31], vcc
	s_cbranch_execz .LBB4_7443
; %bb.7440:                             ;   in Loop: Header=BB4_6216 Depth=3
	v_bfe_u32 v48, v8, 16, 7
	v_cmp_ne_u32_e32 vcc, s68, v48
	v_mov_b32_e32 v13, 0x7f800001
	s_and_saveexec_b64 s[34:35], vcc
	s_cbranch_execz .LBB4_7442
; %bb.7441:                             ;   in Loop: Header=BB4_6216 Depth=3
	v_and_b32_e32 v22, 7, v12
	v_ffbh_u32_e32 v13, v22
	v_min_u32_e32 v27, 32, v13
	v_subrev_u32_e32 v13, 28, v27
	v_lshlrev_b64 v[12:13], v13, v[12:13]
	v_lshrrev_b32_e32 v23, 3, v48
	v_cmp_gt_u32_e32 vcc, 8, v48
	v_sub_u32_e32 v13, 29, v27
	v_and_b32_e32 v12, 7, v12
	v_cndmask_b32_e32 v13, v23, v13, vcc
	v_cndmask_b32_e32 v12, v22, v12, vcc
	v_lshlrev_b32_e32 v22, 8, v8
	v_lshlrev_b32_e32 v12, 20, v12
	v_and_b32_e32 v22, 0x80000000, v22
	v_lshl_add_u32 v13, v13, 23, v5
	v_or3_b32 v13, v22, v13, v12
.LBB4_7442:                             ;   in Loop: Header=BB4_6216 Depth=3
	s_or_b64 exec, exec, s[34:35]
.LBB4_7443:                             ;   in Loop: Header=BB4_6216 Depth=3
	s_or_b64 exec, exec, s[30:31]
.LBB4_7444:                             ;   in Loop: Header=BB4_6216 Depth=3
	s_or_b64 exec, exec, s[28:29]
	v_add_f32_e32 v12, v14, v13
	v_and_b32_e32 v13, 0x7f800000, v12
	v_mov_b32_e32 v14, v3
	v_cmp_ne_u64_e32 vcc, s[62:63], v[13:14]
                                        ; implicit-def: $vgpr48
	s_and_saveexec_b64 s[28:29], vcc
	s_xor_b64 s[30:31], exec, s[28:29]
	s_cbranch_execz .LBB4_7458
; %bb.7445:                             ;   in Loop: Header=BB4_6216 Depth=3
	v_and_b32_e32 v13, 0x7fffffff, v12
	v_mov_b32_e32 v14, v3
	v_cmp_gt_u64_e32 vcc, s[72:73], v[13:14]
	v_and_b32_sdwa v49, v12, s70 dst_sel:DWORD dst_unused:UNUSED_PAD src0_sel:BYTE_3 src1_sel:DWORD
                                        ; implicit-def: $vgpr48
	s_and_saveexec_b64 s[28:29], vcc
	s_xor_b64 s[34:35], exec, s[28:29]
	s_cbranch_execz .LBB4_7455
; %bb.7446:                             ;   in Loop: Header=BB4_6216 Depth=3
	v_mov_b32_e32 v48, 0
	v_cmp_ne_u32_e32 vcc, 0, v12
	s_and_saveexec_b64 s[36:37], vcc
	s_cbranch_execz .LBB4_7454
; %bb.7447:                             ;   in Loop: Header=BB4_6216 Depth=3
	v_bfe_u32 v48, v12, 23, 8
	v_and_b32_e32 v13, 0x7fffff, v12
	v_cmp_gt_u32_e64 s[28:29], s71, v48
	v_sub_u32_e32 v12, 0x79, v48
	v_cmp_eq_u32_e32 vcc, 0, v48
	v_cndmask_b32_e64 v12, 0, v12, s[28:29]
	v_mov_b32_e32 v22, 0x78
	v_or_b32_e32 v14, 0x800000, v13
	v_cndmask_b32_e32 v52, v12, v22, vcc
	v_cndmask_b32_e32 v12, v14, v13, vcc
	v_add_u32_e32 v14, 20, v52
	v_lshlrev_b64 v[53:54], v14, -1
	v_mov_b32_e32 v13, v3
	v_add_u32_e32 v14, 19, v52
	v_bfi_b32 v53, v53, 0, v12
	v_lshlrev_b64 v[41:42], v14, 1
	v_lshrrev_b64 v[12:13], v52, v[12:13]
	v_bfi_b32 v54, v54, 0, 0
	v_cmp_eq_u64_e64 s[28:29], v[53:54], v[41:42]
	v_mov_b32_e32 v14, v13
	v_mov_b32_e32 v13, v12
	s_and_saveexec_b64 s[38:39], s[28:29]
; %bb.7448:                             ;   in Loop: Header=BB4_6216 Depth=3
	v_bfe_u32 v13, v12, 20, 1
	v_add_co_u32_e64 v13, s[28:29], v12, v13
	v_add_co_u32_e64 v13, s[28:29], -1, v13
; %bb.7449:                             ;   in Loop: Header=BB4_6216 Depth=3
	s_or_b64 exec, exec, s[38:39]
	v_add_u32_e32 v14, 0xffffff81, v48
	v_mov_b32_e32 v22, 0xffffff82
	v_cndmask_b32_e32 v14, v14, v22, vcc
	v_lshrrev_b32_e32 v22, 23, v12
	v_add3_u32 v52, v52, v14, v22
	v_add_u32_e32 v48, 6, v52
	v_and_b32_e32 v13, 0xfffff, v13
	v_add_u32_e32 v12, v13, v12
	v_mov_b32_e32 v13, v3
	v_cmp_ne_u32_e32 vcc, 0, v48
                                        ; implicit-def: $vgpr14
	s_and_saveexec_b64 s[28:29], vcc
	s_xor_b64 s[28:29], exec, s[28:29]
; %bb.7450:                             ;   in Loop: Header=BB4_6216 Depth=3
	v_cmp_lt_u64_e32 vcc, s[74:75], v[12:13]
	v_add_u32_e32 v14, 7, v52
	v_cndmask_b32_e64 v22, 0, 1, vcc
	v_lshrrev_b64 v[12:13], v22, v[12:13]
	v_cndmask_b32_e32 v14, v48, v14, vcc
; %bb.7451:                             ;   in Loop: Header=BB4_6216 Depth=3
	s_andn2_saveexec_b64 s[28:29], s[28:29]
; %bb.7452:                             ;   in Loop: Header=BB4_6216 Depth=3
	v_bfe_u32 v14, v12, 23, 1
; %bb.7453:                             ;   in Loop: Header=BB4_6216 Depth=3
	s_or_b64 exec, exec, s[28:29]
	v_lshrrev_b64 v[12:13], 20, v[12:13]
	v_cmp_gt_i32_e32 vcc, 16, v14
	v_cndmask_b32_e32 v13, 0, v13, vcc
	v_cndmask_b32_e32 v12, 7, v12, vcc
	v_cmp_eq_u64_e64 s[28:29], 0, v[12:13]
	v_min_i32_e32 v13, 15, v14
	v_lshlrev_b32_e32 v13, 3, v13
	v_cmp_eq_u32_e32 vcc, 0, v14
	v_and_b32_e32 v13, 0xf8, v13
	v_and_or_b32 v12, v12, 7, v13
	s_and_b64 s[28:29], vcc, s[28:29]
	v_cndmask_b32_e64 v12, v12, 0, s[28:29]
	v_or_b32_e32 v48, v12, v49
.LBB4_7454:                             ;   in Loop: Header=BB4_6216 Depth=3
	s_or_b64 exec, exec, s[36:37]
                                        ; implicit-def: $vgpr49
.LBB4_7455:                             ;   in Loop: Header=BB4_6216 Depth=3
	s_andn2_saveexec_b64 s[28:29], s[34:35]
; %bb.7456:                             ;   in Loop: Header=BB4_6216 Depth=3
	v_or_b32_e32 v48, 0x7e, v49
; %bb.7457:                             ;   in Loop: Header=BB4_6216 Depth=3
	s_or_b64 exec, exec, s[28:29]
                                        ; implicit-def: $vgpr12
.LBB4_7458:                             ;   in Loop: Header=BB4_6216 Depth=3
	s_andn2_saveexec_b64 s[28:29], s[30:31]
; %bb.7459:                             ;   in Loop: Header=BB4_6216 Depth=3
	v_or_b32_sdwa v48, v12, s68 dst_sel:DWORD dst_unused:UNUSED_PAD src0_sel:BYTE_3 src1_sel:DWORD
; %bb.7460:                             ;   in Loop: Header=BB4_6216 Depth=3
	s_or_b64 exec, exec, s[28:29]
	v_cmp_lt_u32_e32 vcc, s57, v2
	v_mov_b32_e32 v13, 0
	v_mov_b32_e32 v14, 0
	s_and_saveexec_b64 s[28:29], vcc
	s_cbranch_execz .LBB4_7466
; %bb.7461:                             ;   in Loop: Header=BB4_6216 Depth=3
	v_lshrrev_b32_e32 v12, 24, v2
	v_cmp_ne_u32_sdwa vcc, v2, s70 src0_sel:BYTE_3 src1_sel:DWORD
	v_bfrev_b32_e32 v14, 1
	s_and_saveexec_b64 s[30:31], vcc
	s_cbranch_execz .LBB4_7465
; %bb.7462:                             ;   in Loop: Header=BB4_6216 Depth=3
	v_bfe_u32 v49, v2, 24, 7
	v_cmp_ne_u32_e32 vcc, s68, v49
	v_mov_b32_e32 v14, 0x7f800001
	s_and_saveexec_b64 s[34:35], vcc
	s_cbranch_execz .LBB4_7464
; %bb.7463:                             ;   in Loop: Header=BB4_6216 Depth=3
	v_and_b32_e32 v14, 7, v12
	v_ffbh_u32_e32 v23, v14
	v_min_u32_e32 v23, 32, v23
	v_subrev_u32_e32 v27, 28, v23
	v_lshlrev_b64 v[52:53], v27, v[12:13]
	v_lshrrev_b32_e32 v22, 3, v49
	v_cmp_gt_u32_e32 vcc, 8, v49
	v_sub_u32_e32 v12, 29, v23
	v_and_b32_e32 v23, 7, v52
	v_cndmask_b32_e32 v12, v22, v12, vcc
	v_mov_b32_e32 v22, 24
	v_cndmask_b32_e32 v14, v14, v23, vcc
	v_lshlrev_b32_sdwa v2, v22, v2 dst_sel:DWORD dst_unused:UNUSED_PAD src0_sel:DWORD src1_sel:BYTE_3
	v_lshlrev_b32_e32 v14, 20, v14
	v_and_b32_e32 v2, 0x80000000, v2
	v_lshl_add_u32 v12, v12, 23, v5
	v_or3_b32 v14, v2, v12, v14
.LBB4_7464:                             ;   in Loop: Header=BB4_6216 Depth=3
	s_or_b64 exec, exec, s[34:35]
.LBB4_7465:                             ;   in Loop: Header=BB4_6216 Depth=3
	s_or_b64 exec, exec, s[30:31]
.LBB4_7466:                             ;   in Loop: Header=BB4_6216 Depth=3
	s_or_b64 exec, exec, s[28:29]
	v_cmp_lt_u32_e32 vcc, s57, v8
	s_and_saveexec_b64 s[28:29], vcc
	s_cbranch_execz .LBB4_7472
; %bb.7467:                             ;   in Loop: Header=BB4_6216 Depth=3
	v_lshrrev_b32_e32 v2, 24, v8
	v_cmp_ne_u32_e32 vcc, s70, v2
	v_bfrev_b32_e32 v13, 1
	s_and_saveexec_b64 s[30:31], vcc
	s_cbranch_execz .LBB4_7471
; %bb.7468:                             ;   in Loop: Header=BB4_6216 Depth=3
	v_bfe_u32 v12, v8, 24, 7
	v_cmp_ne_u32_e32 vcc, s68, v12
	v_mov_b32_e32 v13, 0x7f800001
	s_and_saveexec_b64 s[34:35], vcc
	s_cbranch_execz .LBB4_7470
; %bb.7469:                             ;   in Loop: Header=BB4_6216 Depth=3
	v_and_b32_e32 v22, 7, v2
	v_lshrrev_b32_e32 v23, 3, v12
	v_cmp_gt_u32_e32 vcc, 8, v12
	v_ffbh_u32_e32 v12, v22
	v_min_u32_e32 v27, 32, v12
	v_subrev_u32_e32 v12, 28, v27
	v_lshlrev_b64 v[12:13], v12, v[2:3]
	v_sub_u32_e32 v13, 29, v27
	v_and_b32_e32 v12, 7, v12
	v_cndmask_b32_e32 v13, v23, v13, vcc
	v_cndmask_b32_e32 v12, v22, v12, vcc
	v_lshlrev_b32_e32 v2, 24, v2
	v_lshlrev_b32_e32 v12, 20, v12
	v_and_b32_e32 v2, 0x80000000, v2
	v_lshl_add_u32 v13, v13, 23, v5
	v_or3_b32 v13, v2, v13, v12
.LBB4_7470:                             ;   in Loop: Header=BB4_6216 Depth=3
	s_or_b64 exec, exec, s[34:35]
.LBB4_7471:                             ;   in Loop: Header=BB4_6216 Depth=3
	s_or_b64 exec, exec, s[30:31]
.LBB4_7472:                             ;   in Loop: Header=BB4_6216 Depth=3
	s_or_b64 exec, exec, s[28:29]
	v_add_f32_e32 v12, v14, v13
	v_and_b32_e32 v2, 0x7f800000, v12
	v_cmp_ne_u64_e32 vcc, s[62:63], v[2:3]
                                        ; implicit-def: $vgpr49
	s_and_saveexec_b64 s[28:29], vcc
	s_xor_b64 s[30:31], exec, s[28:29]
	s_cbranch_execz .LBB4_7486
; %bb.7473:                             ;   in Loop: Header=BB4_6216 Depth=3
	v_and_b32_e32 v2, 0x7fffffff, v12
	v_cmp_gt_u64_e32 vcc, s[72:73], v[2:3]
	v_and_b32_sdwa v52, v12, s70 dst_sel:DWORD dst_unused:UNUSED_PAD src0_sel:BYTE_3 src1_sel:DWORD
                                        ; implicit-def: $vgpr49
	s_and_saveexec_b64 s[28:29], vcc
	s_xor_b64 s[34:35], exec, s[28:29]
	s_cbranch_execz .LBB4_7483
; %bb.7474:                             ;   in Loop: Header=BB4_6216 Depth=3
	v_mov_b32_e32 v49, 0
	v_cmp_ne_u32_e32 vcc, 0, v12
	s_and_saveexec_b64 s[36:37], vcc
	s_cbranch_execz .LBB4_7482
; %bb.7475:                             ;   in Loop: Header=BB4_6216 Depth=3
	v_bfe_u32 v49, v12, 23, 8
	v_and_b32_e32 v2, 0x7fffff, v12
	v_cmp_gt_u32_e64 s[28:29], s71, v49
	v_sub_u32_e32 v12, 0x79, v49
	v_cmp_eq_u32_e32 vcc, 0, v49
	v_cndmask_b32_e64 v12, 0, v12, s[28:29]
	v_mov_b32_e32 v14, 0x78
	v_cndmask_b32_e32 v53, v12, v14, vcc
	v_or_b32_e32 v13, 0x800000, v2
	v_add_u32_e32 v12, 20, v53
	v_cndmask_b32_e32 v2, v13, v2, vcc
	v_lshlrev_b64 v[12:13], v12, -1
	v_add_u32_e32 v14, 19, v53
	v_lshlrev_b64 v[41:42], v14, 1
	v_bfi_b32 v13, v13, 0, 0
	v_bfi_b32 v12, v12, 0, v2
	v_cmp_eq_u64_e64 s[28:29], v[12:13], v[41:42]
	v_lshrrev_b64 v[12:13], v53, v[2:3]
	v_mov_b32_e32 v14, v13
	v_mov_b32_e32 v13, v12
	s_and_saveexec_b64 s[38:39], s[28:29]
; %bb.7476:                             ;   in Loop: Header=BB4_6216 Depth=3
	v_bfe_u32 v2, v12, 20, 1
	v_add_co_u32_e64 v2, s[28:29], v12, v2
	v_add_co_u32_e64 v13, s[28:29], -1, v2
; %bb.7477:                             ;   in Loop: Header=BB4_6216 Depth=3
	s_or_b64 exec, exec, s[38:39]
	v_add_u32_e32 v2, 0xffffff81, v49
	v_mov_b32_e32 v14, 0xffffff82
	v_cndmask_b32_e32 v2, v2, v14, vcc
	v_lshrrev_b32_e32 v14, 23, v12
	v_add3_u32 v53, v53, v2, v14
	v_add_u32_e32 v49, 6, v53
	v_and_b32_e32 v2, 0xfffff, v13
	v_add_u32_e32 v2, v2, v12
	v_cmp_ne_u32_e32 vcc, 0, v49
                                        ; implicit-def: $vgpr12_vgpr13
                                        ; implicit-def: $vgpr14
	s_and_saveexec_b64 s[28:29], vcc
	s_xor_b64 s[28:29], exec, s[28:29]
; %bb.7478:                             ;   in Loop: Header=BB4_6216 Depth=3
	v_cmp_lt_u64_e32 vcc, s[74:75], v[2:3]
	v_add_u32_e32 v12, 7, v53
	v_cndmask_b32_e32 v14, v49, v12, vcc
	v_cndmask_b32_e64 v12, 0, 1, vcc
	v_lshrrev_b64 v[12:13], v12, v[2:3]
; %bb.7479:                             ;   in Loop: Header=BB4_6216 Depth=3
	s_andn2_saveexec_b64 s[28:29], s[28:29]
; %bb.7480:                             ;   in Loop: Header=BB4_6216 Depth=3
	v_mov_b32_e32 v13, v3
	v_mov_b32_e32 v12, v2
	v_bfe_u32 v14, v2, 23, 1
; %bb.7481:                             ;   in Loop: Header=BB4_6216 Depth=3
	s_or_b64 exec, exec, s[28:29]
	v_lshrrev_b64 v[12:13], 20, v[12:13]
	v_cmp_gt_i32_e32 vcc, 16, v14
	v_cndmask_b32_e32 v13, 0, v13, vcc
	v_cndmask_b32_e32 v12, 7, v12, vcc
	v_min_i32_e32 v2, 15, v14
	v_cmp_eq_u64_e64 s[28:29], 0, v[12:13]
	v_lshlrev_b32_e32 v2, 3, v2
	v_cmp_eq_u32_e32 vcc, 0, v14
	v_and_b32_e32 v2, 0xf8, v2
	v_and_or_b32 v2, v12, 7, v2
	s_and_b64 s[28:29], vcc, s[28:29]
	v_cndmask_b32_e64 v2, v2, 0, s[28:29]
	v_or_b32_e32 v49, v2, v52
.LBB4_7482:                             ;   in Loop: Header=BB4_6216 Depth=3
	s_or_b64 exec, exec, s[36:37]
                                        ; implicit-def: $vgpr52
.LBB4_7483:                             ;   in Loop: Header=BB4_6216 Depth=3
	s_andn2_saveexec_b64 s[28:29], s[34:35]
; %bb.7484:                             ;   in Loop: Header=BB4_6216 Depth=3
	v_or_b32_e32 v49, 0x7e, v52
; %bb.7485:                             ;   in Loop: Header=BB4_6216 Depth=3
	s_or_b64 exec, exec, s[28:29]
                                        ; implicit-def: $vgpr12
.LBB4_7486:                             ;   in Loop: Header=BB4_6216 Depth=3
	s_andn2_saveexec_b64 s[28:29], s[30:31]
; %bb.7487:                             ;   in Loop: Header=BB4_6216 Depth=3
	v_or_b32_sdwa v49, v12, s68 dst_sel:DWORD dst_unused:UNUSED_PAD src0_sel:BYTE_3 src1_sel:DWORD
; %bb.7488:                             ;   in Loop: Header=BB4_6216 Depth=3
	s_or_b64 exec, exec, s[28:29]
	buffer_load_dword v2, off, s[0:3], s33 offset:220 ; 4-byte Folded Reload
	v_lshlrev_b32_e32 v12, 24, v40
	v_cmp_ne_u32_e32 vcc, 0, v20
	v_mov_b32_e32 v13, 0
	s_waitcnt vmcnt(0)
	v_lshl_or_b32 v38, v2, 8, v20
	v_lshlrev_b32_e32 v2, 16, v31
	v_or3_b32 v2, v2, v12, v38
	v_mov_b32_e32 v12, 0
	s_and_saveexec_b64 s[28:29], vcc
	s_cbranch_execz .LBB4_7494
; %bb.7489:                             ;   in Loop: Header=BB4_6216 Depth=3
	v_cmp_ne_u32_e32 vcc, s70, v20
	v_bfrev_b32_e32 v12, 1
	s_and_saveexec_b64 s[30:31], vcc
	s_cbranch_execz .LBB4_7493
; %bb.7490:                             ;   in Loop: Header=BB4_6216 Depth=3
	v_and_b32_e32 v14, 0x7f, v20
	v_cmp_ne_u32_e32 vcc, s68, v14
	v_mov_b32_e32 v12, 0x7f800001
	s_and_saveexec_b64 s[34:35], vcc
	s_cbranch_execz .LBB4_7492
; %bb.7491:                             ;   in Loop: Header=BB4_6216 Depth=3
	v_and_b32_e32 v12, 7, v20
	v_ffbh_u32_e32 v12, v12
	v_min_u32_e32 v12, 32, v12
	v_lshrrev_b32_e32 v20, 3, v14
	v_cmp_gt_u32_e32 vcc, 8, v14
	v_subrev_u32_e32 v14, 28, v12
	v_cndmask_b32_e32 v14, 0, v14, vcc
	v_lshlrev_b64 v[52:53], v14, v[2:3]
	v_sub_u32_e32 v12, 29, v12
	v_cndmask_b32_e32 v12, v20, v12, vcc
	v_lshlrev_b32_e32 v14, 20, v52
	v_lshlrev_b32_e32 v20, 24, v2
	v_and_b32_e32 v14, 0x700000, v14
	v_and_b32_e32 v20, 0x80000000, v20
	v_lshl_add_u32 v12, v12, 23, v5
	v_or3_b32 v12, v20, v12, v14
.LBB4_7492:                             ;   in Loop: Header=BB4_6216 Depth=3
	s_or_b64 exec, exec, s[34:35]
.LBB4_7493:                             ;   in Loop: Header=BB4_6216 Depth=3
	s_or_b64 exec, exec, s[30:31]
.LBB4_7494:                             ;   in Loop: Header=BB4_6216 Depth=3
	s_or_b64 exec, exec, s[28:29]
	v_cmp_ne_u16_sdwa vcc, v9, v3 src0_sel:BYTE_0 src1_sel:DWORD
	s_and_saveexec_b64 s[28:29], vcc
	s_cbranch_execz .LBB4_7500
; %bb.7495:                             ;   in Loop: Header=BB4_6216 Depth=3
	v_cmp_ne_u16_sdwa vcc, v9, s70 src0_sel:BYTE_0 src1_sel:DWORD
	v_bfrev_b32_e32 v13, 1
	s_and_saveexec_b64 s[30:31], vcc
	s_cbranch_execz .LBB4_7499
; %bb.7496:                             ;   in Loop: Header=BB4_6216 Depth=3
	v_and_b32_e32 v14, 0x7f, v9
	v_cmp_ne_u32_e32 vcc, s68, v14
	v_mov_b32_e32 v13, 0x7f800001
	s_and_saveexec_b64 s[34:35], vcc
	s_cbranch_execz .LBB4_7498
; %bb.7497:                             ;   in Loop: Header=BB4_6216 Depth=3
	v_and_b32_e32 v13, 7, v9
	v_ffbh_u32_e32 v13, v13
	v_min_u32_e32 v13, 32, v13
	v_lshrrev_b32_e32 v20, 3, v14
	v_cmp_gt_u32_e32 vcc, 8, v14
	v_subrev_u32_e32 v14, 28, v13
	v_sub_u32_e32 v13, 29, v13
	v_mov_b32_e32 v52, v9
	v_mov_b32_e32 v53, v3
	v_cndmask_b32_e32 v20, v20, v13, vcc
	v_cndmask_b32_e32 v13, 0, v14, vcc
	v_lshlrev_b64 v[13:14], v13, v[52:53]
	v_lshlrev_b32_e32 v14, 24, v52
	v_lshlrev_b32_e32 v13, 20, v13
	v_and_b32_e32 v13, 0x700000, v13
	v_and_b32_e32 v14, 0x80000000, v14
	v_lshl_add_u32 v20, v20, 23, v5
	v_or3_b32 v13, v14, v20, v13
.LBB4_7498:                             ;   in Loop: Header=BB4_6216 Depth=3
	s_or_b64 exec, exec, s[34:35]
.LBB4_7499:                             ;   in Loop: Header=BB4_6216 Depth=3
	s_or_b64 exec, exec, s[30:31]
.LBB4_7500:                             ;   in Loop: Header=BB4_6216 Depth=3
	s_or_b64 exec, exec, s[28:29]
	v_add_f32_e32 v12, v12, v13
	v_and_b32_e32 v13, 0x7f800000, v12
	v_mov_b32_e32 v14, v3
	v_cmp_ne_u64_e32 vcc, s[62:63], v[13:14]
                                        ; implicit-def: $vgpr20
	s_and_saveexec_b64 s[28:29], vcc
	s_xor_b64 s[30:31], exec, s[28:29]
	s_cbranch_execz .LBB4_7514
; %bb.7501:                             ;   in Loop: Header=BB4_6216 Depth=3
	v_and_b32_e32 v13, 0x7fffffff, v12
	v_mov_b32_e32 v14, v3
	v_cmp_gt_u64_e32 vcc, s[72:73], v[13:14]
	v_and_b32_sdwa v52, v12, s70 dst_sel:DWORD dst_unused:UNUSED_PAD src0_sel:BYTE_3 src1_sel:DWORD
                                        ; implicit-def: $vgpr20
	s_and_saveexec_b64 s[28:29], vcc
	s_xor_b64 s[34:35], exec, s[28:29]
	s_cbranch_execz .LBB4_7511
; %bb.7502:                             ;   in Loop: Header=BB4_6216 Depth=3
	v_mov_b32_e32 v20, 0
	v_cmp_ne_u32_e32 vcc, 0, v12
	s_and_saveexec_b64 s[36:37], vcc
	s_cbranch_execz .LBB4_7510
; %bb.7503:                             ;   in Loop: Header=BB4_6216 Depth=3
	v_bfe_u32 v20, v12, 23, 8
	v_and_b32_e32 v13, 0x7fffff, v12
	v_cmp_gt_u32_e64 s[28:29], s71, v20
	v_sub_u32_e32 v12, 0x79, v20
	v_cmp_eq_u32_e32 vcc, 0, v20
	v_cndmask_b32_e64 v12, 0, v12, s[28:29]
	v_mov_b32_e32 v22, 0x78
	v_or_b32_e32 v14, 0x800000, v13
	v_cndmask_b32_e32 v53, v12, v22, vcc
	v_cndmask_b32_e32 v12, v14, v13, vcc
	v_add_u32_e32 v14, 20, v53
	v_lshlrev_b64 v[40:41], v14, -1
	v_mov_b32_e32 v13, v3
	v_add_u32_e32 v14, 19, v53
	v_bfi_b32 v40, v40, 0, v12
	v_lshlrev_b64 v[42:43], v14, 1
	v_lshrrev_b64 v[12:13], v53, v[12:13]
	v_bfi_b32 v41, v41, 0, 0
	v_cmp_eq_u64_e64 s[28:29], v[40:41], v[42:43]
	v_mov_b32_e32 v14, v13
	v_mov_b32_e32 v13, v12
	s_and_saveexec_b64 s[38:39], s[28:29]
; %bb.7504:                             ;   in Loop: Header=BB4_6216 Depth=3
	v_bfe_u32 v13, v12, 20, 1
	v_add_co_u32_e64 v13, s[28:29], v12, v13
	v_add_co_u32_e64 v13, s[28:29], -1, v13
; %bb.7505:                             ;   in Loop: Header=BB4_6216 Depth=3
	s_or_b64 exec, exec, s[38:39]
	v_add_u32_e32 v14, 0xffffff81, v20
	v_mov_b32_e32 v20, 0xffffff82
	v_cndmask_b32_e32 v14, v14, v20, vcc
	v_lshrrev_b32_e32 v20, 23, v12
	v_add3_u32 v53, v53, v14, v20
	v_add_u32_e32 v20, 6, v53
	v_and_b32_e32 v13, 0xfffff, v13
	v_add_u32_e32 v12, v13, v12
	v_mov_b32_e32 v13, v3
	v_cmp_ne_u32_e32 vcc, 0, v20
                                        ; implicit-def: $vgpr14
	s_and_saveexec_b64 s[28:29], vcc
	s_xor_b64 s[28:29], exec, s[28:29]
; %bb.7506:                             ;   in Loop: Header=BB4_6216 Depth=3
	v_cmp_lt_u64_e32 vcc, s[74:75], v[12:13]
	v_add_u32_e32 v14, 7, v53
	v_cndmask_b32_e32 v14, v20, v14, vcc
	v_cndmask_b32_e64 v20, 0, 1, vcc
	v_lshrrev_b64 v[12:13], v20, v[12:13]
; %bb.7507:                             ;   in Loop: Header=BB4_6216 Depth=3
	s_andn2_saveexec_b64 s[28:29], s[28:29]
; %bb.7508:                             ;   in Loop: Header=BB4_6216 Depth=3
	v_bfe_u32 v14, v12, 23, 1
; %bb.7509:                             ;   in Loop: Header=BB4_6216 Depth=3
	s_or_b64 exec, exec, s[28:29]
	v_lshrrev_b64 v[12:13], 20, v[12:13]
	v_cmp_gt_i32_e32 vcc, 16, v14
	v_cndmask_b32_e32 v13, 0, v13, vcc
	v_cndmask_b32_e32 v12, 7, v12, vcc
	v_cmp_eq_u64_e64 s[28:29], 0, v[12:13]
	v_min_i32_e32 v13, 15, v14
	v_lshlrev_b32_e32 v13, 3, v13
	v_cmp_eq_u32_e32 vcc, 0, v14
	v_and_b32_e32 v13, 0xf8, v13
	v_and_or_b32 v12, v12, 7, v13
	s_and_b64 s[28:29], vcc, s[28:29]
	v_cndmask_b32_e64 v12, v12, 0, s[28:29]
	v_or_b32_e32 v20, v12, v52
.LBB4_7510:                             ;   in Loop: Header=BB4_6216 Depth=3
	s_or_b64 exec, exec, s[36:37]
                                        ; implicit-def: $vgpr52
.LBB4_7511:                             ;   in Loop: Header=BB4_6216 Depth=3
	s_andn2_saveexec_b64 s[28:29], s[34:35]
; %bb.7512:                             ;   in Loop: Header=BB4_6216 Depth=3
	v_or_b32_e32 v20, 0x7e, v52
; %bb.7513:                             ;   in Loop: Header=BB4_6216 Depth=3
	s_or_b64 exec, exec, s[28:29]
                                        ; implicit-def: $vgpr12
.LBB4_7514:                             ;   in Loop: Header=BB4_6216 Depth=3
	s_andn2_saveexec_b64 s[28:29], s[30:31]
; %bb.7515:                             ;   in Loop: Header=BB4_6216 Depth=3
	v_or_b32_sdwa v20, v12, s68 dst_sel:DWORD dst_unused:UNUSED_PAD src0_sel:BYTE_3 src1_sel:DWORD
; %bb.7516:                             ;   in Loop: Header=BB4_6216 Depth=3
	s_or_b64 exec, exec, s[28:29]
	v_lshrrev_b16_e32 v12, 8, v38
	v_cmp_ne_u16_e32 vcc, 0, v12
	v_mov_b32_e32 v13, 0
	v_mov_b32_e32 v14, 0
	s_and_saveexec_b64 s[28:29], vcc
	s_cbranch_execz .LBB4_7522
; %bb.7517:                             ;   in Loop: Header=BB4_6216 Depth=3
	v_cmp_ne_u16_e32 vcc, s70, v12
	v_bfrev_b32_e32 v14, 1
	s_and_saveexec_b64 s[30:31], vcc
	s_cbranch_execz .LBB4_7521
; %bb.7518:                             ;   in Loop: Header=BB4_6216 Depth=3
	v_and_b32_e32 v52, 0x7f, v12
	v_cmp_ne_u32_e32 vcc, s68, v52
	v_mov_b32_e32 v14, 0x7f800001
	s_and_saveexec_b64 s[34:35], vcc
	s_cbranch_execz .LBB4_7520
; %bb.7519:                             ;   in Loop: Header=BB4_6216 Depth=3
	v_and_b32_e32 v14, 7, v12
	v_ffbh_u32_e32 v23, v14
	v_min_u32_e32 v23, 32, v23
	v_subrev_u32_e32 v27, 28, v23
	v_lshrrev_b32_e32 v22, 3, v52
	v_cmp_gt_u32_e32 vcc, 8, v52
	v_lshlrev_b64 v[52:53], v27, v[12:13]
	v_sub_u32_e32 v12, 29, v23
	v_and_b32_e32 v23, 7, v52
	v_cndmask_b32_e32 v12, v22, v12, vcc
	v_cndmask_b32_e32 v14, v14, v23, vcc
	v_lshlrev_b32_e32 v22, 16, v38
	v_lshlrev_b32_e32 v14, 20, v14
	v_and_b32_e32 v22, 0x80000000, v22
	v_lshl_add_u32 v12, v12, 23, v5
	v_or3_b32 v14, v22, v12, v14
.LBB4_7520:                             ;   in Loop: Header=BB4_6216 Depth=3
	s_or_b64 exec, exec, s[34:35]
.LBB4_7521:                             ;   in Loop: Header=BB4_6216 Depth=3
	s_or_b64 exec, exec, s[30:31]
.LBB4_7522:                             ;   in Loop: Header=BB4_6216 Depth=3
	s_or_b64 exec, exec, s[28:29]
	v_lshrrev_b16_e32 v12, 8, v9
	v_cmp_ne_u16_e32 vcc, 0, v12
	s_and_saveexec_b64 s[28:29], vcc
	s_cbranch_execz .LBB4_7528
; %bb.7523:                             ;   in Loop: Header=BB4_6216 Depth=3
	v_cmp_ne_u16_e32 vcc, s70, v12
	v_bfrev_b32_e32 v13, 1
	s_and_saveexec_b64 s[30:31], vcc
	s_cbranch_execz .LBB4_7527
; %bb.7524:                             ;   in Loop: Header=BB4_6216 Depth=3
	v_and_b32_e32 v38, 0x7f, v12
	v_cmp_ne_u32_e32 vcc, s68, v38
	v_mov_b32_e32 v13, 0x7f800001
	s_and_saveexec_b64 s[34:35], vcc
	s_cbranch_execz .LBB4_7526
; %bb.7525:                             ;   in Loop: Header=BB4_6216 Depth=3
	v_and_b32_e32 v22, 7, v12
	v_ffbh_u32_e32 v13, v22
	v_min_u32_e32 v27, 32, v13
	v_subrev_u32_e32 v13, 28, v27
	v_lshlrev_b64 v[12:13], v13, v[12:13]
	v_lshrrev_b32_e32 v23, 3, v38
	v_cmp_gt_u32_e32 vcc, 8, v38
	v_sub_u32_e32 v13, 29, v27
	v_and_b32_e32 v12, 7, v12
	v_cndmask_b32_e32 v13, v23, v13, vcc
	v_cndmask_b32_e32 v12, v22, v12, vcc
	v_lshlrev_b32_e32 v22, 16, v9
	v_lshlrev_b32_e32 v12, 20, v12
	v_and_b32_e32 v22, 0x80000000, v22
	v_lshl_add_u32 v13, v13, 23, v5
	v_or3_b32 v13, v22, v13, v12
.LBB4_7526:                             ;   in Loop: Header=BB4_6216 Depth=3
	s_or_b64 exec, exec, s[34:35]
.LBB4_7527:                             ;   in Loop: Header=BB4_6216 Depth=3
	s_or_b64 exec, exec, s[30:31]
.LBB4_7528:                             ;   in Loop: Header=BB4_6216 Depth=3
	s_or_b64 exec, exec, s[28:29]
	v_add_f32_e32 v12, v14, v13
	v_and_b32_e32 v13, 0x7f800000, v12
	v_mov_b32_e32 v14, v3
	v_cmp_ne_u64_e32 vcc, s[62:63], v[13:14]
                                        ; implicit-def: $vgpr38
	s_and_saveexec_b64 s[28:29], vcc
	s_xor_b64 s[30:31], exec, s[28:29]
	s_cbranch_execz .LBB4_7542
; %bb.7529:                             ;   in Loop: Header=BB4_6216 Depth=3
	v_and_b32_e32 v13, 0x7fffffff, v12
	v_mov_b32_e32 v14, v3
	v_cmp_gt_u64_e32 vcc, s[72:73], v[13:14]
	v_and_b32_sdwa v52, v12, s70 dst_sel:DWORD dst_unused:UNUSED_PAD src0_sel:BYTE_3 src1_sel:DWORD
                                        ; implicit-def: $vgpr38
	s_and_saveexec_b64 s[28:29], vcc
	s_xor_b64 s[34:35], exec, s[28:29]
	s_cbranch_execz .LBB4_7539
; %bb.7530:                             ;   in Loop: Header=BB4_6216 Depth=3
	v_mov_b32_e32 v38, 0
	v_cmp_ne_u32_e32 vcc, 0, v12
	s_and_saveexec_b64 s[36:37], vcc
	s_cbranch_execz .LBB4_7538
; %bb.7531:                             ;   in Loop: Header=BB4_6216 Depth=3
	v_bfe_u32 v38, v12, 23, 8
	v_and_b32_e32 v13, 0x7fffff, v12
	v_cmp_gt_u32_e64 s[28:29], s71, v38
	v_sub_u32_e32 v12, 0x79, v38
	v_cmp_eq_u32_e32 vcc, 0, v38
	v_cndmask_b32_e64 v12, 0, v12, s[28:29]
	v_mov_b32_e32 v22, 0x78
	v_or_b32_e32 v14, 0x800000, v13
	v_cndmask_b32_e32 v53, v12, v22, vcc
	v_cndmask_b32_e32 v12, v14, v13, vcc
	v_add_u32_e32 v14, 20, v53
	v_lshlrev_b64 v[40:41], v14, -1
	v_mov_b32_e32 v13, v3
	v_add_u32_e32 v14, 19, v53
	v_bfi_b32 v40, v40, 0, v12
	v_lshlrev_b64 v[42:43], v14, 1
	v_lshrrev_b64 v[12:13], v53, v[12:13]
	v_bfi_b32 v41, v41, 0, 0
	v_cmp_eq_u64_e64 s[28:29], v[40:41], v[42:43]
	v_mov_b32_e32 v14, v13
	v_mov_b32_e32 v13, v12
	s_and_saveexec_b64 s[38:39], s[28:29]
; %bb.7532:                             ;   in Loop: Header=BB4_6216 Depth=3
	v_bfe_u32 v13, v12, 20, 1
	v_add_co_u32_e64 v13, s[28:29], v12, v13
	v_add_co_u32_e64 v13, s[28:29], -1, v13
; %bb.7533:                             ;   in Loop: Header=BB4_6216 Depth=3
	s_or_b64 exec, exec, s[38:39]
	v_add_u32_e32 v14, 0xffffff81, v38
	v_mov_b32_e32 v22, 0xffffff82
	v_cndmask_b32_e32 v14, v14, v22, vcc
	v_lshrrev_b32_e32 v22, 23, v12
	v_add3_u32 v53, v53, v14, v22
	v_add_u32_e32 v38, 6, v53
	v_and_b32_e32 v13, 0xfffff, v13
	v_add_u32_e32 v12, v13, v12
	v_mov_b32_e32 v13, v3
	v_cmp_ne_u32_e32 vcc, 0, v38
                                        ; implicit-def: $vgpr14
	s_and_saveexec_b64 s[28:29], vcc
	s_xor_b64 s[28:29], exec, s[28:29]
; %bb.7534:                             ;   in Loop: Header=BB4_6216 Depth=3
	v_cmp_lt_u64_e32 vcc, s[74:75], v[12:13]
	v_add_u32_e32 v14, 7, v53
	v_cndmask_b32_e64 v22, 0, 1, vcc
	v_lshrrev_b64 v[12:13], v22, v[12:13]
	v_cndmask_b32_e32 v14, v38, v14, vcc
; %bb.7535:                             ;   in Loop: Header=BB4_6216 Depth=3
	s_andn2_saveexec_b64 s[28:29], s[28:29]
; %bb.7536:                             ;   in Loop: Header=BB4_6216 Depth=3
	v_bfe_u32 v14, v12, 23, 1
; %bb.7537:                             ;   in Loop: Header=BB4_6216 Depth=3
	s_or_b64 exec, exec, s[28:29]
	v_lshrrev_b64 v[12:13], 20, v[12:13]
	v_cmp_gt_i32_e32 vcc, 16, v14
	v_cndmask_b32_e32 v13, 0, v13, vcc
	v_cndmask_b32_e32 v12, 7, v12, vcc
	v_cmp_eq_u64_e64 s[28:29], 0, v[12:13]
	v_min_i32_e32 v13, 15, v14
	v_lshlrev_b32_e32 v13, 3, v13
	v_cmp_eq_u32_e32 vcc, 0, v14
	v_and_b32_e32 v13, 0xf8, v13
	v_and_or_b32 v12, v12, 7, v13
	s_and_b64 s[28:29], vcc, s[28:29]
	v_cndmask_b32_e64 v12, v12, 0, s[28:29]
	v_or_b32_e32 v38, v12, v52
.LBB4_7538:                             ;   in Loop: Header=BB4_6216 Depth=3
	s_or_b64 exec, exec, s[36:37]
                                        ; implicit-def: $vgpr52
.LBB4_7539:                             ;   in Loop: Header=BB4_6216 Depth=3
	s_andn2_saveexec_b64 s[28:29], s[34:35]
; %bb.7540:                             ;   in Loop: Header=BB4_6216 Depth=3
	v_or_b32_e32 v38, 0x7e, v52
; %bb.7541:                             ;   in Loop: Header=BB4_6216 Depth=3
	s_or_b64 exec, exec, s[28:29]
                                        ; implicit-def: $vgpr12
.LBB4_7542:                             ;   in Loop: Header=BB4_6216 Depth=3
	s_andn2_saveexec_b64 s[28:29], s[30:31]
; %bb.7543:                             ;   in Loop: Header=BB4_6216 Depth=3
	v_or_b32_sdwa v38, v12, s68 dst_sel:DWORD dst_unused:UNUSED_PAD src0_sel:BYTE_3 src1_sel:DWORD
; %bb.7544:                             ;   in Loop: Header=BB4_6216 Depth=3
	s_or_b64 exec, exec, s[28:29]
	v_lshrrev_b32_e32 v12, 16, v2
	v_cmp_ne_u16_sdwa vcc, v12, v3 src0_sel:BYTE_0 src1_sel:DWORD
	v_mov_b32_e32 v13, 0
	v_mov_b32_e32 v14, 0
	s_and_saveexec_b64 s[28:29], vcc
	s_cbranch_execz .LBB4_7550
; %bb.7545:                             ;   in Loop: Header=BB4_6216 Depth=3
	v_cmp_ne_u16_sdwa vcc, v12, s70 src0_sel:BYTE_0 src1_sel:DWORD
	v_bfrev_b32_e32 v14, 1
	s_and_saveexec_b64 s[30:31], vcc
	s_cbranch_execz .LBB4_7549
; %bb.7546:                             ;   in Loop: Header=BB4_6216 Depth=3
	v_bfe_u32 v52, v2, 16, 7
	v_cmp_ne_u32_e32 vcc, s68, v52
	v_mov_b32_e32 v14, 0x7f800001
	s_and_saveexec_b64 s[34:35], vcc
	s_cbranch_execz .LBB4_7548
; %bb.7547:                             ;   in Loop: Header=BB4_6216 Depth=3
	v_and_b32_e32 v14, 7, v12
	v_ffbh_u32_e32 v23, v14
	v_min_u32_e32 v23, 32, v23
	v_subrev_u32_e32 v27, 28, v23
	v_lshrrev_b32_e32 v22, 3, v52
	v_cmp_gt_u32_e32 vcc, 8, v52
	v_lshlrev_b64 v[52:53], v27, v[12:13]
	v_sub_u32_e32 v23, 29, v23
	v_and_b32_e32 v27, 7, v52
	v_cndmask_b32_e32 v22, v22, v23, vcc
	v_cndmask_b32_e32 v14, v14, v27, vcc
	v_lshlrev_b32_e32 v12, 24, v12
	v_lshlrev_b32_e32 v14, 20, v14
	v_and_b32_e32 v12, 0x80000000, v12
	v_lshl_add_u32 v22, v22, 23, v5
	v_or3_b32 v14, v12, v22, v14
.LBB4_7548:                             ;   in Loop: Header=BB4_6216 Depth=3
	s_or_b64 exec, exec, s[34:35]
.LBB4_7549:                             ;   in Loop: Header=BB4_6216 Depth=3
	s_or_b64 exec, exec, s[30:31]
.LBB4_7550:                             ;   in Loop: Header=BB4_6216 Depth=3
	s_or_b64 exec, exec, s[28:29]
	v_lshrrev_b32_e32 v12, 16, v9
	v_cmp_ne_u16_sdwa vcc, v12, v3 src0_sel:BYTE_0 src1_sel:DWORD
	s_and_saveexec_b64 s[28:29], vcc
	s_cbranch_execz .LBB4_7556
; %bb.7551:                             ;   in Loop: Header=BB4_6216 Depth=3
	v_cmp_ne_u16_sdwa vcc, v12, s70 src0_sel:BYTE_0 src1_sel:DWORD
	v_bfrev_b32_e32 v13, 1
	s_and_saveexec_b64 s[30:31], vcc
	s_cbranch_execz .LBB4_7555
; %bb.7552:                             ;   in Loop: Header=BB4_6216 Depth=3
	v_bfe_u32 v52, v9, 16, 7
	v_cmp_ne_u32_e32 vcc, s68, v52
	v_mov_b32_e32 v13, 0x7f800001
	s_and_saveexec_b64 s[34:35], vcc
	s_cbranch_execz .LBB4_7554
; %bb.7553:                             ;   in Loop: Header=BB4_6216 Depth=3
	v_and_b32_e32 v22, 7, v12
	v_ffbh_u32_e32 v13, v22
	v_min_u32_e32 v27, 32, v13
	v_subrev_u32_e32 v13, 28, v27
	v_lshlrev_b64 v[12:13], v13, v[12:13]
	v_lshrrev_b32_e32 v23, 3, v52
	v_cmp_gt_u32_e32 vcc, 8, v52
	v_sub_u32_e32 v13, 29, v27
	v_and_b32_e32 v12, 7, v12
	v_cndmask_b32_e32 v13, v23, v13, vcc
	v_cndmask_b32_e32 v12, v22, v12, vcc
	v_lshlrev_b32_e32 v22, 8, v9
	v_lshlrev_b32_e32 v12, 20, v12
	v_and_b32_e32 v22, 0x80000000, v22
	v_lshl_add_u32 v13, v13, 23, v5
	v_or3_b32 v13, v22, v13, v12
.LBB4_7554:                             ;   in Loop: Header=BB4_6216 Depth=3
	s_or_b64 exec, exec, s[34:35]
.LBB4_7555:                             ;   in Loop: Header=BB4_6216 Depth=3
	s_or_b64 exec, exec, s[30:31]
.LBB4_7556:                             ;   in Loop: Header=BB4_6216 Depth=3
	s_or_b64 exec, exec, s[28:29]
	v_add_f32_e32 v12, v14, v13
	v_and_b32_e32 v13, 0x7f800000, v12
	v_mov_b32_e32 v14, v3
	v_cmp_ne_u64_e32 vcc, s[62:63], v[13:14]
                                        ; implicit-def: $vgpr14
	s_and_saveexec_b64 s[28:29], vcc
	s_xor_b64 s[30:31], exec, s[28:29]
	s_cbranch_execz .LBB4_7570
; %bb.7557:                             ;   in Loop: Header=BB4_6216 Depth=3
	v_and_b32_e32 v13, 0x7fffffff, v12
	v_mov_b32_e32 v14, v3
	v_cmp_gt_u64_e32 vcc, s[72:73], v[13:14]
	v_and_b32_sdwa v52, v12, s70 dst_sel:DWORD dst_unused:UNUSED_PAD src0_sel:BYTE_3 src1_sel:DWORD
                                        ; implicit-def: $vgpr14
	s_and_saveexec_b64 s[28:29], vcc
	s_xor_b64 s[34:35], exec, s[28:29]
	s_cbranch_execz .LBB4_7567
; %bb.7558:                             ;   in Loop: Header=BB4_6216 Depth=3
	v_mov_b32_e32 v14, 0
	v_cmp_ne_u32_e32 vcc, 0, v12
	s_and_saveexec_b64 s[36:37], vcc
	s_cbranch_execz .LBB4_7566
; %bb.7559:                             ;   in Loop: Header=BB4_6216 Depth=3
	v_bfe_u32 v53, v12, 23, 8
	v_and_b32_e32 v13, 0x7fffff, v12
	v_cmp_gt_u32_e64 s[28:29], s71, v53
	v_sub_u32_e32 v12, 0x79, v53
	v_cmp_eq_u32_e32 vcc, 0, v53
	v_cndmask_b32_e64 v12, 0, v12, s[28:29]
	v_mov_b32_e32 v22, 0x78
	v_or_b32_e32 v14, 0x800000, v13
	v_cndmask_b32_e32 v54, v12, v22, vcc
	v_cndmask_b32_e32 v12, v14, v13, vcc
	v_add_u32_e32 v14, 20, v54
	v_lshlrev_b64 v[40:41], v14, -1
	v_mov_b32_e32 v13, v3
	v_add_u32_e32 v14, 19, v54
	v_bfi_b32 v40, v40, 0, v12
	v_lshlrev_b64 v[42:43], v14, 1
	v_lshrrev_b64 v[12:13], v54, v[12:13]
	v_bfi_b32 v41, v41, 0, 0
	v_cmp_eq_u64_e64 s[28:29], v[40:41], v[42:43]
	v_mov_b32_e32 v14, v13
	v_mov_b32_e32 v13, v12
	s_and_saveexec_b64 s[38:39], s[28:29]
; %bb.7560:                             ;   in Loop: Header=BB4_6216 Depth=3
	v_bfe_u32 v13, v12, 20, 1
	v_add_co_u32_e64 v13, s[28:29], v12, v13
	v_add_co_u32_e64 v13, s[28:29], -1, v13
; %bb.7561:                             ;   in Loop: Header=BB4_6216 Depth=3
	s_or_b64 exec, exec, s[38:39]
	v_add_u32_e32 v14, 0xffffff81, v53
	v_mov_b32_e32 v22, 0xffffff82
	v_cndmask_b32_e32 v14, v14, v22, vcc
	v_lshrrev_b32_e32 v22, 23, v12
	v_add3_u32 v54, v54, v14, v22
	v_add_u32_e32 v53, 6, v54
	v_and_b32_e32 v13, 0xfffff, v13
	v_add_u32_e32 v12, v13, v12
	v_mov_b32_e32 v13, v3
	v_cmp_ne_u32_e32 vcc, 0, v53
                                        ; implicit-def: $vgpr14
	s_and_saveexec_b64 s[28:29], vcc
	s_xor_b64 s[28:29], exec, s[28:29]
; %bb.7562:                             ;   in Loop: Header=BB4_6216 Depth=3
	v_cmp_lt_u64_e32 vcc, s[74:75], v[12:13]
	v_add_u32_e32 v14, 7, v54
	v_cndmask_b32_e64 v22, 0, 1, vcc
	v_lshrrev_b64 v[12:13], v22, v[12:13]
	v_cndmask_b32_e32 v14, v53, v14, vcc
; %bb.7563:                             ;   in Loop: Header=BB4_6216 Depth=3
	s_andn2_saveexec_b64 s[28:29], s[28:29]
; %bb.7564:                             ;   in Loop: Header=BB4_6216 Depth=3
	v_bfe_u32 v14, v12, 23, 1
; %bb.7565:                             ;   in Loop: Header=BB4_6216 Depth=3
	s_or_b64 exec, exec, s[28:29]
	v_lshrrev_b64 v[12:13], 20, v[12:13]
	v_cmp_gt_i32_e32 vcc, 16, v14
	v_cndmask_b32_e32 v13, 0, v13, vcc
	v_cndmask_b32_e32 v12, 7, v12, vcc
	v_cmp_eq_u64_e64 s[28:29], 0, v[12:13]
	v_min_i32_e32 v13, 15, v14
	v_lshlrev_b32_e32 v13, 3, v13
	v_cmp_eq_u32_e32 vcc, 0, v14
	v_and_b32_e32 v13, 0xf8, v13
	v_and_or_b32 v12, v12, 7, v13
	s_and_b64 s[28:29], vcc, s[28:29]
	v_cndmask_b32_e64 v12, v12, 0, s[28:29]
	v_or_b32_e32 v14, v12, v52
.LBB4_7566:                             ;   in Loop: Header=BB4_6216 Depth=3
	s_or_b64 exec, exec, s[36:37]
                                        ; implicit-def: $vgpr52
.LBB4_7567:                             ;   in Loop: Header=BB4_6216 Depth=3
	s_andn2_saveexec_b64 s[28:29], s[34:35]
; %bb.7568:                             ;   in Loop: Header=BB4_6216 Depth=3
	v_or_b32_e32 v14, 0x7e, v52
; %bb.7569:                             ;   in Loop: Header=BB4_6216 Depth=3
	s_or_b64 exec, exec, s[28:29]
                                        ; implicit-def: $vgpr12
.LBB4_7570:                             ;   in Loop: Header=BB4_6216 Depth=3
	s_andn2_saveexec_b64 s[28:29], s[30:31]
; %bb.7571:                             ;   in Loop: Header=BB4_6216 Depth=3
	v_or_b32_sdwa v14, v12, s68 dst_sel:DWORD dst_unused:UNUSED_PAD src0_sel:BYTE_3 src1_sel:DWORD
; %bb.7572:                             ;   in Loop: Header=BB4_6216 Depth=3
	s_or_b64 exec, exec, s[28:29]
	v_cmp_lt_u32_e32 vcc, s57, v2
	v_mov_b32_e32 v13, 0
	v_mov_b32_e32 v52, 0
	s_and_saveexec_b64 s[28:29], vcc
	s_cbranch_execz .LBB4_7578
; %bb.7573:                             ;   in Loop: Header=BB4_6216 Depth=3
	v_lshrrev_b32_e32 v12, 24, v2
	v_cmp_ne_u32_sdwa vcc, v2, s70 src0_sel:BYTE_3 src1_sel:DWORD
	v_bfrev_b32_e32 v52, 1
	s_and_saveexec_b64 s[30:31], vcc
	s_cbranch_execz .LBB4_7577
; %bb.7574:                             ;   in Loop: Header=BB4_6216 Depth=3
	v_bfe_u32 v53, v2, 24, 7
	v_cmp_ne_u32_e32 vcc, s68, v53
	v_mov_b32_e32 v52, 0x7f800001
	s_and_saveexec_b64 s[34:35], vcc
	s_cbranch_execz .LBB4_7576
; %bb.7575:                             ;   in Loop: Header=BB4_6216 Depth=3
	v_and_b32_e32 v22, 7, v12
	v_ffbh_u32_e32 v27, v22
	v_min_u32_e32 v27, 32, v27
	v_subrev_u32_e32 v31, 28, v27
	v_lshrrev_b32_e32 v23, 3, v53
	v_cmp_gt_u32_e32 vcc, 8, v53
	v_lshlrev_b64 v[52:53], v31, v[12:13]
	v_sub_u32_e32 v12, 29, v27
	v_and_b32_e32 v27, 7, v52
	v_cndmask_b32_e32 v12, v23, v12, vcc
	v_mov_b32_e32 v23, 24
	v_cndmask_b32_e32 v22, v22, v27, vcc
	v_lshlrev_b32_sdwa v2, v23, v2 dst_sel:DWORD dst_unused:UNUSED_PAD src0_sel:DWORD src1_sel:BYTE_3
	v_lshlrev_b32_e32 v22, 20, v22
	v_and_b32_e32 v2, 0x80000000, v2
	v_lshl_add_u32 v12, v12, 23, v5
	v_or3_b32 v52, v2, v12, v22
.LBB4_7576:                             ;   in Loop: Header=BB4_6216 Depth=3
	s_or_b64 exec, exec, s[34:35]
.LBB4_7577:                             ;   in Loop: Header=BB4_6216 Depth=3
	s_or_b64 exec, exec, s[30:31]
.LBB4_7578:                             ;   in Loop: Header=BB4_6216 Depth=3
	s_or_b64 exec, exec, s[28:29]
	v_cmp_lt_u64_e32 vcc, s[56:57], v[8:9]
	s_and_saveexec_b64 s[28:29], vcc
	s_cbranch_execz .LBB4_7584
; %bb.7579:                             ;   in Loop: Header=BB4_6216 Depth=3
	v_lshrrev_b32_e32 v2, 24, v9
	v_cmp_ne_u32_e32 vcc, s70, v2
	v_bfrev_b32_e32 v13, 1
	s_and_saveexec_b64 s[30:31], vcc
	s_cbranch_execz .LBB4_7583
; %bb.7580:                             ;   in Loop: Header=BB4_6216 Depth=3
	v_bfe_u32 v8, v9, 24, 7
	v_cmp_ne_u32_e32 vcc, s68, v8
	v_mov_b32_e32 v13, 0x7f800001
	s_and_saveexec_b64 s[34:35], vcc
	s_cbranch_execz .LBB4_7582
; %bb.7581:                             ;   in Loop: Header=BB4_6216 Depth=3
	v_and_b32_e32 v12, 7, v2
	v_lshrrev_b32_e32 v13, 3, v8
	v_cmp_gt_u32_e32 vcc, 8, v8
	v_ffbh_u32_e32 v8, v12
	v_min_u32_e32 v22, 32, v8
	v_subrev_u32_e32 v8, 28, v22
	v_lshlrev_b64 v[8:9], v8, v[2:3]
	v_sub_u32_e32 v9, 29, v22
	v_and_b32_e32 v8, 7, v8
	v_cndmask_b32_e32 v9, v13, v9, vcc
	v_cndmask_b32_e32 v8, v12, v8, vcc
	v_lshlrev_b32_e32 v2, 24, v2
	v_lshlrev_b32_e32 v8, 20, v8
	v_and_b32_e32 v2, 0x80000000, v2
	v_lshl_add_u32 v9, v9, 23, v5
	v_or3_b32 v13, v2, v9, v8
.LBB4_7582:                             ;   in Loop: Header=BB4_6216 Depth=3
	s_or_b64 exec, exec, s[34:35]
.LBB4_7583:                             ;   in Loop: Header=BB4_6216 Depth=3
	s_or_b64 exec, exec, s[30:31]
.LBB4_7584:                             ;   in Loop: Header=BB4_6216 Depth=3
	s_or_b64 exec, exec, s[28:29]
	v_add_f32_e32 v8, v52, v13
	v_and_b32_e32 v2, 0x7f800000, v8
	v_cmp_ne_u64_e32 vcc, s[62:63], v[2:3]
                                        ; implicit-def: $vgpr52
	s_and_saveexec_b64 s[28:29], vcc
	s_xor_b64 s[30:31], exec, s[28:29]
	s_cbranch_execz .LBB4_7598
; %bb.7585:                             ;   in Loop: Header=BB4_6216 Depth=3
	v_and_b32_e32 v2, 0x7fffffff, v8
	v_cmp_gt_u64_e32 vcc, s[72:73], v[2:3]
	v_and_b32_sdwa v53, v8, s70 dst_sel:DWORD dst_unused:UNUSED_PAD src0_sel:BYTE_3 src1_sel:DWORD
                                        ; implicit-def: $vgpr52
	s_and_saveexec_b64 s[28:29], vcc
	s_xor_b64 s[34:35], exec, s[28:29]
	s_cbranch_execz .LBB4_7595
; %bb.7586:                             ;   in Loop: Header=BB4_6216 Depth=3
	v_mov_b32_e32 v52, 0
	v_cmp_ne_u32_e32 vcc, 0, v8
	s_and_saveexec_b64 s[36:37], vcc
	s_cbranch_execz .LBB4_7594
; %bb.7587:                             ;   in Loop: Header=BB4_6216 Depth=3
	v_bfe_u32 v52, v8, 23, 8
	v_and_b32_e32 v2, 0x7fffff, v8
	v_cmp_gt_u32_e64 s[28:29], s71, v52
	v_sub_u32_e32 v8, 0x79, v52
	v_cmp_eq_u32_e32 vcc, 0, v52
	v_cndmask_b32_e64 v8, 0, v8, s[28:29]
	v_mov_b32_e32 v12, 0x78
	v_cndmask_b32_e32 v54, v8, v12, vcc
	v_or_b32_e32 v9, 0x800000, v2
	v_add_u32_e32 v8, 20, v54
	v_cndmask_b32_e32 v2, v9, v2, vcc
	v_lshlrev_b64 v[8:9], v8, -1
	v_add_u32_e32 v12, 19, v54
	v_lshlrev_b64 v[12:13], v12, 1
	v_bfi_b32 v9, v9, 0, 0
	v_bfi_b32 v8, v8, 0, v2
	v_cmp_eq_u64_e64 s[28:29], v[8:9], v[12:13]
	v_lshrrev_b64 v[8:9], v54, v[2:3]
	v_mov_b32_e32 v13, v9
	v_mov_b32_e32 v12, v8
	s_and_saveexec_b64 s[38:39], s[28:29]
; %bb.7588:                             ;   in Loop: Header=BB4_6216 Depth=3
	v_bfe_u32 v2, v8, 20, 1
	v_add_co_u32_e64 v2, s[28:29], v8, v2
	v_add_co_u32_e64 v12, s[28:29], -1, v2
; %bb.7589:                             ;   in Loop: Header=BB4_6216 Depth=3
	s_or_b64 exec, exec, s[38:39]
	v_add_u32_e32 v2, 0xffffff81, v52
	v_mov_b32_e32 v9, 0xffffff82
	v_cndmask_b32_e32 v2, v2, v9, vcc
	v_lshrrev_b32_e32 v9, 23, v8
	v_add3_u32 v52, v54, v2, v9
	v_add_u32_e32 v13, 6, v52
	v_and_b32_e32 v2, 0xfffff, v12
	v_add_u32_e32 v2, v2, v8
	v_cmp_ne_u32_e32 vcc, 0, v13
                                        ; implicit-def: $vgpr8_vgpr9
                                        ; implicit-def: $vgpr12
	s_and_saveexec_b64 s[28:29], vcc
	s_xor_b64 s[28:29], exec, s[28:29]
; %bb.7590:                             ;   in Loop: Header=BB4_6216 Depth=3
	v_cmp_lt_u64_e32 vcc, s[74:75], v[2:3]
	v_add_u32_e32 v8, 7, v52
	v_cndmask_b32_e32 v12, v13, v8, vcc
	v_cndmask_b32_e64 v8, 0, 1, vcc
	v_lshrrev_b64 v[8:9], v8, v[2:3]
; %bb.7591:                             ;   in Loop: Header=BB4_6216 Depth=3
	s_andn2_saveexec_b64 s[28:29], s[28:29]
; %bb.7592:                             ;   in Loop: Header=BB4_6216 Depth=3
	v_mov_b32_e32 v9, v3
	v_mov_b32_e32 v8, v2
	v_bfe_u32 v12, v2, 23, 1
; %bb.7593:                             ;   in Loop: Header=BB4_6216 Depth=3
	s_or_b64 exec, exec, s[28:29]
	v_lshrrev_b64 v[8:9], 20, v[8:9]
	v_cmp_gt_i32_e32 vcc, 16, v12
	v_cndmask_b32_e32 v9, 0, v9, vcc
	v_cndmask_b32_e32 v8, 7, v8, vcc
	v_min_i32_e32 v2, 15, v12
	v_cmp_eq_u64_e64 s[28:29], 0, v[8:9]
	v_lshlrev_b32_e32 v2, 3, v2
	v_cmp_eq_u32_e32 vcc, 0, v12
	v_and_b32_e32 v2, 0xf8, v2
	v_and_or_b32 v2, v8, 7, v2
	s_and_b64 s[28:29], vcc, s[28:29]
	v_cndmask_b32_e64 v2, v2, 0, s[28:29]
	v_or_b32_e32 v52, v2, v53
.LBB4_7594:                             ;   in Loop: Header=BB4_6216 Depth=3
	s_or_b64 exec, exec, s[36:37]
                                        ; implicit-def: $vgpr53
.LBB4_7595:                             ;   in Loop: Header=BB4_6216 Depth=3
	s_andn2_saveexec_b64 s[28:29], s[34:35]
; %bb.7596:                             ;   in Loop: Header=BB4_6216 Depth=3
	v_or_b32_e32 v52, 0x7e, v53
; %bb.7597:                             ;   in Loop: Header=BB4_6216 Depth=3
	s_or_b64 exec, exec, s[28:29]
                                        ; implicit-def: $vgpr8
.LBB4_7598:                             ;   in Loop: Header=BB4_6216 Depth=3
	s_andn2_saveexec_b64 s[28:29], s[30:31]
; %bb.7599:                             ;   in Loop: Header=BB4_6216 Depth=3
	v_or_b32_sdwa v52, v8, s68 dst_sel:DWORD dst_unused:UNUSED_PAD src0_sel:BYTE_3 src1_sel:DWORD
; %bb.7600:                             ;   in Loop: Header=BB4_6216 Depth=3
	s_or_b64 exec, exec, s[28:29]
	buffer_load_dword v2, off, s[0:3], s33 offset:148 ; 4-byte Folded Reload
	v_lshlrev_b32_e32 v8, 24, v50
	v_cmp_ne_u32_e32 vcc, 0, v16
	v_mov_b32_e32 v9, 0
	s_waitcnt vmcnt(0)
	v_lshl_or_b32 v27, v2, 8, v16
	v_lshlrev_b32_e32 v2, 16, v51
	v_or3_b32 v2, v2, v8, v27
	v_mov_b32_e32 v8, 0
	s_and_saveexec_b64 s[28:29], vcc
	s_cbranch_execz .LBB4_7606
; %bb.7601:                             ;   in Loop: Header=BB4_6216 Depth=3
	v_cmp_ne_u32_e32 vcc, s70, v16
	v_bfrev_b32_e32 v9, 1
	s_and_saveexec_b64 s[30:31], vcc
	s_cbranch_execz .LBB4_7605
; %bb.7602:                             ;   in Loop: Header=BB4_6216 Depth=3
	v_and_b32_e32 v12, 0x7f, v16
	v_cmp_ne_u32_e32 vcc, s68, v12
	v_mov_b32_e32 v9, 0x7f800001
	s_and_saveexec_b64 s[34:35], vcc
	s_cbranch_execz .LBB4_7604
; %bb.7603:                             ;   in Loop: Header=BB4_6216 Depth=3
	v_and_b32_e32 v9, 7, v16
	v_ffbh_u32_e32 v9, v9
	v_min_u32_e32 v9, 32, v9
	v_lshrrev_b32_e32 v13, 3, v12
	v_cmp_gt_u32_e32 vcc, 8, v12
	v_subrev_u32_e32 v12, 28, v9
	v_sub_u32_e32 v9, 29, v9
	v_cndmask_b32_e32 v12, 0, v12, vcc
	v_cndmask_b32_e32 v9, v13, v9, vcc
	v_lshlrev_b64 v[12:13], v12, v[2:3]
	v_lshlrev_b32_e32 v13, 24, v2
	v_lshlrev_b32_e32 v12, 20, v12
	v_and_b32_e32 v12, 0x700000, v12
	v_and_b32_e32 v13, 0x80000000, v13
	v_lshl_add_u32 v9, v9, 23, v5
	v_or3_b32 v9, v13, v9, v12
.LBB4_7604:                             ;   in Loop: Header=BB4_6216 Depth=3
	s_or_b64 exec, exec, s[34:35]
.LBB4_7605:                             ;   in Loop: Header=BB4_6216 Depth=3
	s_or_b64 exec, exec, s[30:31]
.LBB4_7606:                             ;   in Loop: Header=BB4_6216 Depth=3
	s_or_b64 exec, exec, s[28:29]
	v_cmp_ne_u16_sdwa vcc, v10, v3 src0_sel:BYTE_0 src1_sel:DWORD
	s_and_saveexec_b64 s[28:29], vcc
	s_cbranch_execz .LBB4_7612
; %bb.7607:                             ;   in Loop: Header=BB4_6216 Depth=3
	v_cmp_ne_u16_sdwa vcc, v10, s70 src0_sel:BYTE_0 src1_sel:DWORD
	v_bfrev_b32_e32 v8, 1
	s_and_saveexec_b64 s[30:31], vcc
	s_cbranch_execz .LBB4_7611
; %bb.7608:                             ;   in Loop: Header=BB4_6216 Depth=3
	v_and_b32_e32 v12, 0x7f, v10
	v_cmp_ne_u32_e32 vcc, s68, v12
	v_mov_b32_e32 v8, 0x7f800001
	s_and_saveexec_b64 s[34:35], vcc
	s_cbranch_execz .LBB4_7610
; %bb.7609:                             ;   in Loop: Header=BB4_6216 Depth=3
	v_and_b32_e32 v8, 7, v10
	v_ffbh_u32_e32 v8, v8
	v_min_u32_e32 v8, 32, v8
	v_lshrrev_b32_e32 v13, 3, v12
	v_cmp_gt_u32_e32 vcc, 8, v12
	v_subrev_u32_e32 v12, 28, v8
	v_sub_u32_e32 v8, 29, v8
	v_cndmask_b32_e32 v12, 0, v12, vcc
	v_cndmask_b32_e32 v8, v13, v8, vcc
	v_lshlrev_b64 v[12:13], v12, v[10:11]
	v_lshlrev_b32_e32 v13, 24, v10
	v_lshlrev_b32_e32 v12, 20, v12
	v_and_b32_e32 v12, 0x700000, v12
	v_and_b32_e32 v13, 0x80000000, v13
	v_lshl_add_u32 v8, v8, 23, v5
	v_or3_b32 v8, v13, v8, v12
.LBB4_7610:                             ;   in Loop: Header=BB4_6216 Depth=3
	s_or_b64 exec, exec, s[34:35]
.LBB4_7611:                             ;   in Loop: Header=BB4_6216 Depth=3
	s_or_b64 exec, exec, s[30:31]
.LBB4_7612:                             ;   in Loop: Header=BB4_6216 Depth=3
	s_or_b64 exec, exec, s[28:29]
	v_add_f32_e32 v8, v9, v8
	v_and_b32_e32 v12, 0x7f800000, v8
	v_mov_b32_e32 v13, v3
	v_cmp_ne_u64_e32 vcc, s[62:63], v[12:13]
                                        ; implicit-def: $vgpr16
	s_and_saveexec_b64 s[28:29], vcc
	s_xor_b64 s[30:31], exec, s[28:29]
	s_cbranch_execz .LBB4_7626
; %bb.7613:                             ;   in Loop: Header=BB4_6216 Depth=3
	v_and_b32_e32 v12, 0x7fffffff, v8
	v_mov_b32_e32 v13, v3
	v_cmp_gt_u64_e32 vcc, s[72:73], v[12:13]
	v_and_b32_sdwa v50, v8, s70 dst_sel:DWORD dst_unused:UNUSED_PAD src0_sel:BYTE_3 src1_sel:DWORD
                                        ; implicit-def: $vgpr16
	s_and_saveexec_b64 s[28:29], vcc
	s_xor_b64 s[34:35], exec, s[28:29]
	s_cbranch_execz .LBB4_7623
; %bb.7614:                             ;   in Loop: Header=BB4_6216 Depth=3
	v_mov_b32_e32 v16, 0
	v_cmp_ne_u32_e32 vcc, 0, v8
	s_and_saveexec_b64 s[36:37], vcc
	s_cbranch_execz .LBB4_7622
; %bb.7615:                             ;   in Loop: Header=BB4_6216 Depth=3
	v_bfe_u32 v16, v8, 23, 8
	v_and_b32_e32 v9, 0x7fffff, v8
	v_cmp_gt_u32_e64 s[28:29], s71, v16
	v_sub_u32_e32 v8, 0x79, v16
	v_cmp_eq_u32_e32 vcc, 0, v16
	v_cndmask_b32_e64 v8, 0, v8, s[28:29]
	v_mov_b32_e32 v13, 0x78
	v_or_b32_e32 v12, 0x800000, v9
	v_cndmask_b32_e32 v51, v8, v13, vcc
	v_cndmask_b32_e32 v8, v12, v9, vcc
	v_add_u32_e32 v12, 20, v51
	v_lshlrev_b64 v[12:13], v12, -1
	v_mov_b32_e32 v9, v3
	v_add_u32_e32 v22, 19, v51
	v_bfi_b32 v12, v12, 0, v8
	v_lshlrev_b64 v[53:54], v22, 1
	v_lshrrev_b64 v[8:9], v51, v[8:9]
	v_bfi_b32 v13, v13, 0, 0
	v_cmp_eq_u64_e64 s[28:29], v[12:13], v[53:54]
	v_mov_b32_e32 v13, v9
	v_mov_b32_e32 v12, v8
	s_and_saveexec_b64 s[38:39], s[28:29]
; %bb.7616:                             ;   in Loop: Header=BB4_6216 Depth=3
	v_bfe_u32 v9, v8, 20, 1
	v_add_co_u32_e64 v9, s[28:29], v8, v9
	v_add_co_u32_e64 v12, s[28:29], -1, v9
; %bb.7617:                             ;   in Loop: Header=BB4_6216 Depth=3
	s_or_b64 exec, exec, s[38:39]
	v_add_u32_e32 v9, 0xffffff81, v16
	v_mov_b32_e32 v13, 0xffffff82
	v_cndmask_b32_e32 v9, v9, v13, vcc
	v_lshrrev_b32_e32 v13, 23, v8
	v_add3_u32 v16, v51, v9, v13
	v_add_u32_e32 v13, 6, v16
	v_and_b32_e32 v9, 0xfffff, v12
	v_add_u32_e32 v8, v9, v8
	v_mov_b32_e32 v9, v3
	v_cmp_ne_u32_e32 vcc, 0, v13
                                        ; implicit-def: $vgpr12
	s_and_saveexec_b64 s[28:29], vcc
	s_xor_b64 s[28:29], exec, s[28:29]
; %bb.7618:                             ;   in Loop: Header=BB4_6216 Depth=3
	v_cmp_lt_u64_e32 vcc, s[74:75], v[8:9]
	v_add_u32_e32 v12, 7, v16
	v_cndmask_b32_e32 v12, v13, v12, vcc
	v_cndmask_b32_e64 v13, 0, 1, vcc
	v_lshrrev_b64 v[8:9], v13, v[8:9]
; %bb.7619:                             ;   in Loop: Header=BB4_6216 Depth=3
	s_andn2_saveexec_b64 s[28:29], s[28:29]
; %bb.7620:                             ;   in Loop: Header=BB4_6216 Depth=3
	v_bfe_u32 v12, v8, 23, 1
; %bb.7621:                             ;   in Loop: Header=BB4_6216 Depth=3
	s_or_b64 exec, exec, s[28:29]
	v_lshrrev_b64 v[8:9], 20, v[8:9]
	v_cmp_gt_i32_e32 vcc, 16, v12
	v_cndmask_b32_e32 v9, 0, v9, vcc
	v_cndmask_b32_e32 v8, 7, v8, vcc
	v_cmp_eq_u64_e64 s[28:29], 0, v[8:9]
	v_min_i32_e32 v9, 15, v12
	v_lshlrev_b32_e32 v9, 3, v9
	v_cmp_eq_u32_e32 vcc, 0, v12
	v_and_b32_e32 v9, 0xf8, v9
	v_and_or_b32 v8, v8, 7, v9
	s_and_b64 s[28:29], vcc, s[28:29]
	v_cndmask_b32_e64 v8, v8, 0, s[28:29]
	v_or_b32_e32 v16, v8, v50
.LBB4_7622:                             ;   in Loop: Header=BB4_6216 Depth=3
	s_or_b64 exec, exec, s[36:37]
                                        ; implicit-def: $vgpr50
.LBB4_7623:                             ;   in Loop: Header=BB4_6216 Depth=3
	s_andn2_saveexec_b64 s[28:29], s[34:35]
; %bb.7624:                             ;   in Loop: Header=BB4_6216 Depth=3
	v_or_b32_e32 v16, 0x7e, v50
; %bb.7625:                             ;   in Loop: Header=BB4_6216 Depth=3
	s_or_b64 exec, exec, s[28:29]
                                        ; implicit-def: $vgpr8
.LBB4_7626:                             ;   in Loop: Header=BB4_6216 Depth=3
	s_andn2_saveexec_b64 s[28:29], s[30:31]
; %bb.7627:                             ;   in Loop: Header=BB4_6216 Depth=3
	v_or_b32_sdwa v16, v8, s68 dst_sel:DWORD dst_unused:UNUSED_PAD src0_sel:BYTE_3 src1_sel:DWORD
; %bb.7628:                             ;   in Loop: Header=BB4_6216 Depth=3
	s_or_b64 exec, exec, s[28:29]
	v_lshrrev_b16_e32 v8, 8, v27
	v_cmp_ne_u16_e32 vcc, 0, v8
	v_mov_b32_e32 v9, 0
	v_mov_b32_e32 v12, 0
	s_and_saveexec_b64 s[28:29], vcc
	s_cbranch_execz .LBB4_7634
; %bb.7629:                             ;   in Loop: Header=BB4_6216 Depth=3
	v_cmp_ne_u16_e32 vcc, s70, v8
	v_bfrev_b32_e32 v12, 1
	s_and_saveexec_b64 s[30:31], vcc
	s_cbranch_execz .LBB4_7633
; %bb.7630:                             ;   in Loop: Header=BB4_6216 Depth=3
	v_and_b32_e32 v13, 0x7f, v8
	v_cmp_ne_u32_e32 vcc, s68, v13
	v_mov_b32_e32 v12, 0x7f800001
	s_and_saveexec_b64 s[34:35], vcc
	s_cbranch_execz .LBB4_7632
; %bb.7631:                             ;   in Loop: Header=BB4_6216 Depth=3
	v_and_b32_e32 v22, 7, v8
	v_ffbh_u32_e32 v12, v22
	v_min_u32_e32 v31, 32, v12
	v_subrev_u32_e32 v12, 28, v31
	v_lshrrev_b32_e32 v23, 3, v13
	v_cmp_gt_u32_e32 vcc, 8, v13
	v_lshlrev_b64 v[12:13], v12, v[8:9]
	v_sub_u32_e32 v8, 29, v31
	v_and_b32_e32 v12, 7, v12
	v_cndmask_b32_e32 v8, v23, v8, vcc
	v_cndmask_b32_e32 v12, v22, v12, vcc
	v_lshlrev_b32_e32 v13, 16, v27
	v_lshlrev_b32_e32 v12, 20, v12
	v_and_b32_e32 v13, 0x80000000, v13
	v_lshl_add_u32 v8, v8, 23, v5
	v_or3_b32 v12, v13, v8, v12
.LBB4_7632:                             ;   in Loop: Header=BB4_6216 Depth=3
	s_or_b64 exec, exec, s[34:35]
.LBB4_7633:                             ;   in Loop: Header=BB4_6216 Depth=3
	s_or_b64 exec, exec, s[30:31]
.LBB4_7634:                             ;   in Loop: Header=BB4_6216 Depth=3
	s_or_b64 exec, exec, s[28:29]
	v_lshrrev_b16_e32 v8, 8, v10
	v_cmp_ne_u16_e32 vcc, 0, v8
	s_and_saveexec_b64 s[28:29], vcc
	s_cbranch_execz .LBB4_7640
; %bb.7635:                             ;   in Loop: Header=BB4_6216 Depth=3
	v_cmp_ne_u16_e32 vcc, s70, v8
	v_bfrev_b32_e32 v9, 1
	s_and_saveexec_b64 s[30:31], vcc
	s_cbranch_execz .LBB4_7639
; %bb.7636:                             ;   in Loop: Header=BB4_6216 Depth=3
	v_and_b32_e32 v13, 0x7f, v8
	v_cmp_ne_u32_e32 vcc, s68, v13
	v_mov_b32_e32 v9, 0x7f800001
	s_and_saveexec_b64 s[34:35], vcc
	s_cbranch_execz .LBB4_7638
; %bb.7637:                             ;   in Loop: Header=BB4_6216 Depth=3
	v_and_b32_e32 v22, 7, v8
	v_ffbh_u32_e32 v9, v22
	v_lshrrev_b32_e32 v23, 3, v13
	v_cmp_gt_u32_e32 vcc, 8, v13
	v_min_u32_e32 v13, 32, v9
	v_subrev_u32_e32 v9, 28, v13
	v_lshlrev_b64 v[8:9], v9, v[8:9]
	v_sub_u32_e32 v9, 29, v13
	v_and_b32_e32 v8, 7, v8
	v_cndmask_b32_e32 v9, v23, v9, vcc
	v_cndmask_b32_e32 v8, v22, v8, vcc
	v_lshlrev_b32_e32 v13, 16, v10
	v_lshlrev_b32_e32 v8, 20, v8
	v_and_b32_e32 v13, 0x80000000, v13
	v_lshl_add_u32 v9, v9, 23, v5
	v_or3_b32 v9, v13, v9, v8
.LBB4_7638:                             ;   in Loop: Header=BB4_6216 Depth=3
	s_or_b64 exec, exec, s[34:35]
.LBB4_7639:                             ;   in Loop: Header=BB4_6216 Depth=3
	s_or_b64 exec, exec, s[30:31]
.LBB4_7640:                             ;   in Loop: Header=BB4_6216 Depth=3
	s_or_b64 exec, exec, s[28:29]
	v_add_f32_e32 v8, v12, v9
	v_and_b32_e32 v12, 0x7f800000, v8
	v_mov_b32_e32 v13, v3
	v_cmp_ne_u64_e32 vcc, s[62:63], v[12:13]
                                        ; implicit-def: $vgpr27
	s_and_saveexec_b64 s[28:29], vcc
	s_xor_b64 s[30:31], exec, s[28:29]
	s_cbranch_execz .LBB4_7654
; %bb.7641:                             ;   in Loop: Header=BB4_6216 Depth=3
	v_and_b32_e32 v12, 0x7fffffff, v8
	v_mov_b32_e32 v13, v3
	v_cmp_gt_u64_e32 vcc, s[72:73], v[12:13]
	v_and_b32_sdwa v50, v8, s70 dst_sel:DWORD dst_unused:UNUSED_PAD src0_sel:BYTE_3 src1_sel:DWORD
                                        ; implicit-def: $vgpr27
	s_and_saveexec_b64 s[28:29], vcc
	s_xor_b64 s[34:35], exec, s[28:29]
	s_cbranch_execz .LBB4_7651
; %bb.7642:                             ;   in Loop: Header=BB4_6216 Depth=3
	v_mov_b32_e32 v27, 0
	v_cmp_ne_u32_e32 vcc, 0, v8
	s_and_saveexec_b64 s[36:37], vcc
	s_cbranch_execz .LBB4_7650
; %bb.7643:                             ;   in Loop: Header=BB4_6216 Depth=3
	v_bfe_u32 v27, v8, 23, 8
	v_and_b32_e32 v9, 0x7fffff, v8
	v_cmp_gt_u32_e64 s[28:29], s71, v27
	v_sub_u32_e32 v8, 0x79, v27
	v_cmp_eq_u32_e32 vcc, 0, v27
	v_cndmask_b32_e64 v8, 0, v8, s[28:29]
	v_mov_b32_e32 v13, 0x78
	v_or_b32_e32 v12, 0x800000, v9
	v_cndmask_b32_e32 v51, v8, v13, vcc
	v_cndmask_b32_e32 v8, v12, v9, vcc
	v_add_u32_e32 v12, 20, v51
	v_lshlrev_b64 v[12:13], v12, -1
	v_mov_b32_e32 v9, v3
	v_add_u32_e32 v22, 19, v51
	v_bfi_b32 v12, v12, 0, v8
	v_lshlrev_b64 v[53:54], v22, 1
	v_lshrrev_b64 v[8:9], v51, v[8:9]
	v_bfi_b32 v13, v13, 0, 0
	v_cmp_eq_u64_e64 s[28:29], v[12:13], v[53:54]
	v_mov_b32_e32 v13, v9
	v_mov_b32_e32 v12, v8
	s_and_saveexec_b64 s[38:39], s[28:29]
; %bb.7644:                             ;   in Loop: Header=BB4_6216 Depth=3
	v_bfe_u32 v9, v8, 20, 1
	v_add_co_u32_e64 v9, s[28:29], v8, v9
	v_add_co_u32_e64 v12, s[28:29], -1, v9
; %bb.7645:                             ;   in Loop: Header=BB4_6216 Depth=3
	s_or_b64 exec, exec, s[38:39]
	v_add_u32_e32 v9, 0xffffff81, v27
	v_mov_b32_e32 v13, 0xffffff82
	v_cndmask_b32_e32 v9, v9, v13, vcc
	v_lshrrev_b32_e32 v13, 23, v8
	v_add3_u32 v27, v51, v9, v13
	v_add_u32_e32 v13, 6, v27
	v_and_b32_e32 v9, 0xfffff, v12
	v_add_u32_e32 v8, v9, v8
	v_mov_b32_e32 v9, v3
	v_cmp_ne_u32_e32 vcc, 0, v13
                                        ; implicit-def: $vgpr12
	s_and_saveexec_b64 s[28:29], vcc
	s_xor_b64 s[28:29], exec, s[28:29]
; %bb.7646:                             ;   in Loop: Header=BB4_6216 Depth=3
	v_cmp_lt_u64_e32 vcc, s[74:75], v[8:9]
	v_add_u32_e32 v12, 7, v27
	v_cndmask_b32_e32 v12, v13, v12, vcc
	v_cndmask_b32_e64 v13, 0, 1, vcc
	v_lshrrev_b64 v[8:9], v13, v[8:9]
; %bb.7647:                             ;   in Loop: Header=BB4_6216 Depth=3
	s_andn2_saveexec_b64 s[28:29], s[28:29]
; %bb.7648:                             ;   in Loop: Header=BB4_6216 Depth=3
	v_bfe_u32 v12, v8, 23, 1
; %bb.7649:                             ;   in Loop: Header=BB4_6216 Depth=3
	s_or_b64 exec, exec, s[28:29]
	v_lshrrev_b64 v[8:9], 20, v[8:9]
	v_cmp_gt_i32_e32 vcc, 16, v12
	v_cndmask_b32_e32 v9, 0, v9, vcc
	v_cndmask_b32_e32 v8, 7, v8, vcc
	v_cmp_eq_u64_e64 s[28:29], 0, v[8:9]
	v_min_i32_e32 v9, 15, v12
	v_lshlrev_b32_e32 v9, 3, v9
	v_cmp_eq_u32_e32 vcc, 0, v12
	v_and_b32_e32 v9, 0xf8, v9
	v_and_or_b32 v8, v8, 7, v9
	s_and_b64 s[28:29], vcc, s[28:29]
	v_cndmask_b32_e64 v8, v8, 0, s[28:29]
	v_or_b32_e32 v27, v8, v50
.LBB4_7650:                             ;   in Loop: Header=BB4_6216 Depth=3
	s_or_b64 exec, exec, s[36:37]
                                        ; implicit-def: $vgpr50
.LBB4_7651:                             ;   in Loop: Header=BB4_6216 Depth=3
	s_andn2_saveexec_b64 s[28:29], s[34:35]
; %bb.7652:                             ;   in Loop: Header=BB4_6216 Depth=3
	v_or_b32_e32 v27, 0x7e, v50
; %bb.7653:                             ;   in Loop: Header=BB4_6216 Depth=3
	s_or_b64 exec, exec, s[28:29]
                                        ; implicit-def: $vgpr8
.LBB4_7654:                             ;   in Loop: Header=BB4_6216 Depth=3
	s_andn2_saveexec_b64 s[28:29], s[30:31]
; %bb.7655:                             ;   in Loop: Header=BB4_6216 Depth=3
	v_or_b32_sdwa v27, v8, s68 dst_sel:DWORD dst_unused:UNUSED_PAD src0_sel:BYTE_3 src1_sel:DWORD
; %bb.7656:                             ;   in Loop: Header=BB4_6216 Depth=3
	s_or_b64 exec, exec, s[28:29]
	v_lshrrev_b32_e32 v8, 16, v2
	v_cmp_ne_u16_sdwa vcc, v8, v3 src0_sel:BYTE_0 src1_sel:DWORD
	v_mov_b32_e32 v9, 0
	v_mov_b32_e32 v12, 0
	s_and_saveexec_b64 s[28:29], vcc
	s_cbranch_execz .LBB4_7662
; %bb.7657:                             ;   in Loop: Header=BB4_6216 Depth=3
	v_cmp_ne_u16_sdwa vcc, v8, s70 src0_sel:BYTE_0 src1_sel:DWORD
	v_bfrev_b32_e32 v12, 1
	s_and_saveexec_b64 s[30:31], vcc
	s_cbranch_execz .LBB4_7661
; %bb.7658:                             ;   in Loop: Header=BB4_6216 Depth=3
	v_bfe_u32 v13, v2, 16, 7
	v_cmp_ne_u32_e32 vcc, s68, v13
	v_mov_b32_e32 v12, 0x7f800001
	s_and_saveexec_b64 s[34:35], vcc
	s_cbranch_execz .LBB4_7660
; %bb.7659:                             ;   in Loop: Header=BB4_6216 Depth=3
	v_and_b32_e32 v22, 7, v8
	v_ffbh_u32_e32 v12, v22
	v_min_u32_e32 v31, 32, v12
	v_subrev_u32_e32 v12, 28, v31
	v_lshrrev_b32_e32 v23, 3, v13
	v_cmp_gt_u32_e32 vcc, 8, v13
	v_lshlrev_b64 v[12:13], v12, v[8:9]
	v_sub_u32_e32 v13, 29, v31
	v_and_b32_e32 v12, 7, v12
	v_cndmask_b32_e32 v13, v23, v13, vcc
	v_cndmask_b32_e32 v12, v22, v12, vcc
	v_lshlrev_b32_e32 v8, 24, v8
	v_lshlrev_b32_e32 v12, 20, v12
	v_and_b32_e32 v8, 0x80000000, v8
	v_lshl_add_u32 v13, v13, 23, v5
	v_or3_b32 v12, v8, v13, v12
.LBB4_7660:                             ;   in Loop: Header=BB4_6216 Depth=3
	s_or_b64 exec, exec, s[34:35]
.LBB4_7661:                             ;   in Loop: Header=BB4_6216 Depth=3
	s_or_b64 exec, exec, s[30:31]
.LBB4_7662:                             ;   in Loop: Header=BB4_6216 Depth=3
	s_or_b64 exec, exec, s[28:29]
	v_lshrrev_b32_e32 v8, 16, v10
	v_cmp_ne_u16_sdwa vcc, v8, v3 src0_sel:BYTE_0 src1_sel:DWORD
	s_and_saveexec_b64 s[28:29], vcc
	s_cbranch_execz .LBB4_7668
; %bb.7663:                             ;   in Loop: Header=BB4_6216 Depth=3
	v_cmp_ne_u16_sdwa vcc, v8, s70 src0_sel:BYTE_0 src1_sel:DWORD
	v_bfrev_b32_e32 v9, 1
	s_and_saveexec_b64 s[30:31], vcc
	s_cbranch_execz .LBB4_7667
; %bb.7664:                             ;   in Loop: Header=BB4_6216 Depth=3
	v_bfe_u32 v13, v10, 16, 7
	v_cmp_ne_u32_e32 vcc, s68, v13
	v_mov_b32_e32 v9, 0x7f800001
	s_and_saveexec_b64 s[34:35], vcc
	s_cbranch_execz .LBB4_7666
; %bb.7665:                             ;   in Loop: Header=BB4_6216 Depth=3
	v_and_b32_e32 v22, 7, v8
	v_ffbh_u32_e32 v9, v22
	v_lshrrev_b32_e32 v23, 3, v13
	v_cmp_gt_u32_e32 vcc, 8, v13
	v_min_u32_e32 v13, 32, v9
	v_subrev_u32_e32 v9, 28, v13
	v_lshlrev_b64 v[8:9], v9, v[8:9]
	v_sub_u32_e32 v9, 29, v13
	v_and_b32_e32 v8, 7, v8
	v_cndmask_b32_e32 v9, v23, v9, vcc
	v_cndmask_b32_e32 v8, v22, v8, vcc
	v_lshlrev_b32_e32 v13, 8, v10
	v_lshlrev_b32_e32 v8, 20, v8
	v_and_b32_e32 v13, 0x80000000, v13
	v_lshl_add_u32 v9, v9, 23, v5
	v_or3_b32 v9, v13, v9, v8
.LBB4_7666:                             ;   in Loop: Header=BB4_6216 Depth=3
	s_or_b64 exec, exec, s[34:35]
.LBB4_7667:                             ;   in Loop: Header=BB4_6216 Depth=3
	s_or_b64 exec, exec, s[30:31]
.LBB4_7668:                             ;   in Loop: Header=BB4_6216 Depth=3
	s_or_b64 exec, exec, s[28:29]
	v_add_f32_e32 v8, v12, v9
	v_and_b32_e32 v12, 0x7f800000, v8
	v_mov_b32_e32 v13, v3
	v_cmp_ne_u64_e32 vcc, s[62:63], v[12:13]
                                        ; implicit-def: $vgpr50
	s_and_saveexec_b64 s[28:29], vcc
	s_xor_b64 s[30:31], exec, s[28:29]
	s_cbranch_execz .LBB4_7682
; %bb.7669:                             ;   in Loop: Header=BB4_6216 Depth=3
	v_and_b32_e32 v12, 0x7fffffff, v8
	v_mov_b32_e32 v13, v3
	v_cmp_gt_u64_e32 vcc, s[72:73], v[12:13]
	v_and_b32_sdwa v51, v8, s70 dst_sel:DWORD dst_unused:UNUSED_PAD src0_sel:BYTE_3 src1_sel:DWORD
                                        ; implicit-def: $vgpr50
	s_and_saveexec_b64 s[28:29], vcc
	s_xor_b64 s[34:35], exec, s[28:29]
	s_cbranch_execz .LBB4_7679
; %bb.7670:                             ;   in Loop: Header=BB4_6216 Depth=3
	v_mov_b32_e32 v50, 0
	v_cmp_ne_u32_e32 vcc, 0, v8
	s_and_saveexec_b64 s[36:37], vcc
	s_cbranch_execz .LBB4_7678
; %bb.7671:                             ;   in Loop: Header=BB4_6216 Depth=3
	v_bfe_u32 v50, v8, 23, 8
	v_and_b32_e32 v9, 0x7fffff, v8
	v_cmp_gt_u32_e64 s[28:29], s71, v50
	v_sub_u32_e32 v8, 0x79, v50
	v_cmp_eq_u32_e32 vcc, 0, v50
	v_cndmask_b32_e64 v8, 0, v8, s[28:29]
	v_mov_b32_e32 v13, 0x78
	v_or_b32_e32 v12, 0x800000, v9
	v_cndmask_b32_e32 v53, v8, v13, vcc
	v_cndmask_b32_e32 v8, v12, v9, vcc
	v_add_u32_e32 v12, 20, v53
	v_lshlrev_b64 v[12:13], v12, -1
	v_mov_b32_e32 v9, v3
	v_add_u32_e32 v22, 19, v53
	v_bfi_b32 v12, v12, 0, v8
	v_lshlrev_b64 v[40:41], v22, 1
	v_lshrrev_b64 v[8:9], v53, v[8:9]
	v_bfi_b32 v13, v13, 0, 0
	v_cmp_eq_u64_e64 s[28:29], v[12:13], v[40:41]
	v_mov_b32_e32 v13, v9
	v_mov_b32_e32 v12, v8
	s_and_saveexec_b64 s[38:39], s[28:29]
; %bb.7672:                             ;   in Loop: Header=BB4_6216 Depth=3
	v_bfe_u32 v9, v8, 20, 1
	v_add_co_u32_e64 v9, s[28:29], v8, v9
	v_add_co_u32_e64 v12, s[28:29], -1, v9
; %bb.7673:                             ;   in Loop: Header=BB4_6216 Depth=3
	s_or_b64 exec, exec, s[38:39]
	v_add_u32_e32 v9, 0xffffff81, v50
	v_mov_b32_e32 v13, 0xffffff82
	v_cndmask_b32_e32 v9, v9, v13, vcc
	v_lshrrev_b32_e32 v13, 23, v8
	v_add3_u32 v50, v53, v9, v13
	v_add_u32_e32 v13, 6, v50
	v_and_b32_e32 v9, 0xfffff, v12
	v_add_u32_e32 v8, v9, v8
	v_mov_b32_e32 v9, v3
	v_cmp_ne_u32_e32 vcc, 0, v13
                                        ; implicit-def: $vgpr12
	s_and_saveexec_b64 s[28:29], vcc
	s_xor_b64 s[28:29], exec, s[28:29]
; %bb.7674:                             ;   in Loop: Header=BB4_6216 Depth=3
	v_cmp_lt_u64_e32 vcc, s[74:75], v[8:9]
	v_add_u32_e32 v12, 7, v50
	v_cndmask_b32_e32 v12, v13, v12, vcc
	v_cndmask_b32_e64 v13, 0, 1, vcc
	v_lshrrev_b64 v[8:9], v13, v[8:9]
; %bb.7675:                             ;   in Loop: Header=BB4_6216 Depth=3
	s_andn2_saveexec_b64 s[28:29], s[28:29]
; %bb.7676:                             ;   in Loop: Header=BB4_6216 Depth=3
	v_bfe_u32 v12, v8, 23, 1
; %bb.7677:                             ;   in Loop: Header=BB4_6216 Depth=3
	s_or_b64 exec, exec, s[28:29]
	v_lshrrev_b64 v[8:9], 20, v[8:9]
	v_cmp_gt_i32_e32 vcc, 16, v12
	v_cndmask_b32_e32 v9, 0, v9, vcc
	v_cndmask_b32_e32 v8, 7, v8, vcc
	v_cmp_eq_u64_e64 s[28:29], 0, v[8:9]
	v_min_i32_e32 v9, 15, v12
	v_lshlrev_b32_e32 v9, 3, v9
	v_cmp_eq_u32_e32 vcc, 0, v12
	v_and_b32_e32 v9, 0xf8, v9
	v_and_or_b32 v8, v8, 7, v9
	s_and_b64 s[28:29], vcc, s[28:29]
	v_cndmask_b32_e64 v8, v8, 0, s[28:29]
	v_or_b32_e32 v50, v8, v51
.LBB4_7678:                             ;   in Loop: Header=BB4_6216 Depth=3
	s_or_b64 exec, exec, s[36:37]
                                        ; implicit-def: $vgpr51
.LBB4_7679:                             ;   in Loop: Header=BB4_6216 Depth=3
	s_andn2_saveexec_b64 s[28:29], s[34:35]
; %bb.7680:                             ;   in Loop: Header=BB4_6216 Depth=3
	v_or_b32_e32 v50, 0x7e, v51
; %bb.7681:                             ;   in Loop: Header=BB4_6216 Depth=3
	s_or_b64 exec, exec, s[28:29]
                                        ; implicit-def: $vgpr8
.LBB4_7682:                             ;   in Loop: Header=BB4_6216 Depth=3
	s_andn2_saveexec_b64 s[28:29], s[30:31]
; %bb.7683:                             ;   in Loop: Header=BB4_6216 Depth=3
	v_or_b32_sdwa v50, v8, s68 dst_sel:DWORD dst_unused:UNUSED_PAD src0_sel:BYTE_3 src1_sel:DWORD
; %bb.7684:                             ;   in Loop: Header=BB4_6216 Depth=3
	s_or_b64 exec, exec, s[28:29]
	v_cmp_lt_u32_e32 vcc, s57, v2
	v_mov_b32_e32 v9, 0
	v_mov_b32_e32 v12, 0
	s_and_saveexec_b64 s[28:29], vcc
	s_cbranch_execz .LBB4_7690
; %bb.7685:                             ;   in Loop: Header=BB4_6216 Depth=3
	v_lshrrev_b32_e32 v8, 24, v2
	v_cmp_ne_u32_sdwa vcc, v2, s70 src0_sel:BYTE_3 src1_sel:DWORD
	v_bfrev_b32_e32 v12, 1
	s_and_saveexec_b64 s[30:31], vcc
	s_cbranch_execz .LBB4_7689
; %bb.7686:                             ;   in Loop: Header=BB4_6216 Depth=3
	v_bfe_u32 v13, v2, 24, 7
	v_cmp_ne_u32_e32 vcc, s68, v13
	v_mov_b32_e32 v12, 0x7f800001
	s_and_saveexec_b64 s[34:35], vcc
	s_cbranch_execz .LBB4_7688
; %bb.7687:                             ;   in Loop: Header=BB4_6216 Depth=3
	v_and_b32_e32 v22, 7, v8
	v_ffbh_u32_e32 v12, v22
	v_min_u32_e32 v31, 32, v12
	v_subrev_u32_e32 v12, 28, v31
	v_lshrrev_b32_e32 v23, 3, v13
	v_cmp_gt_u32_e32 vcc, 8, v13
	v_lshlrev_b64 v[12:13], v12, v[8:9]
	v_sub_u32_e32 v8, 29, v31
	v_and_b32_e32 v12, 7, v12
	v_mov_b32_e32 v13, 24
	v_cndmask_b32_e32 v8, v23, v8, vcc
	v_cndmask_b32_e32 v12, v22, v12, vcc
	v_lshlrev_b32_sdwa v2, v13, v2 dst_sel:DWORD dst_unused:UNUSED_PAD src0_sel:DWORD src1_sel:BYTE_3
	v_lshlrev_b32_e32 v12, 20, v12
	v_and_b32_e32 v2, 0x80000000, v2
	v_lshl_add_u32 v8, v8, 23, v5
	v_or3_b32 v12, v2, v8, v12
.LBB4_7688:                             ;   in Loop: Header=BB4_6216 Depth=3
	s_or_b64 exec, exec, s[34:35]
.LBB4_7689:                             ;   in Loop: Header=BB4_6216 Depth=3
	s_or_b64 exec, exec, s[30:31]
.LBB4_7690:                             ;   in Loop: Header=BB4_6216 Depth=3
	s_or_b64 exec, exec, s[28:29]
	v_cmp_lt_u32_e32 vcc, s57, v10
	s_and_saveexec_b64 s[28:29], vcc
	s_cbranch_execz .LBB4_7696
; %bb.7691:                             ;   in Loop: Header=BB4_6216 Depth=3
	v_lshrrev_b32_e32 v2, 24, v10
	v_cmp_ne_u32_e32 vcc, s70, v2
	v_bfrev_b32_e32 v9, 1
	s_and_saveexec_b64 s[30:31], vcc
	s_cbranch_execz .LBB4_7695
; %bb.7692:                             ;   in Loop: Header=BB4_6216 Depth=3
	v_bfe_u32 v8, v10, 24, 7
	v_cmp_ne_u32_e32 vcc, s68, v8
	v_mov_b32_e32 v9, 0x7f800001
	s_and_saveexec_b64 s[34:35], vcc
	s_cbranch_execz .LBB4_7694
; %bb.7693:                             ;   in Loop: Header=BB4_6216 Depth=3
	v_and_b32_e32 v13, 7, v2
	v_lshrrev_b32_e32 v22, 3, v8
	v_cmp_gt_u32_e32 vcc, 8, v8
	v_ffbh_u32_e32 v8, v13
	v_min_u32_e32 v23, 32, v8
	v_subrev_u32_e32 v8, 28, v23
	v_lshlrev_b64 v[8:9], v8, v[2:3]
	v_sub_u32_e32 v9, 29, v23
	v_and_b32_e32 v8, 7, v8
	v_cndmask_b32_e32 v9, v22, v9, vcc
	v_cndmask_b32_e32 v8, v13, v8, vcc
	v_lshlrev_b32_e32 v2, 24, v2
	v_lshlrev_b32_e32 v8, 20, v8
	v_and_b32_e32 v2, 0x80000000, v2
	v_lshl_add_u32 v9, v9, 23, v5
	v_or3_b32 v9, v2, v9, v8
.LBB4_7694:                             ;   in Loop: Header=BB4_6216 Depth=3
	s_or_b64 exec, exec, s[34:35]
.LBB4_7695:                             ;   in Loop: Header=BB4_6216 Depth=3
	s_or_b64 exec, exec, s[30:31]
.LBB4_7696:                             ;   in Loop: Header=BB4_6216 Depth=3
	s_or_b64 exec, exec, s[28:29]
	v_add_f32_e32 v8, v12, v9
	v_and_b32_e32 v2, 0x7f800000, v8
	v_cmp_ne_u64_e32 vcc, s[62:63], v[2:3]
                                        ; implicit-def: $vgpr51
	s_and_saveexec_b64 s[28:29], vcc
	s_xor_b64 s[30:31], exec, s[28:29]
	s_cbranch_execz .LBB4_7710
; %bb.7697:                             ;   in Loop: Header=BB4_6216 Depth=3
	v_and_b32_e32 v2, 0x7fffffff, v8
	v_cmp_gt_u64_e32 vcc, s[72:73], v[2:3]
	v_and_b32_sdwa v53, v8, s70 dst_sel:DWORD dst_unused:UNUSED_PAD src0_sel:BYTE_3 src1_sel:DWORD
                                        ; implicit-def: $vgpr51
	s_and_saveexec_b64 s[28:29], vcc
	s_xor_b64 s[34:35], exec, s[28:29]
	s_cbranch_execz .LBB4_7707
; %bb.7698:                             ;   in Loop: Header=BB4_6216 Depth=3
	v_mov_b32_e32 v51, 0
	v_cmp_ne_u32_e32 vcc, 0, v8
	s_and_saveexec_b64 s[36:37], vcc
	s_cbranch_execz .LBB4_7706
; %bb.7699:                             ;   in Loop: Header=BB4_6216 Depth=3
	v_bfe_u32 v51, v8, 23, 8
	v_and_b32_e32 v2, 0x7fffff, v8
	v_cmp_gt_u32_e64 s[28:29], s71, v51
	v_sub_u32_e32 v8, 0x79, v51
	v_cmp_eq_u32_e32 vcc, 0, v51
	v_cndmask_b32_e64 v8, 0, v8, s[28:29]
	v_mov_b32_e32 v12, 0x78
	v_cndmask_b32_e32 v54, v8, v12, vcc
	v_or_b32_e32 v9, 0x800000, v2
	v_add_u32_e32 v8, 20, v54
	v_cndmask_b32_e32 v2, v9, v2, vcc
	v_lshlrev_b64 v[8:9], v8, -1
	v_add_u32_e32 v12, 19, v54
	v_lshlrev_b64 v[12:13], v12, 1
	v_bfi_b32 v9, v9, 0, 0
	v_bfi_b32 v8, v8, 0, v2
	v_cmp_eq_u64_e64 s[28:29], v[8:9], v[12:13]
	v_lshrrev_b64 v[8:9], v54, v[2:3]
	v_mov_b32_e32 v13, v9
	v_mov_b32_e32 v12, v8
	s_and_saveexec_b64 s[38:39], s[28:29]
; %bb.7700:                             ;   in Loop: Header=BB4_6216 Depth=3
	v_bfe_u32 v2, v8, 20, 1
	v_add_co_u32_e64 v2, s[28:29], v8, v2
	v_add_co_u32_e64 v12, s[28:29], -1, v2
; %bb.7701:                             ;   in Loop: Header=BB4_6216 Depth=3
	s_or_b64 exec, exec, s[38:39]
	v_add_u32_e32 v2, 0xffffff81, v51
	v_mov_b32_e32 v9, 0xffffff82
	v_cndmask_b32_e32 v2, v2, v9, vcc
	v_lshrrev_b32_e32 v9, 23, v8
	v_add3_u32 v51, v54, v2, v9
	v_add_u32_e32 v13, 6, v51
	v_and_b32_e32 v2, 0xfffff, v12
	v_add_u32_e32 v2, v2, v8
	v_cmp_ne_u32_e32 vcc, 0, v13
                                        ; implicit-def: $vgpr8_vgpr9
                                        ; implicit-def: $vgpr12
	s_and_saveexec_b64 s[28:29], vcc
	s_xor_b64 s[28:29], exec, s[28:29]
; %bb.7702:                             ;   in Loop: Header=BB4_6216 Depth=3
	v_cmp_lt_u64_e32 vcc, s[74:75], v[2:3]
	v_add_u32_e32 v8, 7, v51
	v_cndmask_b32_e32 v12, v13, v8, vcc
	v_cndmask_b32_e64 v8, 0, 1, vcc
	v_lshrrev_b64 v[8:9], v8, v[2:3]
; %bb.7703:                             ;   in Loop: Header=BB4_6216 Depth=3
	s_andn2_saveexec_b64 s[28:29], s[28:29]
; %bb.7704:                             ;   in Loop: Header=BB4_6216 Depth=3
	v_mov_b32_e32 v9, v3
	v_mov_b32_e32 v8, v2
	v_bfe_u32 v12, v2, 23, 1
; %bb.7705:                             ;   in Loop: Header=BB4_6216 Depth=3
	s_or_b64 exec, exec, s[28:29]
	v_lshrrev_b64 v[8:9], 20, v[8:9]
	v_cmp_gt_i32_e32 vcc, 16, v12
	v_cndmask_b32_e32 v9, 0, v9, vcc
	v_cndmask_b32_e32 v8, 7, v8, vcc
	v_min_i32_e32 v2, 15, v12
	v_cmp_eq_u64_e64 s[28:29], 0, v[8:9]
	v_lshlrev_b32_e32 v2, 3, v2
	v_cmp_eq_u32_e32 vcc, 0, v12
	v_and_b32_e32 v2, 0xf8, v2
	v_and_or_b32 v2, v8, 7, v2
	s_and_b64 s[28:29], vcc, s[28:29]
	v_cndmask_b32_e64 v2, v2, 0, s[28:29]
	v_or_b32_e32 v51, v2, v53
.LBB4_7706:                             ;   in Loop: Header=BB4_6216 Depth=3
	s_or_b64 exec, exec, s[36:37]
                                        ; implicit-def: $vgpr53
.LBB4_7707:                             ;   in Loop: Header=BB4_6216 Depth=3
	s_andn2_saveexec_b64 s[28:29], s[34:35]
; %bb.7708:                             ;   in Loop: Header=BB4_6216 Depth=3
	v_or_b32_e32 v51, 0x7e, v53
; %bb.7709:                             ;   in Loop: Header=BB4_6216 Depth=3
	s_or_b64 exec, exec, s[28:29]
                                        ; implicit-def: $vgpr8
.LBB4_7710:                             ;   in Loop: Header=BB4_6216 Depth=3
	s_andn2_saveexec_b64 s[28:29], s[30:31]
; %bb.7711:                             ;   in Loop: Header=BB4_6216 Depth=3
	v_or_b32_sdwa v51, v8, s68 dst_sel:DWORD dst_unused:UNUSED_PAD src0_sel:BYTE_3 src1_sel:DWORD
; %bb.7712:                             ;   in Loop: Header=BB4_6216 Depth=3
	s_or_b64 exec, exec, s[28:29]
	buffer_load_dword v8, off, s[0:3], s33 offset:204 ; 4-byte Folded Reload
	v_lshlrev_b32_e32 v2, 24, v24
	v_lshl_or_b32 v24, v61, 8, v6
	v_cmp_ne_u32_e32 vcc, 0, v6
	v_mov_b32_e32 v9, 0
	s_waitcnt vmcnt(0)
	v_lshlrev_b32_e32 v8, 16, v8
	v_or3_b32 v2, v8, v2, v24
	v_mov_b32_e32 v8, 0
	s_and_saveexec_b64 s[28:29], vcc
	s_cbranch_execz .LBB4_7718
; %bb.7713:                             ;   in Loop: Header=BB4_6216 Depth=3
	v_cmp_ne_u32_e32 vcc, s70, v6
	v_bfrev_b32_e32 v8, 1
	s_and_saveexec_b64 s[30:31], vcc
	s_cbranch_execz .LBB4_7717
; %bb.7714:                             ;   in Loop: Header=BB4_6216 Depth=3
	v_and_b32_e32 v12, 0x7f, v6
	v_cmp_ne_u32_e32 vcc, s68, v12
	v_mov_b32_e32 v8, 0x7f800001
	s_and_saveexec_b64 s[34:35], vcc
	s_cbranch_execz .LBB4_7716
; %bb.7715:                             ;   in Loop: Header=BB4_6216 Depth=3
	v_and_b32_e32 v6, 7, v6
	v_ffbh_u32_e32 v6, v6
	v_min_u32_e32 v6, 32, v6
	v_lshrrev_b32_e32 v8, 3, v12
	v_cmp_gt_u32_e32 vcc, 8, v12
	v_subrev_u32_e32 v12, 28, v6
	v_sub_u32_e32 v6, 29, v6
	v_cndmask_b32_e32 v6, v8, v6, vcc
	v_cndmask_b32_e32 v8, 0, v12, vcc
	v_lshlrev_b64 v[12:13], v8, v[2:3]
	v_lshl_add_u32 v6, v6, 23, v5
	v_lshlrev_b32_e32 v8, 20, v12
	v_lshlrev_b32_e32 v12, 24, v2
	v_and_b32_e32 v8, 0x700000, v8
	v_and_b32_e32 v12, 0x80000000, v12
	v_or3_b32 v8, v12, v6, v8
.LBB4_7716:                             ;   in Loop: Header=BB4_6216 Depth=3
	s_or_b64 exec, exec, s[34:35]
.LBB4_7717:                             ;   in Loop: Header=BB4_6216 Depth=3
	s_or_b64 exec, exec, s[30:31]
.LBB4_7718:                             ;   in Loop: Header=BB4_6216 Depth=3
	s_or_b64 exec, exec, s[28:29]
	v_cmp_ne_u16_sdwa vcc, v11, v3 src0_sel:BYTE_0 src1_sel:DWORD
	s_and_saveexec_b64 s[28:29], vcc
	s_cbranch_execz .LBB4_7724
; %bb.7719:                             ;   in Loop: Header=BB4_6216 Depth=3
	v_cmp_ne_u16_sdwa vcc, v11, s70 src0_sel:BYTE_0 src1_sel:DWORD
	v_bfrev_b32_e32 v9, 1
	s_and_saveexec_b64 s[30:31], vcc
	s_cbranch_execz .LBB4_7723
; %bb.7720:                             ;   in Loop: Header=BB4_6216 Depth=3
	v_and_b32_e32 v6, 0x7f, v11
	v_cmp_ne_u32_e32 vcc, s68, v6
	v_mov_b32_e32 v9, 0x7f800001
	s_and_saveexec_b64 s[34:35], vcc
	s_cbranch_execz .LBB4_7722
; %bb.7721:                             ;   in Loop: Header=BB4_6216 Depth=3
	v_and_b32_e32 v9, 7, v11
	v_lshrrev_b32_e32 v22, 3, v6
	v_cmp_gt_u32_e32 vcc, 8, v6
	v_ffbh_u32_e32 v6, v9
	v_min_u32_e32 v6, 32, v6
	v_subrev_u32_e32 v9, 28, v6
	v_mov_b32_e32 v12, v11
	v_mov_b32_e32 v13, v3
	v_cndmask_b32_e32 v9, 0, v9, vcc
	v_lshlrev_b64 v[53:54], v9, v[12:13]
	v_sub_u32_e32 v6, 29, v6
	v_cndmask_b32_e32 v6, v22, v6, vcc
	v_lshlrev_b32_e32 v9, 20, v53
	v_lshlrev_b32_e32 v12, 24, v12
	v_and_b32_e32 v9, 0x700000, v9
	v_and_b32_e32 v12, 0x80000000, v12
	v_lshl_add_u32 v6, v6, 23, v5
	v_or3_b32 v9, v12, v6, v9
.LBB4_7722:                             ;   in Loop: Header=BB4_6216 Depth=3
	s_or_b64 exec, exec, s[34:35]
.LBB4_7723:                             ;   in Loop: Header=BB4_6216 Depth=3
	s_or_b64 exec, exec, s[30:31]
.LBB4_7724:                             ;   in Loop: Header=BB4_6216 Depth=3
	s_or_b64 exec, exec, s[28:29]
	v_add_f32_e32 v8, v8, v9
	v_and_b32_e32 v12, 0x7f800000, v8
	v_mov_b32_e32 v13, v3
	v_cmp_ne_u64_e32 vcc, s[62:63], v[12:13]
                                        ; implicit-def: $vgpr6
	s_and_saveexec_b64 s[28:29], vcc
	s_xor_b64 s[30:31], exec, s[28:29]
	s_cbranch_execz .LBB4_7738
; %bb.7725:                             ;   in Loop: Header=BB4_6216 Depth=3
	v_and_b32_e32 v12, 0x7fffffff, v8
	v_mov_b32_e32 v13, v3
	v_cmp_gt_u64_e32 vcc, s[72:73], v[12:13]
	v_and_b32_sdwa v31, v8, s70 dst_sel:DWORD dst_unused:UNUSED_PAD src0_sel:BYTE_3 src1_sel:DWORD
                                        ; implicit-def: $vgpr6
	s_and_saveexec_b64 s[28:29], vcc
	s_xor_b64 s[34:35], exec, s[28:29]
	s_cbranch_execz .LBB4_7735
; %bb.7726:                             ;   in Loop: Header=BB4_6216 Depth=3
	v_mov_b32_e32 v6, 0
	v_cmp_ne_u32_e32 vcc, 0, v8
	s_and_saveexec_b64 s[36:37], vcc
	s_cbranch_execz .LBB4_7734
; %bb.7727:                             ;   in Loop: Header=BB4_6216 Depth=3
	v_bfe_u32 v6, v8, 23, 8
	v_and_b32_e32 v9, 0x7fffff, v8
	v_cmp_gt_u32_e64 s[28:29], s71, v6
	v_sub_u32_e32 v8, 0x79, v6
	v_cmp_eq_u32_e32 vcc, 0, v6
	v_cndmask_b32_e64 v8, 0, v8, s[28:29]
	v_mov_b32_e32 v13, 0x78
	v_or_b32_e32 v12, 0x800000, v9
	v_cndmask_b32_e32 v53, v8, v13, vcc
	v_cndmask_b32_e32 v8, v12, v9, vcc
	v_add_u32_e32 v12, 20, v53
	v_lshlrev_b64 v[12:13], v12, -1
	v_mov_b32_e32 v9, v3
	v_add_u32_e32 v22, 19, v53
	v_bfi_b32 v12, v12, 0, v8
	v_lshlrev_b64 v[40:41], v22, 1
	v_lshrrev_b64 v[8:9], v53, v[8:9]
	v_bfi_b32 v13, v13, 0, 0
	v_cmp_eq_u64_e64 s[28:29], v[12:13], v[40:41]
	v_mov_b32_e32 v13, v9
	v_mov_b32_e32 v12, v8
	s_and_saveexec_b64 s[38:39], s[28:29]
; %bb.7728:                             ;   in Loop: Header=BB4_6216 Depth=3
	v_bfe_u32 v9, v8, 20, 1
	v_add_co_u32_e64 v9, s[28:29], v8, v9
	v_add_co_u32_e64 v12, s[28:29], -1, v9
; %bb.7729:                             ;   in Loop: Header=BB4_6216 Depth=3
	s_or_b64 exec, exec, s[38:39]
	v_add_u32_e32 v6, 0xffffff81, v6
	v_mov_b32_e32 v9, 0xffffff82
	v_cndmask_b32_e32 v6, v6, v9, vcc
	v_lshrrev_b32_e32 v9, 23, v8
	v_add3_u32 v53, v53, v6, v9
	v_add_u32_e32 v13, 6, v53
	v_and_b32_e32 v6, 0xfffff, v12
	v_add_u32_e32 v8, v6, v8
	v_mov_b32_e32 v9, v3
	v_cmp_ne_u32_e32 vcc, 0, v13
                                        ; implicit-def: $vgpr6
	s_and_saveexec_b64 s[28:29], vcc
	s_xor_b64 s[28:29], exec, s[28:29]
; %bb.7730:                             ;   in Loop: Header=BB4_6216 Depth=3
	v_cmp_lt_u64_e32 vcc, s[74:75], v[8:9]
	v_add_u32_e32 v6, 7, v53
	v_cndmask_b32_e64 v12, 0, 1, vcc
	v_lshrrev_b64 v[8:9], v12, v[8:9]
	v_cndmask_b32_e32 v6, v13, v6, vcc
; %bb.7731:                             ;   in Loop: Header=BB4_6216 Depth=3
	s_andn2_saveexec_b64 s[28:29], s[28:29]
; %bb.7732:                             ;   in Loop: Header=BB4_6216 Depth=3
	v_bfe_u32 v6, v8, 23, 1
; %bb.7733:                             ;   in Loop: Header=BB4_6216 Depth=3
	s_or_b64 exec, exec, s[28:29]
	v_lshrrev_b64 v[8:9], 20, v[8:9]
	v_cmp_gt_i32_e32 vcc, 16, v6
	v_cndmask_b32_e32 v9, 0, v9, vcc
	v_cndmask_b32_e32 v8, 7, v8, vcc
	v_cmp_eq_u32_e32 vcc, 0, v6
	v_min_i32_e32 v6, 15, v6
	v_cmp_eq_u64_e64 s[28:29], 0, v[8:9]
	v_lshlrev_b32_e32 v6, 3, v6
	v_and_b32_e32 v6, 0xf8, v6
	v_and_or_b32 v6, v8, 7, v6
	s_and_b64 s[28:29], vcc, s[28:29]
	v_cndmask_b32_e64 v6, v6, 0, s[28:29]
	v_or_b32_e32 v6, v6, v31
.LBB4_7734:                             ;   in Loop: Header=BB4_6216 Depth=3
	s_or_b64 exec, exec, s[36:37]
                                        ; implicit-def: $vgpr31
.LBB4_7735:                             ;   in Loop: Header=BB4_6216 Depth=3
	s_andn2_saveexec_b64 s[28:29], s[34:35]
; %bb.7736:                             ;   in Loop: Header=BB4_6216 Depth=3
	v_or_b32_e32 v6, 0x7e, v31
; %bb.7737:                             ;   in Loop: Header=BB4_6216 Depth=3
	s_or_b64 exec, exec, s[28:29]
                                        ; implicit-def: $vgpr8
.LBB4_7738:                             ;   in Loop: Header=BB4_6216 Depth=3
	s_andn2_saveexec_b64 s[28:29], s[30:31]
; %bb.7739:                             ;   in Loop: Header=BB4_6216 Depth=3
	v_or_b32_sdwa v6, v8, s68 dst_sel:DWORD dst_unused:UNUSED_PAD src0_sel:BYTE_3 src1_sel:DWORD
; %bb.7740:                             ;   in Loop: Header=BB4_6216 Depth=3
	s_or_b64 exec, exec, s[28:29]
	v_lshrrev_b16_e32 v8, 8, v24
	v_cmp_ne_u16_e32 vcc, 0, v8
	v_mov_b32_e32 v9, 0
	v_mov_b32_e32 v12, 0
	s_and_saveexec_b64 s[28:29], vcc
	s_cbranch_execz .LBB4_7746
; %bb.7741:                             ;   in Loop: Header=BB4_6216 Depth=3
	v_cmp_ne_u16_e32 vcc, s70, v8
	v_bfrev_b32_e32 v12, 1
	s_and_saveexec_b64 s[30:31], vcc
	s_cbranch_execz .LBB4_7745
; %bb.7742:                             ;   in Loop: Header=BB4_6216 Depth=3
	v_and_b32_e32 v13, 0x7f, v8
	v_cmp_ne_u32_e32 vcc, s68, v13
	v_mov_b32_e32 v12, 0x7f800001
	s_and_saveexec_b64 s[34:35], vcc
	s_cbranch_execz .LBB4_7744
; %bb.7743:                             ;   in Loop: Header=BB4_6216 Depth=3
	v_and_b32_e32 v22, 7, v8
	v_ffbh_u32_e32 v12, v22
	v_min_u32_e32 v31, 32, v12
	v_subrev_u32_e32 v12, 28, v31
	v_lshrrev_b32_e32 v23, 3, v13
	v_cmp_gt_u32_e32 vcc, 8, v13
	v_lshlrev_b64 v[12:13], v12, v[8:9]
	v_sub_u32_e32 v8, 29, v31
	v_and_b32_e32 v12, 7, v12
	v_cndmask_b32_e32 v8, v23, v8, vcc
	v_cndmask_b32_e32 v12, v22, v12, vcc
	v_lshlrev_b32_e32 v13, 16, v24
	v_lshlrev_b32_e32 v12, 20, v12
	v_and_b32_e32 v13, 0x80000000, v13
	v_lshl_add_u32 v8, v8, 23, v5
	v_or3_b32 v12, v13, v8, v12
.LBB4_7744:                             ;   in Loop: Header=BB4_6216 Depth=3
	s_or_b64 exec, exec, s[34:35]
.LBB4_7745:                             ;   in Loop: Header=BB4_6216 Depth=3
	s_or_b64 exec, exec, s[30:31]
.LBB4_7746:                             ;   in Loop: Header=BB4_6216 Depth=3
	s_or_b64 exec, exec, s[28:29]
	v_lshrrev_b16_e32 v8, 8, v11
	v_cmp_ne_u16_e32 vcc, 0, v8
	s_and_saveexec_b64 s[28:29], vcc
	s_cbranch_execz .LBB4_7752
; %bb.7747:                             ;   in Loop: Header=BB4_6216 Depth=3
	v_cmp_ne_u16_e32 vcc, s70, v8
	v_bfrev_b32_e32 v9, 1
	s_and_saveexec_b64 s[30:31], vcc
	s_cbranch_execz .LBB4_7751
; %bb.7748:                             ;   in Loop: Header=BB4_6216 Depth=3
	v_and_b32_e32 v13, 0x7f, v8
	v_cmp_ne_u32_e32 vcc, s68, v13
	v_mov_b32_e32 v9, 0x7f800001
	s_and_saveexec_b64 s[34:35], vcc
	s_cbranch_execz .LBB4_7750
; %bb.7749:                             ;   in Loop: Header=BB4_6216 Depth=3
	v_and_b32_e32 v22, 7, v8
	v_ffbh_u32_e32 v9, v22
	v_lshrrev_b32_e32 v23, 3, v13
	v_cmp_gt_u32_e32 vcc, 8, v13
	v_min_u32_e32 v13, 32, v9
	v_subrev_u32_e32 v9, 28, v13
	v_lshlrev_b64 v[8:9], v9, v[8:9]
	v_sub_u32_e32 v9, 29, v13
	v_and_b32_e32 v8, 7, v8
	v_cndmask_b32_e32 v9, v23, v9, vcc
	v_cndmask_b32_e32 v8, v22, v8, vcc
	v_lshlrev_b32_e32 v13, 16, v11
	v_lshlrev_b32_e32 v8, 20, v8
	v_and_b32_e32 v13, 0x80000000, v13
	v_lshl_add_u32 v9, v9, 23, v5
	v_or3_b32 v9, v13, v9, v8
.LBB4_7750:                             ;   in Loop: Header=BB4_6216 Depth=3
	s_or_b64 exec, exec, s[34:35]
.LBB4_7751:                             ;   in Loop: Header=BB4_6216 Depth=3
	s_or_b64 exec, exec, s[30:31]
.LBB4_7752:                             ;   in Loop: Header=BB4_6216 Depth=3
	s_or_b64 exec, exec, s[28:29]
	v_add_f32_e32 v8, v12, v9
	v_and_b32_e32 v12, 0x7f800000, v8
	v_mov_b32_e32 v13, v3
	v_cmp_ne_u64_e32 vcc, s[62:63], v[12:13]
                                        ; implicit-def: $vgpr24
	s_and_saveexec_b64 s[28:29], vcc
	s_xor_b64 s[30:31], exec, s[28:29]
	s_cbranch_execz .LBB4_7766
; %bb.7753:                             ;   in Loop: Header=BB4_6216 Depth=3
	v_and_b32_e32 v12, 0x7fffffff, v8
	v_mov_b32_e32 v13, v3
	v_cmp_gt_u64_e32 vcc, s[72:73], v[12:13]
	v_and_b32_sdwa v31, v8, s70 dst_sel:DWORD dst_unused:UNUSED_PAD src0_sel:BYTE_3 src1_sel:DWORD
                                        ; implicit-def: $vgpr24
	s_and_saveexec_b64 s[28:29], vcc
	s_xor_b64 s[34:35], exec, s[28:29]
	s_cbranch_execz .LBB4_7763
; %bb.7754:                             ;   in Loop: Header=BB4_6216 Depth=3
	v_mov_b32_e32 v24, 0
	v_cmp_ne_u32_e32 vcc, 0, v8
	s_and_saveexec_b64 s[36:37], vcc
	s_cbranch_execz .LBB4_7762
; %bb.7755:                             ;   in Loop: Header=BB4_6216 Depth=3
	v_bfe_u32 v24, v8, 23, 8
	v_and_b32_e32 v9, 0x7fffff, v8
	v_cmp_gt_u32_e64 s[28:29], s71, v24
	v_sub_u32_e32 v8, 0x79, v24
	v_cmp_eq_u32_e32 vcc, 0, v24
	v_cndmask_b32_e64 v8, 0, v8, s[28:29]
	v_mov_b32_e32 v13, 0x78
	v_or_b32_e32 v12, 0x800000, v9
	v_cndmask_b32_e32 v53, v8, v13, vcc
	v_cndmask_b32_e32 v8, v12, v9, vcc
	v_add_u32_e32 v12, 20, v53
	v_lshlrev_b64 v[12:13], v12, -1
	v_mov_b32_e32 v9, v3
	v_add_u32_e32 v22, 19, v53
	v_bfi_b32 v12, v12, 0, v8
	v_lshlrev_b64 v[40:41], v22, 1
	v_lshrrev_b64 v[8:9], v53, v[8:9]
	v_bfi_b32 v13, v13, 0, 0
	v_cmp_eq_u64_e64 s[28:29], v[12:13], v[40:41]
	v_mov_b32_e32 v13, v9
	v_mov_b32_e32 v12, v8
	s_and_saveexec_b64 s[38:39], s[28:29]
; %bb.7756:                             ;   in Loop: Header=BB4_6216 Depth=3
	v_bfe_u32 v9, v8, 20, 1
	v_add_co_u32_e64 v9, s[28:29], v8, v9
	v_add_co_u32_e64 v12, s[28:29], -1, v9
; %bb.7757:                             ;   in Loop: Header=BB4_6216 Depth=3
	s_or_b64 exec, exec, s[38:39]
	v_add_u32_e32 v9, 0xffffff81, v24
	v_mov_b32_e32 v13, 0xffffff82
	v_cndmask_b32_e32 v9, v9, v13, vcc
	v_lshrrev_b32_e32 v13, 23, v8
	v_add3_u32 v24, v53, v9, v13
	v_add_u32_e32 v13, 6, v24
	v_and_b32_e32 v9, 0xfffff, v12
	v_add_u32_e32 v8, v9, v8
	v_mov_b32_e32 v9, v3
	v_cmp_ne_u32_e32 vcc, 0, v13
                                        ; implicit-def: $vgpr12
	s_and_saveexec_b64 s[28:29], vcc
	s_xor_b64 s[28:29], exec, s[28:29]
; %bb.7758:                             ;   in Loop: Header=BB4_6216 Depth=3
	v_cmp_lt_u64_e32 vcc, s[74:75], v[8:9]
	v_add_u32_e32 v12, 7, v24
	v_cndmask_b32_e32 v12, v13, v12, vcc
	v_cndmask_b32_e64 v13, 0, 1, vcc
	v_lshrrev_b64 v[8:9], v13, v[8:9]
; %bb.7759:                             ;   in Loop: Header=BB4_6216 Depth=3
	s_andn2_saveexec_b64 s[28:29], s[28:29]
; %bb.7760:                             ;   in Loop: Header=BB4_6216 Depth=3
	v_bfe_u32 v12, v8, 23, 1
; %bb.7761:                             ;   in Loop: Header=BB4_6216 Depth=3
	s_or_b64 exec, exec, s[28:29]
	v_lshrrev_b64 v[8:9], 20, v[8:9]
	v_cmp_gt_i32_e32 vcc, 16, v12
	v_cndmask_b32_e32 v9, 0, v9, vcc
	v_cndmask_b32_e32 v8, 7, v8, vcc
	v_cmp_eq_u64_e64 s[28:29], 0, v[8:9]
	v_min_i32_e32 v9, 15, v12
	v_lshlrev_b32_e32 v9, 3, v9
	v_cmp_eq_u32_e32 vcc, 0, v12
	v_and_b32_e32 v9, 0xf8, v9
	v_and_or_b32 v8, v8, 7, v9
	s_and_b64 s[28:29], vcc, s[28:29]
	v_cndmask_b32_e64 v8, v8, 0, s[28:29]
	v_or_b32_e32 v24, v8, v31
.LBB4_7762:                             ;   in Loop: Header=BB4_6216 Depth=3
	s_or_b64 exec, exec, s[36:37]
                                        ; implicit-def: $vgpr31
.LBB4_7763:                             ;   in Loop: Header=BB4_6216 Depth=3
	s_andn2_saveexec_b64 s[28:29], s[34:35]
; %bb.7764:                             ;   in Loop: Header=BB4_6216 Depth=3
	v_or_b32_e32 v24, 0x7e, v31
; %bb.7765:                             ;   in Loop: Header=BB4_6216 Depth=3
	s_or_b64 exec, exec, s[28:29]
                                        ; implicit-def: $vgpr8
.LBB4_7766:                             ;   in Loop: Header=BB4_6216 Depth=3
	s_andn2_saveexec_b64 s[28:29], s[30:31]
; %bb.7767:                             ;   in Loop: Header=BB4_6216 Depth=3
	v_or_b32_sdwa v24, v8, s68 dst_sel:DWORD dst_unused:UNUSED_PAD src0_sel:BYTE_3 src1_sel:DWORD
; %bb.7768:                             ;   in Loop: Header=BB4_6216 Depth=3
	s_or_b64 exec, exec, s[28:29]
	v_lshrrev_b32_e32 v8, 16, v2
	v_cmp_ne_u16_sdwa vcc, v8, v3 src0_sel:BYTE_0 src1_sel:DWORD
	v_mov_b32_e32 v9, 0
	v_mov_b32_e32 v12, 0
	s_and_saveexec_b64 s[28:29], vcc
	s_cbranch_execz .LBB4_7774
; %bb.7769:                             ;   in Loop: Header=BB4_6216 Depth=3
	v_cmp_ne_u16_sdwa vcc, v8, s70 src0_sel:BYTE_0 src1_sel:DWORD
	v_bfrev_b32_e32 v12, 1
	s_and_saveexec_b64 s[30:31], vcc
	s_cbranch_execz .LBB4_7773
; %bb.7770:                             ;   in Loop: Header=BB4_6216 Depth=3
	v_bfe_u32 v13, v2, 16, 7
	v_cmp_ne_u32_e32 vcc, s68, v13
	v_mov_b32_e32 v12, 0x7f800001
	s_and_saveexec_b64 s[34:35], vcc
	s_cbranch_execz .LBB4_7772
; %bb.7771:                             ;   in Loop: Header=BB4_6216 Depth=3
	v_and_b32_e32 v22, 7, v8
	v_ffbh_u32_e32 v12, v22
	v_min_u32_e32 v31, 32, v12
	v_subrev_u32_e32 v12, 28, v31
	v_lshrrev_b32_e32 v23, 3, v13
	v_cmp_gt_u32_e32 vcc, 8, v13
	v_lshlrev_b64 v[12:13], v12, v[8:9]
	v_sub_u32_e32 v13, 29, v31
	v_and_b32_e32 v12, 7, v12
	v_cndmask_b32_e32 v13, v23, v13, vcc
	v_cndmask_b32_e32 v12, v22, v12, vcc
	v_lshlrev_b32_e32 v8, 24, v8
	v_lshlrev_b32_e32 v12, 20, v12
	v_and_b32_e32 v8, 0x80000000, v8
	v_lshl_add_u32 v13, v13, 23, v5
	v_or3_b32 v12, v8, v13, v12
.LBB4_7772:                             ;   in Loop: Header=BB4_6216 Depth=3
	s_or_b64 exec, exec, s[34:35]
.LBB4_7773:                             ;   in Loop: Header=BB4_6216 Depth=3
	s_or_b64 exec, exec, s[30:31]
.LBB4_7774:                             ;   in Loop: Header=BB4_6216 Depth=3
	s_or_b64 exec, exec, s[28:29]
	v_lshrrev_b32_e32 v8, 16, v11
	v_cmp_ne_u16_sdwa vcc, v8, v3 src0_sel:BYTE_0 src1_sel:DWORD
	s_and_saveexec_b64 s[28:29], vcc
	s_cbranch_execz .LBB4_7780
; %bb.7775:                             ;   in Loop: Header=BB4_6216 Depth=3
	v_cmp_ne_u16_sdwa vcc, v8, s70 src0_sel:BYTE_0 src1_sel:DWORD
	v_bfrev_b32_e32 v9, 1
	s_and_saveexec_b64 s[30:31], vcc
	s_cbranch_execz .LBB4_7779
; %bb.7776:                             ;   in Loop: Header=BB4_6216 Depth=3
	v_bfe_u32 v13, v11, 16, 7
	v_cmp_ne_u32_e32 vcc, s68, v13
	v_mov_b32_e32 v9, 0x7f800001
	s_and_saveexec_b64 s[34:35], vcc
	s_cbranch_execz .LBB4_7778
; %bb.7777:                             ;   in Loop: Header=BB4_6216 Depth=3
	v_and_b32_e32 v22, 7, v8
	v_ffbh_u32_e32 v9, v22
	v_lshrrev_b32_e32 v23, 3, v13
	v_cmp_gt_u32_e32 vcc, 8, v13
	v_min_u32_e32 v13, 32, v9
	v_subrev_u32_e32 v9, 28, v13
	v_lshlrev_b64 v[8:9], v9, v[8:9]
	v_sub_u32_e32 v9, 29, v13
	v_and_b32_e32 v8, 7, v8
	v_cndmask_b32_e32 v9, v23, v9, vcc
	v_cndmask_b32_e32 v8, v22, v8, vcc
	v_lshlrev_b32_e32 v13, 8, v11
	v_lshlrev_b32_e32 v8, 20, v8
	v_and_b32_e32 v13, 0x80000000, v13
	v_lshl_add_u32 v9, v9, 23, v5
	v_or3_b32 v9, v13, v9, v8
.LBB4_7778:                             ;   in Loop: Header=BB4_6216 Depth=3
	s_or_b64 exec, exec, s[34:35]
.LBB4_7779:                             ;   in Loop: Header=BB4_6216 Depth=3
	s_or_b64 exec, exec, s[30:31]
.LBB4_7780:                             ;   in Loop: Header=BB4_6216 Depth=3
	s_or_b64 exec, exec, s[28:29]
	v_add_f32_e32 v8, v12, v9
	v_and_b32_e32 v12, 0x7f800000, v8
	v_mov_b32_e32 v13, v3
	v_cmp_ne_u64_e32 vcc, s[62:63], v[12:13]
                                        ; implicit-def: $vgpr12
	s_and_saveexec_b64 s[28:29], vcc
	s_xor_b64 s[30:31], exec, s[28:29]
	s_cbranch_execz .LBB4_7794
; %bb.7781:                             ;   in Loop: Header=BB4_6216 Depth=3
	v_and_b32_e32 v12, 0x7fffffff, v8
	v_mov_b32_e32 v13, v3
	v_cmp_gt_u64_e32 vcc, s[72:73], v[12:13]
	v_and_b32_sdwa v31, v8, s70 dst_sel:DWORD dst_unused:UNUSED_PAD src0_sel:BYTE_3 src1_sel:DWORD
                                        ; implicit-def: $vgpr12
	s_and_saveexec_b64 s[28:29], vcc
	s_xor_b64 s[34:35], exec, s[28:29]
	s_cbranch_execz .LBB4_7791
; %bb.7782:                             ;   in Loop: Header=BB4_6216 Depth=3
	v_mov_b32_e32 v12, 0
	v_cmp_ne_u32_e32 vcc, 0, v8
	s_and_saveexec_b64 s[36:37], vcc
	s_cbranch_execz .LBB4_7790
; %bb.7783:                             ;   in Loop: Header=BB4_6216 Depth=3
	v_bfe_u32 v53, v8, 23, 8
	v_and_b32_e32 v9, 0x7fffff, v8
	v_cmp_gt_u32_e64 s[28:29], s71, v53
	v_sub_u32_e32 v8, 0x79, v53
	v_cmp_eq_u32_e32 vcc, 0, v53
	v_cndmask_b32_e64 v8, 0, v8, s[28:29]
	v_mov_b32_e32 v13, 0x78
	v_or_b32_e32 v12, 0x800000, v9
	v_cndmask_b32_e32 v54, v8, v13, vcc
	v_cndmask_b32_e32 v8, v12, v9, vcc
	v_add_u32_e32 v12, 20, v54
	v_lshlrev_b64 v[12:13], v12, -1
	v_mov_b32_e32 v9, v3
	v_add_u32_e32 v22, 19, v54
	v_bfi_b32 v12, v12, 0, v8
	v_lshlrev_b64 v[40:41], v22, 1
	v_lshrrev_b64 v[8:9], v54, v[8:9]
	v_bfi_b32 v13, v13, 0, 0
	v_cmp_eq_u64_e64 s[28:29], v[12:13], v[40:41]
	v_mov_b32_e32 v13, v9
	v_mov_b32_e32 v12, v8
	s_and_saveexec_b64 s[38:39], s[28:29]
; %bb.7784:                             ;   in Loop: Header=BB4_6216 Depth=3
	v_bfe_u32 v9, v8, 20, 1
	v_add_co_u32_e64 v9, s[28:29], v8, v9
	v_add_co_u32_e64 v12, s[28:29], -1, v9
; %bb.7785:                             ;   in Loop: Header=BB4_6216 Depth=3
	s_or_b64 exec, exec, s[38:39]
	v_add_u32_e32 v9, 0xffffff81, v53
	v_mov_b32_e32 v13, 0xffffff82
	v_cndmask_b32_e32 v9, v9, v13, vcc
	v_lshrrev_b32_e32 v13, 23, v8
	v_add3_u32 v53, v54, v9, v13
	v_add_u32_e32 v13, 6, v53
	v_and_b32_e32 v9, 0xfffff, v12
	v_add_u32_e32 v8, v9, v8
	v_mov_b32_e32 v9, v3
	v_cmp_ne_u32_e32 vcc, 0, v13
                                        ; implicit-def: $vgpr12
	s_and_saveexec_b64 s[28:29], vcc
	s_xor_b64 s[28:29], exec, s[28:29]
; %bb.7786:                             ;   in Loop: Header=BB4_6216 Depth=3
	v_cmp_lt_u64_e32 vcc, s[74:75], v[8:9]
	v_add_u32_e32 v12, 7, v53
	v_cndmask_b32_e32 v12, v13, v12, vcc
	v_cndmask_b32_e64 v13, 0, 1, vcc
	v_lshrrev_b64 v[8:9], v13, v[8:9]
; %bb.7787:                             ;   in Loop: Header=BB4_6216 Depth=3
	s_andn2_saveexec_b64 s[28:29], s[28:29]
; %bb.7788:                             ;   in Loop: Header=BB4_6216 Depth=3
	v_bfe_u32 v12, v8, 23, 1
; %bb.7789:                             ;   in Loop: Header=BB4_6216 Depth=3
	s_or_b64 exec, exec, s[28:29]
	v_lshrrev_b64 v[8:9], 20, v[8:9]
	v_cmp_gt_i32_e32 vcc, 16, v12
	v_cndmask_b32_e32 v9, 0, v9, vcc
	v_cndmask_b32_e32 v8, 7, v8, vcc
	v_cmp_eq_u64_e64 s[28:29], 0, v[8:9]
	v_min_i32_e32 v9, 15, v12
	v_lshlrev_b32_e32 v9, 3, v9
	v_cmp_eq_u32_e32 vcc, 0, v12
	v_and_b32_e32 v9, 0xf8, v9
	v_and_or_b32 v8, v8, 7, v9
	s_and_b64 s[28:29], vcc, s[28:29]
	v_cndmask_b32_e64 v8, v8, 0, s[28:29]
	v_or_b32_e32 v12, v8, v31
.LBB4_7790:                             ;   in Loop: Header=BB4_6216 Depth=3
	s_or_b64 exec, exec, s[36:37]
                                        ; implicit-def: $vgpr31
.LBB4_7791:                             ;   in Loop: Header=BB4_6216 Depth=3
	s_andn2_saveexec_b64 s[28:29], s[34:35]
; %bb.7792:                             ;   in Loop: Header=BB4_6216 Depth=3
	v_or_b32_e32 v12, 0x7e, v31
; %bb.7793:                             ;   in Loop: Header=BB4_6216 Depth=3
	s_or_b64 exec, exec, s[28:29]
                                        ; implicit-def: $vgpr8
.LBB4_7794:                             ;   in Loop: Header=BB4_6216 Depth=3
	s_andn2_saveexec_b64 s[28:29], s[30:31]
; %bb.7795:                             ;   in Loop: Header=BB4_6216 Depth=3
	v_or_b32_sdwa v12, v8, s68 dst_sel:DWORD dst_unused:UNUSED_PAD src0_sel:BYTE_3 src1_sel:DWORD
; %bb.7796:                             ;   in Loop: Header=BB4_6216 Depth=3
	s_or_b64 exec, exec, s[28:29]
	v_cmp_lt_u32_e32 vcc, s57, v2
	v_mov_b32_e32 v9, 0
	v_mov_b32_e32 v13, 0
	s_and_saveexec_b64 s[28:29], vcc
	s_cbranch_execz .LBB4_7802
; %bb.7797:                             ;   in Loop: Header=BB4_6216 Depth=3
	v_lshrrev_b32_e32 v8, 24, v2
	v_cmp_ne_u32_sdwa vcc, v2, s70 src0_sel:BYTE_3 src1_sel:DWORD
	v_bfrev_b32_e32 v13, 1
	s_and_saveexec_b64 s[30:31], vcc
	s_cbranch_execz .LBB4_7801
; %bb.7798:                             ;   in Loop: Header=BB4_6216 Depth=3
	v_bfe_u32 v31, v2, 24, 7
	v_cmp_ne_u32_e32 vcc, s68, v31
	v_mov_b32_e32 v13, 0x7f800001
	s_and_saveexec_b64 s[34:35], vcc
	s_cbranch_execz .LBB4_7800
; %bb.7799:                             ;   in Loop: Header=BB4_6216 Depth=3
	v_and_b32_e32 v13, 7, v8
	v_ffbh_u32_e32 v23, v13
	v_min_u32_e32 v23, 32, v23
	v_lshrrev_b32_e32 v22, 3, v31
	v_cmp_gt_u32_e32 vcc, 8, v31
	v_subrev_u32_e32 v31, 28, v23
	v_lshlrev_b64 v[53:54], v31, v[8:9]
	v_sub_u32_e32 v8, 29, v23
	v_and_b32_e32 v23, 7, v53
	v_cndmask_b32_e32 v8, v22, v8, vcc
	v_mov_b32_e32 v22, 24
	v_cndmask_b32_e32 v13, v13, v23, vcc
	v_lshlrev_b32_sdwa v2, v22, v2 dst_sel:DWORD dst_unused:UNUSED_PAD src0_sel:DWORD src1_sel:BYTE_3
	v_lshlrev_b32_e32 v13, 20, v13
	v_and_b32_e32 v2, 0x80000000, v2
	v_lshl_add_u32 v8, v8, 23, v5
	v_or3_b32 v13, v2, v8, v13
.LBB4_7800:                             ;   in Loop: Header=BB4_6216 Depth=3
	s_or_b64 exec, exec, s[34:35]
.LBB4_7801:                             ;   in Loop: Header=BB4_6216 Depth=3
	s_or_b64 exec, exec, s[30:31]
.LBB4_7802:                             ;   in Loop: Header=BB4_6216 Depth=3
	s_or_b64 exec, exec, s[28:29]
	v_cmp_lt_u64_e32 vcc, s[56:57], v[10:11]
	s_and_saveexec_b64 s[28:29], vcc
	s_cbranch_execz .LBB4_7808
; %bb.7803:                             ;   in Loop: Header=BB4_6216 Depth=3
	v_lshrrev_b32_e32 v2, 24, v11
	v_cmp_ne_u32_e32 vcc, s70, v2
	v_bfrev_b32_e32 v9, 1
	s_and_saveexec_b64 s[30:31], vcc
	s_cbranch_execz .LBB4_7807
; %bb.7804:                             ;   in Loop: Header=BB4_6216 Depth=3
	v_bfe_u32 v8, v11, 24, 7
	v_cmp_ne_u32_e32 vcc, s68, v8
	v_mov_b32_e32 v9, 0x7f800001
	s_and_saveexec_b64 s[34:35], vcc
	s_cbranch_execz .LBB4_7806
; %bb.7805:                             ;   in Loop: Header=BB4_6216 Depth=3
	v_and_b32_e32 v10, 7, v2
	v_lshrrev_b32_e32 v11, 3, v8
	v_cmp_gt_u32_e32 vcc, 8, v8
	v_ffbh_u32_e32 v8, v10
	v_min_u32_e32 v22, 32, v8
	v_subrev_u32_e32 v8, 28, v22
	v_lshlrev_b64 v[8:9], v8, v[2:3]
	v_sub_u32_e32 v9, 29, v22
	v_and_b32_e32 v8, 7, v8
	v_cndmask_b32_e32 v9, v11, v9, vcc
	v_cndmask_b32_e32 v8, v10, v8, vcc
	v_lshlrev_b32_e32 v2, 24, v2
	v_lshlrev_b32_e32 v8, 20, v8
	v_and_b32_e32 v2, 0x80000000, v2
	v_lshl_add_u32 v9, v9, 23, v5
	v_or3_b32 v9, v2, v9, v8
.LBB4_7806:                             ;   in Loop: Header=BB4_6216 Depth=3
	s_or_b64 exec, exec, s[34:35]
.LBB4_7807:                             ;   in Loop: Header=BB4_6216 Depth=3
	s_or_b64 exec, exec, s[30:31]
.LBB4_7808:                             ;   in Loop: Header=BB4_6216 Depth=3
	s_or_b64 exec, exec, s[28:29]
	v_add_f32_e32 v8, v13, v9
	v_and_b32_e32 v2, 0x7f800000, v8
	v_cmp_ne_u64_e32 vcc, s[62:63], v[2:3]
                                        ; implicit-def: $vgpr2
	s_and_saveexec_b64 s[28:29], vcc
	s_xor_b64 s[30:31], exec, s[28:29]
	s_cbranch_execz .LBB4_7822
; %bb.7809:                             ;   in Loop: Header=BB4_6216 Depth=3
	v_and_b32_e32 v2, 0x7fffffff, v8
	v_cmp_gt_u64_e32 vcc, s[72:73], v[2:3]
	v_and_b32_sdwa v11, v8, s70 dst_sel:DWORD dst_unused:UNUSED_PAD src0_sel:BYTE_3 src1_sel:DWORD
                                        ; implicit-def: $vgpr2
	s_and_saveexec_b64 s[28:29], vcc
	s_xor_b64 s[34:35], exec, s[28:29]
	s_cbranch_execz .LBB4_7819
; %bb.7810:                             ;   in Loop: Header=BB4_6216 Depth=3
	v_mov_b32_e32 v2, 0
	v_cmp_ne_u32_e32 vcc, 0, v8
	s_and_saveexec_b64 s[36:37], vcc
	s_cbranch_execz .LBB4_7818
; %bb.7811:                             ;   in Loop: Header=BB4_6216 Depth=3
	v_bfe_u32 v13, v8, 23, 8
	v_and_b32_e32 v2, 0x7fffff, v8
	v_cmp_gt_u32_e64 s[28:29], s71, v13
	v_sub_u32_e32 v8, 0x79, v13
	v_cmp_eq_u32_e32 vcc, 0, v13
	v_cndmask_b32_e64 v8, 0, v8, s[28:29]
	v_mov_b32_e32 v10, 0x78
	v_cndmask_b32_e32 v31, v8, v10, vcc
	v_or_b32_e32 v9, 0x800000, v2
	v_add_u32_e32 v8, 20, v31
	v_cndmask_b32_e32 v2, v9, v2, vcc
	v_lshlrev_b64 v[8:9], v8, -1
	v_add_u32_e32 v10, 19, v31
	v_lshlrev_b64 v[53:54], v10, 1
	v_bfi_b32 v9, v9, 0, 0
	v_bfi_b32 v8, v8, 0, v2
	v_cmp_eq_u64_e64 s[28:29], v[8:9], v[53:54]
	v_lshrrev_b64 v[8:9], v31, v[2:3]
	v_mov_b32_e32 v10, v9
	v_mov_b32_e32 v9, v8
	s_and_saveexec_b64 s[38:39], s[28:29]
; %bb.7812:                             ;   in Loop: Header=BB4_6216 Depth=3
	v_bfe_u32 v2, v8, 20, 1
	v_add_co_u32_e64 v2, s[28:29], v8, v2
	v_add_co_u32_e64 v9, s[28:29], -1, v2
; %bb.7813:                             ;   in Loop: Header=BB4_6216 Depth=3
	s_or_b64 exec, exec, s[38:39]
	v_add_u32_e32 v2, 0xffffff81, v13
	v_mov_b32_e32 v10, 0xffffff82
	v_cndmask_b32_e32 v2, v2, v10, vcc
	v_lshrrev_b32_e32 v10, 23, v8
	v_add3_u32 v31, v31, v2, v10
	v_add_u32_e32 v13, 6, v31
	v_and_b32_e32 v2, 0xfffff, v9
	v_add_u32_e32 v2, v2, v8
	v_cmp_ne_u32_e32 vcc, 0, v13
                                        ; implicit-def: $vgpr8_vgpr9
                                        ; implicit-def: $vgpr10
	s_and_saveexec_b64 s[28:29], vcc
	s_xor_b64 s[28:29], exec, s[28:29]
; %bb.7814:                             ;   in Loop: Header=BB4_6216 Depth=3
	v_cmp_lt_u64_e32 vcc, s[74:75], v[2:3]
	v_add_u32_e32 v8, 7, v31
	v_cndmask_b32_e32 v10, v13, v8, vcc
	v_cndmask_b32_e64 v8, 0, 1, vcc
	v_lshrrev_b64 v[8:9], v8, v[2:3]
; %bb.7815:                             ;   in Loop: Header=BB4_6216 Depth=3
	s_andn2_saveexec_b64 s[28:29], s[28:29]
; %bb.7816:                             ;   in Loop: Header=BB4_6216 Depth=3
	v_mov_b32_e32 v9, v3
	v_mov_b32_e32 v8, v2
	v_bfe_u32 v10, v2, 23, 1
; %bb.7817:                             ;   in Loop: Header=BB4_6216 Depth=3
	s_or_b64 exec, exec, s[28:29]
	v_lshrrev_b64 v[8:9], 20, v[8:9]
	v_cmp_gt_i32_e32 vcc, 16, v10
	v_cndmask_b32_e32 v9, 0, v9, vcc
	v_cndmask_b32_e32 v8, 7, v8, vcc
	v_min_i32_e32 v2, 15, v10
	v_cmp_eq_u64_e64 s[28:29], 0, v[8:9]
	v_lshlrev_b32_e32 v2, 3, v2
	v_cmp_eq_u32_e32 vcc, 0, v10
	v_and_b32_e32 v2, 0xf8, v2
	v_and_or_b32 v2, v8, 7, v2
	s_and_b64 s[28:29], vcc, s[28:29]
	v_cndmask_b32_e64 v2, v2, 0, s[28:29]
	v_or_b32_e32 v2, v2, v11
.LBB4_7818:                             ;   in Loop: Header=BB4_6216 Depth=3
	s_or_b64 exec, exec, s[36:37]
                                        ; implicit-def: $vgpr11
.LBB4_7819:                             ;   in Loop: Header=BB4_6216 Depth=3
	s_andn2_saveexec_b64 s[28:29], s[34:35]
; %bb.7820:                             ;   in Loop: Header=BB4_6216 Depth=3
	v_or_b32_e32 v2, 0x7e, v11
; %bb.7821:                             ;   in Loop: Header=BB4_6216 Depth=3
	s_or_b64 exec, exec, s[28:29]
                                        ; implicit-def: $vgpr8
.LBB4_7822:                             ;   in Loop: Header=BB4_6216 Depth=3
	s_andn2_saveexec_b64 s[28:29], s[30:31]
	s_cbranch_execz .LBB4_6215
; %bb.7823:                             ;   in Loop: Header=BB4_6216 Depth=3
	v_or_b32_sdwa v2, v8, s68 dst_sel:DWORD dst_unused:UNUSED_PAD src0_sel:BYTE_3 src1_sel:DWORD
	s_branch .LBB4_6215
.LBB4_7824:                             ;   in Loop: Header=BB4_6132 Depth=2
	s_or_b64 exec, exec, s[42:43]
	buffer_load_dword v1, off, s[0:3], s33 offset:276 ; 4-byte Folded Reload
.LBB4_7825:                             ;   in Loop: Header=BB4_6132 Depth=2
	s_or_b64 exec, exec, s[40:41]
	s_waitcnt vmcnt(0)
	v_lshlrev_b32_e32 v16, 11, v1
	buffer_load_dword v1, off, s[0:3], s33 offset:228 ; 4-byte Folded Reload
	s_mov_b64 s[28:29], 0
                                        ; implicit-def: $vgpr6
                                        ; implicit-def: $vgpr7
	s_waitcnt vmcnt(0)
	v_cmp_ne_u32_e32 vcc, v1, v16
	v_mov_b32_e32 v1, 0
	s_and_saveexec_b64 s[30:31], vcc
	s_cbranch_execz .LBB4_8641
; %bb.7826:                             ;   in Loop: Header=BB4_6132 Depth=2
	buffer_load_dword v1, off, s[0:3], s33 offset:228 ; 4-byte Folded Reload
	v_lshlrev_b32_e32 v0, 6, v0
	s_waitcnt vmcnt(0)
	v_sub_u32_e32 v4, v1, v16
	buffer_load_dword v1, off, s[0:3], s33 offset:336 ; 4-byte Folded Reload
	s_waitcnt vmcnt(0)
	v_sub_u32_e32 v0, v1, v0
	v_ashrrev_i32_e32 v1, 31, v0
	v_lshrrev_b32_e32 v1, 26, v1
	v_add_u32_e32 v1, v0, v1
	v_ashrrev_i32_e32 v7, 6, v1
	v_and_b32_e32 v1, 0xffffffc0, v1
	v_sub_u32_e32 v0, v0, v1
	v_lshlrev_b32_e32 v1, 4, v0
	v_lshl_add_u32 v2, v7, 10, v1
	v_ashrrev_i32_e32 v1, 31, v4
	v_lshrrev_b32_e32 v1, 22, v1
	v_add_u32_e32 v1, v4, v1
	v_ashrrev_i32_e32 v8, 10, v1
	v_and_b32_e32 v1, 0xfffffc00, v1
	v_sub_u32_e32 v6, v4, v1
	v_cmp_lt_i32_e64 s[28:29], 15, v6
	v_sub_u32_e32 v18, v4, v2
	v_addc_co_u32_e64 v4, vcc, 0, v8, s[28:29]
	v_sub_u32_e32 v7, v4, v7
	v_cmp_lt_i32_e32 vcc, 15, v18
	s_and_saveexec_b64 s[34:35], vcc
	s_cbranch_execz .LBB4_8640
; %bb.7827:                             ;   in Loop: Header=BB4_6132 Depth=2
	buffer_load_dword v8, off, s[0:3], s33 offset:248 ; 4-byte Folded Reload
	buffer_load_dword v9, off, s[0:3], s33 offset:252 ; 4-byte Folded Reload
	v_add_u32_e32 v2, v2, v16
	v_ashrrev_i32_e32 v4, 31, v2
	s_mov_b64 s[36:37], 0
	s_waitcnt vmcnt(1)
	v_add_co_u32_e32 v20, vcc, v2, v8
	s_waitcnt vmcnt(0)
	v_addc_co_u32_e32 v26, vcc, v4, v9, vcc
	buffer_load_dword v8, off, s[0:3], s33 offset:264 ; 4-byte Folded Reload
	buffer_load_dword v9, off, s[0:3], s33 offset:268 ; 4-byte Folded Reload
	s_trap 2
	s_waitcnt vmcnt(1)
	v_add_co_u32_e32 v27, vcc, v2, v8
	s_waitcnt vmcnt(0)
	v_addc_co_u32_e32 v31, vcc, v4, v9, vcc
	ds_read_b64 v[8:9], v0
	buffer_load_dword v10, off, s[0:3], s33 offset:236 ; 4-byte Folded Reload
	buffer_load_dword v11, off, s[0:3], s33 offset:240 ; 4-byte Folded Reload
	s_waitcnt lgkmcnt(0)
	v_readfirstlane_b32 s40, v8
	s_and_b32 s41, s40, 7
	s_flbit_i32_b32 s41, s41
	s_min_u32 s41, s41, 32
	s_and_b32 s42, s40, 0x7f
	s_bfe_u32 s43, s40, 0x40003
	s_sub_i32 s44, s41, 28
	s_sub_i32 s41, 29, s41
	s_cmp_lt_u32 s42, 8
	s_cselect_b32 s44, s44, 0
	s_cselect_b32 s41, s41, s43
	s_lshl_b32 s43, s40, 24
	s_lshl_b32 s41, s41, 23
	s_and_b32 s43, s43, 0x80000000
	s_add_i32 s41, s41, 0x3c000000
	s_or_b32 s41, s43, s41
	s_cmpk_lg_i32 s42, 0x7f
	s_waitcnt vmcnt(1)
	v_add_co_u32_e32 v12, vcc, v2, v10
	s_waitcnt vmcnt(0)
	v_addc_co_u32_e32 v13, vcc, v4, v11, vcc
	v_add_co_u32_e32 v14, vcc, v8, v2
	v_addc_co_u32_e32 v15, vcc, v9, v4, vcc
	v_lshlrev_b64 v[8:9], s44, v[8:9]
	s_cselect_b64 vcc, -1, 0
	v_lshlrev_b32_e32 v2, 20, v8
	v_and_b32_e32 v2, 0x700000, v2
	v_or_b32_e32 v2, s41, v2
	v_mov_b32_e32 v4, 0x7f800001
	v_cndmask_b32_e32 v35, v4, v2, vcc
	s_and_b32 s44, s40, 0xff
.LBB4_7828:                             ;   Parent Loop BB4_47 Depth=1
                                        ;     Parent Loop BB4_6132 Depth=2
                                        ; =>    This Loop Header: Depth=3
                                        ;         Child Loop BB4_8617 Depth 4
	s_cmpk_lt_i32 s44, 0x80
	s_cbranch_scc1 .LBB4_7832
; %bb.7829:                             ;   in Loop: Header=BB4_7828 Depth=3
	s_and_b32 s42, 0xffff, s44
	s_mov_b64 s[40:41], -1
	s_cmpk_eq_i32 s42, 0x80
	s_cbranch_scc0 .LBB4_7831
; %bb.7830:                             ;   in Loop: Header=BB4_7828 Depth=3
	s_mov_b64 s[40:41], 0
.LBB4_7831:                             ;   in Loop: Header=BB4_7828 Depth=3
	s_brev_b32 s45, 1
	s_branch .LBB4_7834
.LBB4_7832:                             ;   in Loop: Header=BB4_7828 Depth=3
	s_mov_b64 s[40:41], 0
	s_brev_b32 s45, 1
	s_cbranch_execz .LBB4_7834
; %bb.7833:                             ;   in Loop: Header=BB4_7828 Depth=3
	s_and_b32 s40, 0xffff, s44
	s_cmp_lg_u32 s40, 0
	s_mov_b32 s45, 0
	s_cselect_b64 s[40:41], -1, 0
.LBB4_7834:                             ;   in Loop: Header=BB4_7828 Depth=3
	s_andn2_b64 vcc, exec, s[40:41]
	v_mov_b32_e32 v21, s45
	s_cbranch_vccnz .LBB4_7836
; %bb.7835:                             ;   in Loop: Header=BB4_7828 Depth=3
	v_mov_b32_e32 v21, v35
.LBB4_7836:                             ;   in Loop: Header=BB4_7828 Depth=3
	global_load_dwordx4 v[8:11], v[12:13], off glc slc
	v_mov_b32_e32 v2, 0
	s_waitcnt vmcnt(0)
	v_cmp_ne_u16_sdwa s[42:43], v8, v3 src0_sel:BYTE_0 src1_sel:DWORD
	s_and_saveexec_b64 s[40:41], s[42:43]
	s_cbranch_execz .LBB4_7842
; %bb.7837:                             ;   in Loop: Header=BB4_7828 Depth=3
	v_cmp_ne_u16_sdwa vcc, v8, s70 src0_sel:BYTE_0 src1_sel:DWORD
	v_bfrev_b32_e32 v2, 1
	s_and_saveexec_b64 s[42:43], vcc
	s_cbranch_execz .LBB4_7841
; %bb.7838:                             ;   in Loop: Header=BB4_7828 Depth=3
	v_and_b32_e32 v4, 0x7f, v8
	v_cmp_ne_u32_e32 vcc, s68, v4
	v_mov_b32_e32 v2, 0x7f800001
	s_and_saveexec_b64 s[38:39], vcc
	s_cbranch_execz .LBB4_7840
; %bb.7839:                             ;   in Loop: Header=BB4_7828 Depth=3
	v_and_b32_e32 v2, 7, v8
	v_ffbh_u32_e32 v2, v2
	v_min_u32_e32 v2, 32, v2
	v_lshrrev_b32_e32 v17, 3, v4
	v_cmp_gt_u32_e32 vcc, 8, v4
	v_subrev_u32_e32 v4, 28, v2
	v_cndmask_b32_e32 v4, 0, v4, vcc
	v_lshlrev_b64 v[24:25], v4, v[8:9]
	v_sub_u32_e32 v2, 29, v2
	v_cndmask_b32_e32 v2, v17, v2, vcc
	v_lshlrev_b32_e32 v4, 20, v24
	v_lshlrev_b32_e32 v17, 24, v8
	v_and_b32_e32 v4, 0x700000, v4
	v_and_b32_e32 v17, 0x80000000, v17
	v_lshl_add_u32 v2, v2, 23, v5
	v_or3_b32 v2, v17, v2, v4
.LBB4_7840:                             ;   in Loop: Header=BB4_7828 Depth=3
	s_or_b64 exec, exec, s[38:39]
.LBB4_7841:                             ;   in Loop: Header=BB4_7828 Depth=3
	s_or_b64 exec, exec, s[42:43]
.LBB4_7842:                             ;   in Loop: Header=BB4_7828 Depth=3
	s_or_b64 exec, exec, s[40:41]
	v_mul_f32_e32 v24, v21, v2
	v_and_b32_e32 v2, 0x7f800000, v24
	v_cmp_ne_u64_e32 vcc, s[62:63], v[2:3]
                                        ; implicit-def: $vgpr4
	s_and_saveexec_b64 s[40:41], vcc
	s_xor_b64 s[42:43], exec, s[40:41]
	s_cbranch_execz .LBB4_7856
; %bb.7843:                             ;   in Loop: Header=BB4_7828 Depth=3
	v_and_b32_e32 v2, 0x7fffffff, v24
	v_cmp_gt_u64_e32 vcc, s[72:73], v[2:3]
	v_and_b32_sdwa v17, v24, s70 dst_sel:DWORD dst_unused:UNUSED_PAD src0_sel:BYTE_3 src1_sel:DWORD
                                        ; implicit-def: $vgpr4
	s_and_saveexec_b64 s[40:41], vcc
	s_xor_b64 s[38:39], exec, s[40:41]
	s_cbranch_execz .LBB4_7853
; %bb.7844:                             ;   in Loop: Header=BB4_7828 Depth=3
	v_mov_b32_e32 v4, 0
	v_cmp_ne_u32_e32 vcc, 0, v24
	s_and_saveexec_b64 s[48:49], vcc
	s_cbranch_execz .LBB4_7852
; %bb.7845:                             ;   in Loop: Header=BB4_7828 Depth=3
	v_bfe_u32 v4, v24, 23, 8
	v_cmp_gt_u32_e64 s[40:41], s71, v4
	v_sub_u32_e32 v22, 0x79, v4
	v_and_b32_e32 v2, 0x7fffff, v24
	v_cmp_eq_u32_e32 vcc, 0, v4
	v_cndmask_b32_e64 v22, 0, v22, s[40:41]
	v_mov_b32_e32 v24, 0x78
	v_cndmask_b32_e32 v24, v22, v24, vcc
	v_or_b32_e32 v23, 0x800000, v2
	v_add_u32_e32 v22, 20, v24
	v_cndmask_b32_e32 v2, v23, v2, vcc
	v_lshlrev_b64 v[28:29], v22, -1
	v_add_u32_e32 v22, 19, v24
	v_lshlrev_b64 v[36:37], v22, 1
	v_lshrrev_b64 v[44:45], v24, v[2:3]
	v_bfi_b32 v29, v29, 0, 0
	v_bfi_b32 v28, v28, 0, v2
	v_cmp_eq_u64_e64 s[40:41], v[28:29], v[36:37]
	v_mov_b32_e32 v46, v45
	v_mov_b32_e32 v45, v44
	s_and_saveexec_b64 s[50:51], s[40:41]
; %bb.7846:                             ;   in Loop: Header=BB4_7828 Depth=3
	v_bfe_u32 v2, v44, 20, 1
	v_add_co_u32_e64 v2, s[40:41], v44, v2
	v_add_co_u32_e64 v45, s[40:41], -1, v2
; %bb.7847:                             ;   in Loop: Header=BB4_7828 Depth=3
	s_or_b64 exec, exec, s[50:51]
	v_add_u32_e32 v2, 0xffffff81, v4
	v_mov_b32_e32 v4, 0xffffff82
	v_cndmask_b32_e32 v2, v2, v4, vcc
	v_lshrrev_b32_e32 v4, 23, v44
	v_add3_u32 v25, v24, v2, v4
	v_add_u32_e32 v24, 6, v25
	v_and_b32_e32 v2, 0xfffff, v45
	v_add_u32_e32 v2, v2, v44
	v_cmp_ne_u32_e32 vcc, 0, v24
                                        ; implicit-def: $vgpr44_vgpr45
                                        ; implicit-def: $vgpr4
	s_and_saveexec_b64 s[40:41], vcc
	s_xor_b64 s[40:41], exec, s[40:41]
; %bb.7848:                             ;   in Loop: Header=BB4_7828 Depth=3
	v_cmp_lt_u64_e32 vcc, s[74:75], v[2:3]
	v_add_u32_e32 v4, 7, v25
	v_cndmask_b32_e64 v22, 0, 1, vcc
	v_cndmask_b32_e32 v4, v24, v4, vcc
	v_lshrrev_b64 v[44:45], v22, v[2:3]
; %bb.7849:                             ;   in Loop: Header=BB4_7828 Depth=3
	s_andn2_saveexec_b64 s[40:41], s[40:41]
; %bb.7850:                             ;   in Loop: Header=BB4_7828 Depth=3
	v_mov_b32_e32 v45, v3
	v_mov_b32_e32 v44, v2
	v_bfe_u32 v4, v2, 23, 1
; %bb.7851:                             ;   in Loop: Header=BB4_7828 Depth=3
	s_or_b64 exec, exec, s[40:41]
	v_lshrrev_b64 v[24:25], 20, v[44:45]
	v_cmp_gt_i32_e32 vcc, 16, v4
	v_cndmask_b32_e32 v25, 0, v25, vcc
	v_cndmask_b32_e32 v24, 7, v24, vcc
	v_min_i32_e32 v2, 15, v4
	v_cmp_eq_u64_e64 s[40:41], 0, v[24:25]
	v_lshlrev_b32_e32 v2, 3, v2
	v_cmp_eq_u32_e32 vcc, 0, v4
	v_and_b32_e32 v2, 0xf8, v2
	v_and_or_b32 v2, v24, 7, v2
	s_and_b64 s[40:41], vcc, s[40:41]
	v_cndmask_b32_e64 v2, v2, 0, s[40:41]
	v_or_b32_e32 v4, v2, v17
.LBB4_7852:                             ;   in Loop: Header=BB4_7828 Depth=3
	s_or_b64 exec, exec, s[48:49]
                                        ; implicit-def: $vgpr17
.LBB4_7853:                             ;   in Loop: Header=BB4_7828 Depth=3
	s_andn2_saveexec_b64 s[40:41], s[38:39]
; %bb.7854:                             ;   in Loop: Header=BB4_7828 Depth=3
	v_or_b32_e32 v4, 0x7e, v17
; %bb.7855:                             ;   in Loop: Header=BB4_7828 Depth=3
	s_or_b64 exec, exec, s[40:41]
                                        ; implicit-def: $vgpr24
.LBB4_7856:                             ;   in Loop: Header=BB4_7828 Depth=3
	s_andn2_saveexec_b64 s[40:41], s[42:43]
; %bb.7857:                             ;   in Loop: Header=BB4_7828 Depth=3
	v_or_b32_sdwa v4, v24, s68 dst_sel:DWORD dst_unused:UNUSED_PAD src0_sel:BYTE_3 src1_sel:DWORD
; %bb.7858:                             ;   in Loop: Header=BB4_7828 Depth=3
	s_or_b64 exec, exec, s[40:41]
	v_lshrrev_b16_e32 v2, 8, v8
	v_cmp_ne_u16_e32 vcc, 0, v2
	v_mov_b32_e32 v17, 0
	s_and_saveexec_b64 s[40:41], vcc
	s_cbranch_execz .LBB4_7864
; %bb.7859:                             ;   in Loop: Header=BB4_7828 Depth=3
	v_cmp_ne_u16_e32 vcc, s70, v2
	v_bfrev_b32_e32 v17, 1
	s_and_saveexec_b64 s[42:43], vcc
	s_cbranch_execz .LBB4_7863
; %bb.7860:                             ;   in Loop: Header=BB4_7828 Depth=3
	v_and_b32_e32 v24, 0x7f, v2
	v_cmp_ne_u32_e32 vcc, s68, v24
	v_mov_b32_e32 v17, 0x7f800001
	s_and_saveexec_b64 s[38:39], vcc
	s_cbranch_execz .LBB4_7862
; %bb.7861:                             ;   in Loop: Header=BB4_7828 Depth=3
	v_and_b32_e32 v17, 7, v2
	v_ffbh_u32_e32 v23, v17
	v_min_u32_e32 v23, 32, v23
	v_lshrrev_b32_e32 v22, 3, v24
	v_cmp_gt_u32_e32 vcc, 8, v24
	v_subrev_u32_e32 v24, 28, v23
	v_lshlrev_b64 v[24:25], v24, v[2:3]
	v_sub_u32_e32 v2, 29, v23
	v_and_b32_e32 v23, 7, v24
	v_cndmask_b32_e32 v2, v22, v2, vcc
	v_cndmask_b32_e32 v17, v17, v23, vcc
	v_lshlrev_b32_e32 v22, 16, v8
	v_lshlrev_b32_e32 v17, 20, v17
	v_and_b32_e32 v22, 0x80000000, v22
	v_lshl_add_u32 v2, v2, 23, v5
	v_or3_b32 v17, v22, v2, v17
.LBB4_7862:                             ;   in Loop: Header=BB4_7828 Depth=3
	s_or_b64 exec, exec, s[38:39]
.LBB4_7863:                             ;   in Loop: Header=BB4_7828 Depth=3
	s_or_b64 exec, exec, s[42:43]
.LBB4_7864:                             ;   in Loop: Header=BB4_7828 Depth=3
	s_or_b64 exec, exec, s[40:41]
	v_mul_f32_e32 v24, v21, v17
	v_and_b32_e32 v2, 0x7f800000, v24
	v_cmp_ne_u64_e32 vcc, s[62:63], v[2:3]
                                        ; implicit-def: $vgpr28
	s_and_saveexec_b64 s[40:41], vcc
	s_xor_b64 s[42:43], exec, s[40:41]
	s_cbranch_execz .LBB4_7878
; %bb.7865:                             ;   in Loop: Header=BB4_7828 Depth=3
	v_and_b32_e32 v2, 0x7fffffff, v24
	v_cmp_gt_u64_e32 vcc, s[72:73], v[2:3]
	v_and_b32_sdwa v17, v24, s70 dst_sel:DWORD dst_unused:UNUSED_PAD src0_sel:BYTE_3 src1_sel:DWORD
                                        ; implicit-def: $vgpr28
	s_and_saveexec_b64 s[40:41], vcc
	s_xor_b64 s[38:39], exec, s[40:41]
	s_cbranch_execz .LBB4_7875
; %bb.7866:                             ;   in Loop: Header=BB4_7828 Depth=3
	v_mov_b32_e32 v28, 0
	v_cmp_ne_u32_e32 vcc, 0, v24
	s_and_saveexec_b64 s[48:49], vcc
	s_cbranch_execz .LBB4_7874
; %bb.7867:                             ;   in Loop: Header=BB4_7828 Depth=3
	v_and_b32_e32 v2, 0x7fffff, v24
	v_bfe_u32 v24, v24, 23, 8
	v_cmp_gt_u32_e64 s[40:41], s71, v24
	v_sub_u32_e32 v22, 0x79, v24
	v_cmp_eq_u32_e32 vcc, 0, v24
	v_cndmask_b32_e64 v22, 0, v22, s[40:41]
	v_mov_b32_e32 v25, 0x78
	v_cndmask_b32_e32 v25, v22, v25, vcc
	v_or_b32_e32 v23, 0x800000, v2
	v_add_u32_e32 v22, 20, v25
	v_cndmask_b32_e32 v2, v23, v2, vcc
	v_lshlrev_b64 v[28:29], v22, -1
	v_add_u32_e32 v22, 19, v25
	v_lshlrev_b64 v[36:37], v22, 1
	v_lshrrev_b64 v[44:45], v25, v[2:3]
	v_bfi_b32 v29, v29, 0, 0
	v_bfi_b32 v28, v28, 0, v2
	v_cmp_eq_u64_e64 s[40:41], v[28:29], v[36:37]
	v_mov_b32_e32 v46, v45
	v_mov_b32_e32 v45, v44
	s_and_saveexec_b64 s[50:51], s[40:41]
; %bb.7868:                             ;   in Loop: Header=BB4_7828 Depth=3
	v_bfe_u32 v2, v44, 20, 1
	v_add_co_u32_e64 v2, s[40:41], v44, v2
	v_add_co_u32_e64 v45, s[40:41], -1, v2
; %bb.7869:                             ;   in Loop: Header=BB4_7828 Depth=3
	s_or_b64 exec, exec, s[50:51]
	v_add_u32_e32 v2, 0xffffff81, v24
	v_mov_b32_e32 v22, 0xffffff82
	v_cndmask_b32_e32 v2, v2, v22, vcc
	v_lshrrev_b32_e32 v22, 23, v44
	v_add3_u32 v28, v25, v2, v22
	v_add_u32_e32 v25, 6, v28
	v_and_b32_e32 v2, 0xfffff, v45
	v_add_u32_e32 v2, v2, v44
	v_cmp_ne_u32_e32 vcc, 0, v25
                                        ; implicit-def: $vgpr44_vgpr45
                                        ; implicit-def: $vgpr24
	s_and_saveexec_b64 s[40:41], vcc
	s_xor_b64 s[40:41], exec, s[40:41]
; %bb.7870:                             ;   in Loop: Header=BB4_7828 Depth=3
	v_cmp_lt_u64_e32 vcc, s[74:75], v[2:3]
	v_add_u32_e32 v22, 7, v28
	v_cndmask_b32_e32 v24, v25, v22, vcc
	v_cndmask_b32_e64 v22, 0, 1, vcc
	v_lshrrev_b64 v[44:45], v22, v[2:3]
; %bb.7871:                             ;   in Loop: Header=BB4_7828 Depth=3
	s_andn2_saveexec_b64 s[40:41], s[40:41]
; %bb.7872:                             ;   in Loop: Header=BB4_7828 Depth=3
	v_mov_b32_e32 v45, v3
	v_mov_b32_e32 v44, v2
	v_bfe_u32 v24, v2, 23, 1
; %bb.7873:                             ;   in Loop: Header=BB4_7828 Depth=3
	s_or_b64 exec, exec, s[40:41]
	v_lshrrev_b64 v[28:29], 20, v[44:45]
	v_cmp_gt_i32_e32 vcc, 16, v24
	v_cndmask_b32_e32 v29, 0, v29, vcc
	v_cndmask_b32_e32 v28, 7, v28, vcc
	v_min_i32_e32 v2, 15, v24
	v_cmp_eq_u64_e64 s[40:41], 0, v[28:29]
	v_lshlrev_b32_e32 v2, 3, v2
	v_cmp_eq_u32_e32 vcc, 0, v24
	v_and_b32_e32 v2, 0xf8, v2
	v_and_or_b32 v2, v28, 7, v2
	s_and_b64 s[40:41], vcc, s[40:41]
	v_cndmask_b32_e64 v2, v2, 0, s[40:41]
	v_or_b32_e32 v28, v2, v17
.LBB4_7874:                             ;   in Loop: Header=BB4_7828 Depth=3
	s_or_b64 exec, exec, s[48:49]
                                        ; implicit-def: $vgpr17
.LBB4_7875:                             ;   in Loop: Header=BB4_7828 Depth=3
	s_andn2_saveexec_b64 s[40:41], s[38:39]
; %bb.7876:                             ;   in Loop: Header=BB4_7828 Depth=3
	v_or_b32_e32 v28, 0x7e, v17
; %bb.7877:                             ;   in Loop: Header=BB4_7828 Depth=3
	s_or_b64 exec, exec, s[40:41]
                                        ; implicit-def: $vgpr24
.LBB4_7878:                             ;   in Loop: Header=BB4_7828 Depth=3
	s_andn2_saveexec_b64 s[40:41], s[42:43]
; %bb.7879:                             ;   in Loop: Header=BB4_7828 Depth=3
	v_or_b32_sdwa v28, v24, s68 dst_sel:DWORD dst_unused:UNUSED_PAD src0_sel:BYTE_3 src1_sel:DWORD
; %bb.7880:                             ;   in Loop: Header=BB4_7828 Depth=3
	s_or_b64 exec, exec, s[40:41]
	v_lshrrev_b32_e32 v2, 16, v8
	v_cmp_ne_u16_sdwa s[42:43], v2, v3 src0_sel:BYTE_0 src1_sel:DWORD
	v_mov_b32_e32 v17, 0
	s_and_saveexec_b64 s[40:41], s[42:43]
	s_cbranch_execz .LBB4_7886
; %bb.7881:                             ;   in Loop: Header=BB4_7828 Depth=3
	v_cmp_ne_u16_sdwa vcc, v2, s70 src0_sel:BYTE_0 src1_sel:DWORD
	v_bfrev_b32_e32 v17, 1
	s_and_saveexec_b64 s[42:43], vcc
	s_cbranch_execz .LBB4_7885
; %bb.7882:                             ;   in Loop: Header=BB4_7828 Depth=3
	v_bfe_u32 v24, v8, 16, 7
	v_cmp_ne_u32_e32 vcc, s68, v24
	v_mov_b32_e32 v17, 0x7f800001
	s_and_saveexec_b64 s[38:39], vcc
	s_cbranch_execz .LBB4_7884
; %bb.7883:                             ;   in Loop: Header=BB4_7828 Depth=3
	v_and_b32_e32 v17, 7, v2
	v_ffbh_u32_e32 v23, v17
	v_min_u32_e32 v23, 32, v23
	v_lshrrev_b32_e32 v22, 3, v24
	v_cmp_gt_u32_e32 vcc, 8, v24
	v_subrev_u32_e32 v24, 28, v23
	v_lshlrev_b64 v[24:25], v24, v[2:3]
	v_sub_u32_e32 v23, 29, v23
	v_and_b32_e32 v24, 7, v24
	v_cndmask_b32_e32 v22, v22, v23, vcc
	v_cndmask_b32_e32 v17, v17, v24, vcc
	v_lshlrev_b32_e32 v2, 24, v2
	v_lshlrev_b32_e32 v17, 20, v17
	v_and_b32_e32 v2, 0x80000000, v2
	v_lshl_add_u32 v22, v22, 23, v5
	v_or3_b32 v17, v2, v22, v17
.LBB4_7884:                             ;   in Loop: Header=BB4_7828 Depth=3
	s_or_b64 exec, exec, s[38:39]
.LBB4_7885:                             ;   in Loop: Header=BB4_7828 Depth=3
	s_or_b64 exec, exec, s[42:43]
.LBB4_7886:                             ;   in Loop: Header=BB4_7828 Depth=3
	s_or_b64 exec, exec, s[40:41]
	v_mul_f32_e32 v24, v21, v17
	v_and_b32_e32 v2, 0x7f800000, v24
	v_cmp_ne_u64_e32 vcc, s[62:63], v[2:3]
                                        ; implicit-def: $vgpr38
	s_and_saveexec_b64 s[40:41], vcc
	s_xor_b64 s[42:43], exec, s[40:41]
	s_cbranch_execz .LBB4_7900
; %bb.7887:                             ;   in Loop: Header=BB4_7828 Depth=3
	v_and_b32_e32 v2, 0x7fffffff, v24
	v_cmp_gt_u64_e32 vcc, s[72:73], v[2:3]
	v_and_b32_sdwa v17, v24, s70 dst_sel:DWORD dst_unused:UNUSED_PAD src0_sel:BYTE_3 src1_sel:DWORD
                                        ; implicit-def: $vgpr38
	s_and_saveexec_b64 s[40:41], vcc
	s_xor_b64 s[38:39], exec, s[40:41]
	s_cbranch_execz .LBB4_7897
; %bb.7888:                             ;   in Loop: Header=BB4_7828 Depth=3
	v_mov_b32_e32 v38, 0
	v_cmp_ne_u32_e32 vcc, 0, v24
	s_and_saveexec_b64 s[48:49], vcc
	s_cbranch_execz .LBB4_7896
; %bb.7889:                             ;   in Loop: Header=BB4_7828 Depth=3
	v_and_b32_e32 v2, 0x7fffff, v24
	v_bfe_u32 v24, v24, 23, 8
	v_cmp_gt_u32_e64 s[40:41], s71, v24
	v_sub_u32_e32 v22, 0x79, v24
	v_cmp_eq_u32_e32 vcc, 0, v24
	v_cndmask_b32_e64 v22, 0, v22, s[40:41]
	v_mov_b32_e32 v25, 0x78
	v_cndmask_b32_e32 v25, v22, v25, vcc
	v_or_b32_e32 v23, 0x800000, v2
	v_add_u32_e32 v22, 20, v25
	v_cndmask_b32_e32 v2, v23, v2, vcc
	v_lshlrev_b64 v[29:30], v22, -1
	v_add_u32_e32 v22, 19, v25
	v_lshlrev_b64 v[36:37], v22, 1
	v_lshrrev_b64 v[44:45], v25, v[2:3]
	v_bfi_b32 v30, v30, 0, 0
	v_bfi_b32 v29, v29, 0, v2
	v_cmp_eq_u64_e64 s[40:41], v[29:30], v[36:37]
	v_mov_b32_e32 v46, v45
	v_mov_b32_e32 v45, v44
	s_and_saveexec_b64 s[50:51], s[40:41]
; %bb.7890:                             ;   in Loop: Header=BB4_7828 Depth=3
	v_bfe_u32 v2, v44, 20, 1
	v_add_co_u32_e64 v2, s[40:41], v44, v2
	v_add_co_u32_e64 v45, s[40:41], -1, v2
; %bb.7891:                             ;   in Loop: Header=BB4_7828 Depth=3
	s_or_b64 exec, exec, s[50:51]
	v_add_u32_e32 v2, 0xffffff81, v24
	v_mov_b32_e32 v22, 0xffffff82
	v_cndmask_b32_e32 v2, v2, v22, vcc
	v_lshrrev_b32_e32 v22, 23, v44
	v_add3_u32 v29, v25, v2, v22
	v_add_u32_e32 v25, 6, v29
	v_and_b32_e32 v2, 0xfffff, v45
	v_add_u32_e32 v2, v2, v44
	v_cmp_ne_u32_e32 vcc, 0, v25
                                        ; implicit-def: $vgpr44_vgpr45
                                        ; implicit-def: $vgpr24
	s_and_saveexec_b64 s[40:41], vcc
	s_xor_b64 s[40:41], exec, s[40:41]
; %bb.7892:                             ;   in Loop: Header=BB4_7828 Depth=3
	v_cmp_lt_u64_e32 vcc, s[74:75], v[2:3]
	v_add_u32_e32 v22, 7, v29
	v_cndmask_b32_e32 v24, v25, v22, vcc
	v_cndmask_b32_e64 v22, 0, 1, vcc
	v_lshrrev_b64 v[44:45], v22, v[2:3]
; %bb.7893:                             ;   in Loop: Header=BB4_7828 Depth=3
	s_andn2_saveexec_b64 s[40:41], s[40:41]
; %bb.7894:                             ;   in Loop: Header=BB4_7828 Depth=3
	v_mov_b32_e32 v45, v3
	v_mov_b32_e32 v44, v2
	v_bfe_u32 v24, v2, 23, 1
; %bb.7895:                             ;   in Loop: Header=BB4_7828 Depth=3
	s_or_b64 exec, exec, s[40:41]
	v_lshrrev_b64 v[29:30], 20, v[44:45]
	v_cmp_gt_i32_e32 vcc, 16, v24
	v_cndmask_b32_e32 v30, 0, v30, vcc
	v_cndmask_b32_e32 v29, 7, v29, vcc
	v_min_i32_e32 v2, 15, v24
	v_cmp_eq_u64_e64 s[40:41], 0, v[29:30]
	v_lshlrev_b32_e32 v2, 3, v2
	v_cmp_eq_u32_e32 vcc, 0, v24
	v_and_b32_e32 v2, 0xf8, v2
	v_and_or_b32 v2, v29, 7, v2
	s_and_b64 s[40:41], vcc, s[40:41]
	v_cndmask_b32_e64 v2, v2, 0, s[40:41]
	v_or_b32_e32 v38, v2, v17
.LBB4_7896:                             ;   in Loop: Header=BB4_7828 Depth=3
	s_or_b64 exec, exec, s[48:49]
                                        ; implicit-def: $vgpr17
.LBB4_7897:                             ;   in Loop: Header=BB4_7828 Depth=3
	s_andn2_saveexec_b64 s[40:41], s[38:39]
; %bb.7898:                             ;   in Loop: Header=BB4_7828 Depth=3
	v_or_b32_e32 v38, 0x7e, v17
; %bb.7899:                             ;   in Loop: Header=BB4_7828 Depth=3
	s_or_b64 exec, exec, s[40:41]
                                        ; implicit-def: $vgpr24
.LBB4_7900:                             ;   in Loop: Header=BB4_7828 Depth=3
	s_andn2_saveexec_b64 s[40:41], s[42:43]
; %bb.7901:                             ;   in Loop: Header=BB4_7828 Depth=3
	v_or_b32_sdwa v38, v24, s68 dst_sel:DWORD dst_unused:UNUSED_PAD src0_sel:BYTE_3 src1_sel:DWORD
; %bb.7902:                             ;   in Loop: Header=BB4_7828 Depth=3
	s_or_b64 exec, exec, s[40:41]
	v_cmp_lt_u32_e32 vcc, s57, v8
	v_mov_b32_e32 v17, 0
	s_and_saveexec_b64 s[40:41], vcc
	s_cbranch_execz .LBB4_7908
; %bb.7903:                             ;   in Loop: Header=BB4_7828 Depth=3
	v_lshrrev_b32_e32 v2, 24, v8
	v_cmp_ne_u32_e32 vcc, s70, v2
	v_bfrev_b32_e32 v17, 1
	s_and_saveexec_b64 s[42:43], vcc
	s_cbranch_execz .LBB4_7907
; %bb.7904:                             ;   in Loop: Header=BB4_7828 Depth=3
	v_bfe_u32 v24, v8, 24, 7
	v_cmp_ne_u32_e32 vcc, s68, v24
	v_mov_b32_e32 v17, 0x7f800001
	s_and_saveexec_b64 s[38:39], vcc
	s_cbranch_execz .LBB4_7906
; %bb.7905:                             ;   in Loop: Header=BB4_7828 Depth=3
	v_and_b32_e32 v17, 7, v2
	v_ffbh_u32_e32 v23, v17
	v_min_u32_e32 v23, 32, v23
	v_lshrrev_b32_e32 v22, 3, v24
	v_cmp_gt_u32_e32 vcc, 8, v24
	v_subrev_u32_e32 v24, 28, v23
	v_lshlrev_b64 v[24:25], v24, v[2:3]
	v_sub_u32_e32 v23, 29, v23
	v_and_b32_e32 v24, 7, v24
	v_cndmask_b32_e32 v22, v22, v23, vcc
	v_cndmask_b32_e32 v17, v17, v24, vcc
	v_lshlrev_b32_e32 v2, 24, v2
	v_lshlrev_b32_e32 v17, 20, v17
	v_and_b32_e32 v2, 0x80000000, v2
	v_lshl_add_u32 v22, v22, 23, v5
	v_or3_b32 v17, v2, v22, v17
.LBB4_7906:                             ;   in Loop: Header=BB4_7828 Depth=3
	s_or_b64 exec, exec, s[38:39]
.LBB4_7907:                             ;   in Loop: Header=BB4_7828 Depth=3
	s_or_b64 exec, exec, s[42:43]
.LBB4_7908:                             ;   in Loop: Header=BB4_7828 Depth=3
	s_or_b64 exec, exec, s[40:41]
	v_mul_f32_e32 v24, v21, v17
	v_and_b32_e32 v2, 0x7f800000, v24
	v_cmp_ne_u64_e32 vcc, s[62:63], v[2:3]
                                        ; implicit-def: $vgpr52
	s_and_saveexec_b64 s[40:41], vcc
	s_xor_b64 s[42:43], exec, s[40:41]
	s_cbranch_execz .LBB4_7922
; %bb.7909:                             ;   in Loop: Header=BB4_7828 Depth=3
	v_and_b32_e32 v2, 0x7fffffff, v24
	v_cmp_gt_u64_e32 vcc, s[72:73], v[2:3]
	v_and_b32_sdwa v17, v24, s70 dst_sel:DWORD dst_unused:UNUSED_PAD src0_sel:BYTE_3 src1_sel:DWORD
                                        ; implicit-def: $vgpr52
	s_and_saveexec_b64 s[40:41], vcc
	s_xor_b64 s[38:39], exec, s[40:41]
	s_cbranch_execz .LBB4_7919
; %bb.7910:                             ;   in Loop: Header=BB4_7828 Depth=3
	v_mov_b32_e32 v52, 0
	v_cmp_ne_u32_e32 vcc, 0, v24
	s_and_saveexec_b64 s[48:49], vcc
	s_cbranch_execz .LBB4_7918
; %bb.7911:                             ;   in Loop: Header=BB4_7828 Depth=3
	v_and_b32_e32 v2, 0x7fffff, v24
	v_bfe_u32 v24, v24, 23, 8
	v_cmp_gt_u32_e64 s[40:41], s71, v24
	v_sub_u32_e32 v22, 0x79, v24
	v_cmp_eq_u32_e32 vcc, 0, v24
	v_cndmask_b32_e64 v22, 0, v22, s[40:41]
	v_mov_b32_e32 v25, 0x78
	v_cndmask_b32_e32 v25, v22, v25, vcc
	v_or_b32_e32 v23, 0x800000, v2
	v_add_u32_e32 v22, 20, v25
	v_cndmask_b32_e32 v2, v23, v2, vcc
	v_lshlrev_b64 v[29:30], v22, -1
	v_add_u32_e32 v22, 19, v25
	v_lshlrev_b64 v[36:37], v22, 1
	v_lshrrev_b64 v[44:45], v25, v[2:3]
	v_bfi_b32 v30, v30, 0, 0
	v_bfi_b32 v29, v29, 0, v2
	v_cmp_eq_u64_e64 s[40:41], v[29:30], v[36:37]
	v_mov_b32_e32 v46, v45
	v_mov_b32_e32 v45, v44
	s_and_saveexec_b64 s[50:51], s[40:41]
; %bb.7912:                             ;   in Loop: Header=BB4_7828 Depth=3
	v_bfe_u32 v2, v44, 20, 1
	v_add_co_u32_e64 v2, s[40:41], v44, v2
	v_add_co_u32_e64 v45, s[40:41], -1, v2
; %bb.7913:                             ;   in Loop: Header=BB4_7828 Depth=3
	s_or_b64 exec, exec, s[50:51]
	v_add_u32_e32 v2, 0xffffff81, v24
	v_mov_b32_e32 v22, 0xffffff82
	v_cndmask_b32_e32 v2, v2, v22, vcc
	v_lshrrev_b32_e32 v22, 23, v44
	v_add3_u32 v29, v25, v2, v22
	v_add_u32_e32 v25, 6, v29
	v_and_b32_e32 v2, 0xfffff, v45
	v_add_u32_e32 v2, v2, v44
	v_cmp_ne_u32_e32 vcc, 0, v25
                                        ; implicit-def: $vgpr44_vgpr45
                                        ; implicit-def: $vgpr24
	s_and_saveexec_b64 s[40:41], vcc
	s_xor_b64 s[40:41], exec, s[40:41]
; %bb.7914:                             ;   in Loop: Header=BB4_7828 Depth=3
	v_cmp_lt_u64_e32 vcc, s[74:75], v[2:3]
	v_add_u32_e32 v22, 7, v29
	v_cndmask_b32_e32 v24, v25, v22, vcc
	v_cndmask_b32_e64 v22, 0, 1, vcc
	v_lshrrev_b64 v[44:45], v22, v[2:3]
; %bb.7915:                             ;   in Loop: Header=BB4_7828 Depth=3
	s_andn2_saveexec_b64 s[40:41], s[40:41]
; %bb.7916:                             ;   in Loop: Header=BB4_7828 Depth=3
	v_mov_b32_e32 v45, v3
	v_mov_b32_e32 v44, v2
	v_bfe_u32 v24, v2, 23, 1
; %bb.7917:                             ;   in Loop: Header=BB4_7828 Depth=3
	s_or_b64 exec, exec, s[40:41]
	v_lshrrev_b64 v[29:30], 20, v[44:45]
	v_cmp_gt_i32_e32 vcc, 16, v24
	v_cndmask_b32_e32 v30, 0, v30, vcc
	v_cndmask_b32_e32 v29, 7, v29, vcc
	v_min_i32_e32 v2, 15, v24
	v_cmp_eq_u64_e64 s[40:41], 0, v[29:30]
	v_lshlrev_b32_e32 v2, 3, v2
	v_cmp_eq_u32_e32 vcc, 0, v24
	v_and_b32_e32 v2, 0xf8, v2
	v_and_or_b32 v2, v29, 7, v2
	s_and_b64 s[40:41], vcc, s[40:41]
	v_cndmask_b32_e64 v2, v2, 0, s[40:41]
	v_or_b32_e32 v52, v2, v17
.LBB4_7918:                             ;   in Loop: Header=BB4_7828 Depth=3
	s_or_b64 exec, exec, s[48:49]
                                        ; implicit-def: $vgpr17
.LBB4_7919:                             ;   in Loop: Header=BB4_7828 Depth=3
	s_andn2_saveexec_b64 s[40:41], s[38:39]
; %bb.7920:                             ;   in Loop: Header=BB4_7828 Depth=3
	v_or_b32_e32 v52, 0x7e, v17
; %bb.7921:                             ;   in Loop: Header=BB4_7828 Depth=3
	s_or_b64 exec, exec, s[40:41]
                                        ; implicit-def: $vgpr24
.LBB4_7922:                             ;   in Loop: Header=BB4_7828 Depth=3
	s_andn2_saveexec_b64 s[40:41], s[42:43]
; %bb.7923:                             ;   in Loop: Header=BB4_7828 Depth=3
	v_or_b32_sdwa v52, v24, s68 dst_sel:DWORD dst_unused:UNUSED_PAD src0_sel:BYTE_3 src1_sel:DWORD
; %bb.7924:                             ;   in Loop: Header=BB4_7828 Depth=3
	s_or_b64 exec, exec, s[40:41]
	v_mov_b32_e32 v2, v9
	v_cmp_ne_u16_sdwa s[42:43], v9, v3 src0_sel:BYTE_0 src1_sel:DWORD
	v_mov_b32_e32 v17, 0
	s_and_saveexec_b64 s[40:41], s[42:43]
	s_cbranch_execz .LBB4_7930
; %bb.7925:                             ;   in Loop: Header=BB4_7828 Depth=3
	v_cmp_ne_u16_sdwa vcc, v9, s70 src0_sel:BYTE_0 src1_sel:DWORD
	v_bfrev_b32_e32 v17, 1
	s_and_saveexec_b64 s[42:43], vcc
	s_cbranch_execz .LBB4_7929
; %bb.7926:                             ;   in Loop: Header=BB4_7828 Depth=3
	v_and_b32_e32 v24, 0x7f, v9
	v_cmp_ne_u32_e32 vcc, s68, v24
	v_mov_b32_e32 v17, 0x7f800001
	s_and_saveexec_b64 s[38:39], vcc
	s_cbranch_execz .LBB4_7928
; %bb.7927:                             ;   in Loop: Header=BB4_7828 Depth=3
	v_and_b32_e32 v17, 7, v9
	v_ffbh_u32_e32 v17, v17
	v_min_u32_e32 v17, 32, v17
	v_lshrrev_b32_e32 v22, 3, v24
	v_cmp_gt_u32_e32 vcc, 8, v24
	v_subrev_u32_e32 v23, 28, v17
	v_sub_u32_e32 v17, 29, v17
	v_cndmask_b32_e32 v17, v22, v17, vcc
	v_cndmask_b32_e32 v22, 0, v23, vcc
	v_lshlrev_b64 v[24:25], v22, v[2:3]
	v_lshlrev_b32_e32 v23, 24, v2
	v_lshlrev_b32_e32 v22, 20, v24
	v_and_b32_e32 v22, 0x700000, v22
	v_and_b32_e32 v23, 0x80000000, v23
	v_lshl_add_u32 v17, v17, 23, v5
	v_or3_b32 v17, v23, v17, v22
.LBB4_7928:                             ;   in Loop: Header=BB4_7828 Depth=3
	s_or_b64 exec, exec, s[38:39]
.LBB4_7929:                             ;   in Loop: Header=BB4_7828 Depth=3
	s_or_b64 exec, exec, s[42:43]
.LBB4_7930:                             ;   in Loop: Header=BB4_7828 Depth=3
	s_or_b64 exec, exec, s[40:41]
	v_mul_f32_e32 v24, v21, v17
	v_and_b32_e32 v29, 0x7f800000, v24
	v_mov_b32_e32 v30, v3
	v_cmp_ne_u64_e32 vcc, s[62:63], v[29:30]
                                        ; implicit-def: $vgpr34
	s_and_saveexec_b64 s[40:41], vcc
	s_xor_b64 s[42:43], exec, s[40:41]
	s_cbranch_execz .LBB4_7944
; %bb.7931:                             ;   in Loop: Header=BB4_7828 Depth=3
	v_and_b32_e32 v29, 0x7fffffff, v24
	v_mov_b32_e32 v30, v3
	v_cmp_gt_u64_e32 vcc, s[72:73], v[29:30]
	v_and_b32_sdwa v17, v24, s70 dst_sel:DWORD dst_unused:UNUSED_PAD src0_sel:BYTE_3 src1_sel:DWORD
                                        ; implicit-def: $vgpr34
	s_and_saveexec_b64 s[40:41], vcc
	s_xor_b64 s[38:39], exec, s[40:41]
	s_cbranch_execz .LBB4_7941
; %bb.7932:                             ;   in Loop: Header=BB4_7828 Depth=3
	v_mov_b32_e32 v34, 0
	v_cmp_ne_u32_e32 vcc, 0, v24
	s_and_saveexec_b64 s[48:49], vcc
	s_cbranch_execz .LBB4_7940
; %bb.7933:                             ;   in Loop: Header=BB4_7828 Depth=3
	v_and_b32_e32 v22, 0x7fffff, v24
	v_bfe_u32 v24, v24, 23, 8
	v_cmp_gt_u32_e64 s[40:41], s71, v24
	v_sub_u32_e32 v23, 0x79, v24
	v_cmp_eq_u32_e32 vcc, 0, v24
	v_cndmask_b32_e64 v23, 0, v23, s[40:41]
	v_mov_b32_e32 v25, 0x78
	v_or_b32_e32 v29, 0x800000, v22
	v_cndmask_b32_e32 v25, v23, v25, vcc
	v_cndmask_b32_e32 v29, v29, v22, vcc
	v_add_u32_e32 v22, 20, v25
	v_mov_b32_e32 v30, v3
	v_lshlrev_b64 v[36:37], v22, -1
	v_add_u32_e32 v22, 19, v25
	v_lshlrev_b64 v[48:49], v22, 1
	v_lshrrev_b64 v[44:45], v25, v[29:30]
	v_bfi_b32 v37, v37, 0, 0
	v_bfi_b32 v36, v36, 0, v29
	v_cmp_eq_u64_e64 s[40:41], v[36:37], v[48:49]
	v_mov_b32_e32 v46, v45
	v_mov_b32_e32 v45, v44
	s_and_saveexec_b64 s[50:51], s[40:41]
; %bb.7934:                             ;   in Loop: Header=BB4_7828 Depth=3
	v_bfe_u32 v22, v44, 20, 1
	v_add_co_u32_e64 v22, s[40:41], v44, v22
	v_add_co_u32_e64 v45, s[40:41], -1, v22
; %bb.7935:                             ;   in Loop: Header=BB4_7828 Depth=3
	s_or_b64 exec, exec, s[50:51]
	v_add_u32_e32 v22, 0xffffff81, v24
	v_mov_b32_e32 v23, 0xffffff82
	v_cndmask_b32_e32 v22, v22, v23, vcc
	v_lshrrev_b32_e32 v23, 23, v44
	v_add3_u32 v29, v25, v22, v23
	v_add_u32_e32 v25, 6, v29
	v_and_b32_e32 v22, 0xfffff, v45
	v_add_u32_e32 v44, v22, v44
	v_mov_b32_e32 v45, v3
	v_cmp_ne_u32_e32 vcc, 0, v25
                                        ; implicit-def: $vgpr24
	s_and_saveexec_b64 s[40:41], vcc
	s_xor_b64 s[40:41], exec, s[40:41]
; %bb.7936:                             ;   in Loop: Header=BB4_7828 Depth=3
	v_cmp_lt_u64_e32 vcc, s[74:75], v[44:45]
	v_add_u32_e32 v22, 7, v29
	v_cndmask_b32_e32 v24, v25, v22, vcc
	v_cndmask_b32_e64 v22, 0, 1, vcc
	v_lshrrev_b64 v[44:45], v22, v[44:45]
; %bb.7937:                             ;   in Loop: Header=BB4_7828 Depth=3
	s_andn2_saveexec_b64 s[40:41], s[40:41]
; %bb.7938:                             ;   in Loop: Header=BB4_7828 Depth=3
	v_bfe_u32 v24, v44, 23, 1
; %bb.7939:                             ;   in Loop: Header=BB4_7828 Depth=3
	s_or_b64 exec, exec, s[40:41]
	v_lshrrev_b64 v[29:30], 20, v[44:45]
	v_cmp_gt_i32_e32 vcc, 16, v24
	v_cndmask_b32_e32 v30, 0, v30, vcc
	v_cndmask_b32_e32 v29, 7, v29, vcc
	v_min_i32_e32 v22, 15, v24
	v_cmp_eq_u64_e64 s[40:41], 0, v[29:30]
	v_lshlrev_b32_e32 v22, 3, v22
	v_cmp_eq_u32_e32 vcc, 0, v24
	v_and_b32_e32 v22, 0xf8, v22
	v_and_or_b32 v22, v29, 7, v22
	s_and_b64 s[40:41], vcc, s[40:41]
	v_cndmask_b32_e64 v22, v22, 0, s[40:41]
	v_or_b32_e32 v34, v22, v17
.LBB4_7940:                             ;   in Loop: Header=BB4_7828 Depth=3
	s_or_b64 exec, exec, s[48:49]
                                        ; implicit-def: $vgpr17
.LBB4_7941:                             ;   in Loop: Header=BB4_7828 Depth=3
	s_andn2_saveexec_b64 s[40:41], s[38:39]
; %bb.7942:                             ;   in Loop: Header=BB4_7828 Depth=3
	v_or_b32_e32 v34, 0x7e, v17
; %bb.7943:                             ;   in Loop: Header=BB4_7828 Depth=3
	s_or_b64 exec, exec, s[40:41]
                                        ; implicit-def: $vgpr24
.LBB4_7944:                             ;   in Loop: Header=BB4_7828 Depth=3
	s_andn2_saveexec_b64 s[40:41], s[42:43]
; %bb.7945:                             ;   in Loop: Header=BB4_7828 Depth=3
	v_or_b32_sdwa v34, v24, s68 dst_sel:DWORD dst_unused:UNUSED_PAD src0_sel:BYTE_3 src1_sel:DWORD
; %bb.7946:                             ;   in Loop: Header=BB4_7828 Depth=3
	s_or_b64 exec, exec, s[40:41]
	v_lshrrev_b16_e32 v30, 8, v2
	v_cmp_ne_u16_e32 vcc, 0, v30
	v_mov_b32_e32 v17, 0
	s_and_saveexec_b64 s[40:41], vcc
	s_cbranch_execz .LBB4_7952
; %bb.7947:                             ;   in Loop: Header=BB4_7828 Depth=3
	v_cmp_ne_u16_e32 vcc, s70, v30
	v_bfrev_b32_e32 v17, 1
	s_and_saveexec_b64 s[42:43], vcc
	s_cbranch_execz .LBB4_7951
; %bb.7948:                             ;   in Loop: Header=BB4_7828 Depth=3
	v_and_b32_e32 v24, 0x7f, v30
	v_cmp_ne_u32_e32 vcc, s68, v24
	v_mov_b32_e32 v17, 0x7f800001
	s_and_saveexec_b64 s[38:39], vcc
	s_cbranch_execz .LBB4_7950
; %bb.7949:                             ;   in Loop: Header=BB4_7828 Depth=3
	v_and_b32_e32 v17, 7, v30
	v_ffbh_u32_e32 v23, v17
	v_min_u32_e32 v23, 32, v23
	v_lshrrev_b32_e32 v22, 3, v24
	v_cmp_gt_u32_e32 vcc, 8, v24
	v_subrev_u32_e32 v24, 28, v23
	v_lshlrev_b64 v[24:25], v24, v[30:31]
	v_sub_u32_e32 v23, 29, v23
	v_and_b32_e32 v24, 7, v24
	v_cndmask_b32_e32 v22, v22, v23, vcc
	v_cndmask_b32_e32 v17, v17, v24, vcc
	v_lshlrev_b32_e32 v2, 16, v2
	v_lshlrev_b32_e32 v17, 20, v17
	v_and_b32_e32 v2, 0x80000000, v2
	v_lshl_add_u32 v22, v22, 23, v5
	v_or3_b32 v17, v2, v22, v17
.LBB4_7950:                             ;   in Loop: Header=BB4_7828 Depth=3
	s_or_b64 exec, exec, s[38:39]
.LBB4_7951:                             ;   in Loop: Header=BB4_7828 Depth=3
	s_or_b64 exec, exec, s[42:43]
.LBB4_7952:                             ;   in Loop: Header=BB4_7828 Depth=3
	s_or_b64 exec, exec, s[40:41]
	v_mul_f32_e32 v24, v21, v17
	v_and_b32_e32 v2, 0x7f800000, v24
	v_cmp_ne_u64_e32 vcc, s[62:63], v[2:3]
                                        ; implicit-def: $vgpr48
	s_and_saveexec_b64 s[40:41], vcc
	s_xor_b64 s[42:43], exec, s[40:41]
	s_cbranch_execz .LBB4_7966
; %bb.7953:                             ;   in Loop: Header=BB4_7828 Depth=3
	v_and_b32_e32 v2, 0x7fffffff, v24
	v_cmp_gt_u64_e32 vcc, s[72:73], v[2:3]
	v_and_b32_sdwa v17, v24, s70 dst_sel:DWORD dst_unused:UNUSED_PAD src0_sel:BYTE_3 src1_sel:DWORD
                                        ; implicit-def: $vgpr48
	s_and_saveexec_b64 s[40:41], vcc
	s_xor_b64 s[38:39], exec, s[40:41]
	s_cbranch_execz .LBB4_7963
; %bb.7954:                             ;   in Loop: Header=BB4_7828 Depth=3
	v_mov_b32_e32 v48, 0
	v_cmp_ne_u32_e32 vcc, 0, v24
	s_and_saveexec_b64 s[48:49], vcc
	s_cbranch_execz .LBB4_7962
; %bb.7955:                             ;   in Loop: Header=BB4_7828 Depth=3
	v_and_b32_e32 v2, 0x7fffff, v24
	v_bfe_u32 v24, v24, 23, 8
	v_cmp_gt_u32_e64 s[40:41], s71, v24
	v_sub_u32_e32 v22, 0x79, v24
	v_cmp_eq_u32_e32 vcc, 0, v24
	v_cndmask_b32_e64 v22, 0, v22, s[40:41]
	v_mov_b32_e32 v25, 0x78
	v_cndmask_b32_e32 v25, v22, v25, vcc
	v_or_b32_e32 v23, 0x800000, v2
	v_add_u32_e32 v22, 20, v25
	v_cndmask_b32_e32 v2, v23, v2, vcc
	v_lshlrev_b64 v[29:30], v22, -1
	v_add_u32_e32 v22, 19, v25
	v_lshlrev_b64 v[36:37], v22, 1
	v_lshrrev_b64 v[44:45], v25, v[2:3]
	v_bfi_b32 v30, v30, 0, 0
	v_bfi_b32 v29, v29, 0, v2
	v_cmp_eq_u64_e64 s[40:41], v[29:30], v[36:37]
	v_mov_b32_e32 v46, v45
	v_mov_b32_e32 v45, v44
	s_and_saveexec_b64 s[50:51], s[40:41]
; %bb.7956:                             ;   in Loop: Header=BB4_7828 Depth=3
	v_bfe_u32 v2, v44, 20, 1
	v_add_co_u32_e64 v2, s[40:41], v44, v2
	v_add_co_u32_e64 v45, s[40:41], -1, v2
; %bb.7957:                             ;   in Loop: Header=BB4_7828 Depth=3
	s_or_b64 exec, exec, s[50:51]
	v_add_u32_e32 v2, 0xffffff81, v24
	v_mov_b32_e32 v22, 0xffffff82
	v_cndmask_b32_e32 v2, v2, v22, vcc
	v_lshrrev_b32_e32 v22, 23, v44
	v_add3_u32 v29, v25, v2, v22
	v_add_u32_e32 v25, 6, v29
	v_and_b32_e32 v2, 0xfffff, v45
	v_add_u32_e32 v2, v2, v44
	v_cmp_ne_u32_e32 vcc, 0, v25
                                        ; implicit-def: $vgpr44_vgpr45
                                        ; implicit-def: $vgpr24
	s_and_saveexec_b64 s[40:41], vcc
	s_xor_b64 s[40:41], exec, s[40:41]
; %bb.7958:                             ;   in Loop: Header=BB4_7828 Depth=3
	v_cmp_lt_u64_e32 vcc, s[74:75], v[2:3]
	v_add_u32_e32 v22, 7, v29
	v_cndmask_b32_e32 v24, v25, v22, vcc
	v_cndmask_b32_e64 v22, 0, 1, vcc
	v_lshrrev_b64 v[44:45], v22, v[2:3]
; %bb.7959:                             ;   in Loop: Header=BB4_7828 Depth=3
	s_andn2_saveexec_b64 s[40:41], s[40:41]
; %bb.7960:                             ;   in Loop: Header=BB4_7828 Depth=3
	v_mov_b32_e32 v45, v3
	v_mov_b32_e32 v44, v2
	v_bfe_u32 v24, v2, 23, 1
; %bb.7961:                             ;   in Loop: Header=BB4_7828 Depth=3
	s_or_b64 exec, exec, s[40:41]
	v_lshrrev_b64 v[29:30], 20, v[44:45]
	v_cmp_gt_i32_e32 vcc, 16, v24
	v_cndmask_b32_e32 v30, 0, v30, vcc
	v_cndmask_b32_e32 v29, 7, v29, vcc
	v_min_i32_e32 v2, 15, v24
	v_cmp_eq_u64_e64 s[40:41], 0, v[29:30]
	v_lshlrev_b32_e32 v2, 3, v2
	v_cmp_eq_u32_e32 vcc, 0, v24
	v_and_b32_e32 v2, 0xf8, v2
	v_and_or_b32 v2, v29, 7, v2
	s_and_b64 s[40:41], vcc, s[40:41]
	v_cndmask_b32_e64 v2, v2, 0, s[40:41]
	v_or_b32_e32 v48, v2, v17
.LBB4_7962:                             ;   in Loop: Header=BB4_7828 Depth=3
	s_or_b64 exec, exec, s[48:49]
                                        ; implicit-def: $vgpr17
.LBB4_7963:                             ;   in Loop: Header=BB4_7828 Depth=3
	s_andn2_saveexec_b64 s[40:41], s[38:39]
; %bb.7964:                             ;   in Loop: Header=BB4_7828 Depth=3
	v_or_b32_e32 v48, 0x7e, v17
; %bb.7965:                             ;   in Loop: Header=BB4_7828 Depth=3
	s_or_b64 exec, exec, s[40:41]
                                        ; implicit-def: $vgpr24
.LBB4_7966:                             ;   in Loop: Header=BB4_7828 Depth=3
	s_andn2_saveexec_b64 s[40:41], s[42:43]
; %bb.7967:                             ;   in Loop: Header=BB4_7828 Depth=3
	v_or_b32_sdwa v48, v24, s68 dst_sel:DWORD dst_unused:UNUSED_PAD src0_sel:BYTE_3 src1_sel:DWORD
; %bb.7968:                             ;   in Loop: Header=BB4_7828 Depth=3
	s_or_b64 exec, exec, s[40:41]
	v_lshrrev_b32_e32 v2, 16, v9
	v_cmp_ne_u16_sdwa s[42:43], v2, v3 src0_sel:BYTE_0 src1_sel:DWORD
	v_mov_b32_e32 v17, 0
	s_and_saveexec_b64 s[40:41], s[42:43]
	s_cbranch_execz .LBB4_7974
; %bb.7969:                             ;   in Loop: Header=BB4_7828 Depth=3
	v_cmp_ne_u16_sdwa vcc, v2, s70 src0_sel:BYTE_0 src1_sel:DWORD
	v_bfrev_b32_e32 v17, 1
	s_and_saveexec_b64 s[42:43], vcc
	s_cbranch_execz .LBB4_7973
; %bb.7970:                             ;   in Loop: Header=BB4_7828 Depth=3
	v_bfe_u32 v24, v9, 16, 7
	v_cmp_ne_u32_e32 vcc, s68, v24
	v_mov_b32_e32 v17, 0x7f800001
	s_and_saveexec_b64 s[38:39], vcc
	s_cbranch_execz .LBB4_7972
; %bb.7971:                             ;   in Loop: Header=BB4_7828 Depth=3
	v_and_b32_e32 v17, 7, v2
	v_ffbh_u32_e32 v23, v17
	v_min_u32_e32 v23, 32, v23
	v_lshrrev_b32_e32 v22, 3, v24
	v_cmp_gt_u32_e32 vcc, 8, v24
	v_subrev_u32_e32 v24, 28, v23
	v_lshlrev_b64 v[24:25], v24, v[2:3]
	v_sub_u32_e32 v23, 29, v23
	v_and_b32_e32 v24, 7, v24
	v_cndmask_b32_e32 v22, v22, v23, vcc
	v_cndmask_b32_e32 v17, v17, v24, vcc
	v_lshlrev_b32_e32 v2, 24, v2
	v_lshlrev_b32_e32 v17, 20, v17
	v_and_b32_e32 v2, 0x80000000, v2
	v_lshl_add_u32 v22, v22, 23, v5
	v_or3_b32 v17, v2, v22, v17
.LBB4_7972:                             ;   in Loop: Header=BB4_7828 Depth=3
	s_or_b64 exec, exec, s[38:39]
.LBB4_7973:                             ;   in Loop: Header=BB4_7828 Depth=3
	s_or_b64 exec, exec, s[42:43]
.LBB4_7974:                             ;   in Loop: Header=BB4_7828 Depth=3
	s_or_b64 exec, exec, s[40:41]
	v_mul_f32_e32 v24, v21, v17
	v_and_b32_e32 v2, 0x7f800000, v24
	v_cmp_ne_u64_e32 vcc, s[62:63], v[2:3]
                                        ; implicit-def: $vgpr50
	s_and_saveexec_b64 s[40:41], vcc
	s_xor_b64 s[42:43], exec, s[40:41]
	s_cbranch_execz .LBB4_7988
; %bb.7975:                             ;   in Loop: Header=BB4_7828 Depth=3
	v_and_b32_e32 v2, 0x7fffffff, v24
	v_cmp_gt_u64_e32 vcc, s[72:73], v[2:3]
	v_and_b32_sdwa v17, v24, s70 dst_sel:DWORD dst_unused:UNUSED_PAD src0_sel:BYTE_3 src1_sel:DWORD
                                        ; implicit-def: $vgpr50
	s_and_saveexec_b64 s[40:41], vcc
	s_xor_b64 s[38:39], exec, s[40:41]
	s_cbranch_execz .LBB4_7985
; %bb.7976:                             ;   in Loop: Header=BB4_7828 Depth=3
	v_mov_b32_e32 v50, 0
	v_cmp_ne_u32_e32 vcc, 0, v24
	s_and_saveexec_b64 s[48:49], vcc
	s_cbranch_execz .LBB4_7984
; %bb.7977:                             ;   in Loop: Header=BB4_7828 Depth=3
	v_and_b32_e32 v2, 0x7fffff, v24
	v_bfe_u32 v24, v24, 23, 8
	v_cmp_gt_u32_e64 s[40:41], s71, v24
	v_sub_u32_e32 v22, 0x79, v24
	v_cmp_eq_u32_e32 vcc, 0, v24
	v_cndmask_b32_e64 v22, 0, v22, s[40:41]
	v_mov_b32_e32 v25, 0x78
	v_cndmask_b32_e32 v25, v22, v25, vcc
	v_or_b32_e32 v23, 0x800000, v2
	v_add_u32_e32 v22, 20, v25
	v_cndmask_b32_e32 v2, v23, v2, vcc
	v_lshlrev_b64 v[29:30], v22, -1
	v_add_u32_e32 v22, 19, v25
	v_lshlrev_b64 v[36:37], v22, 1
	v_lshrrev_b64 v[44:45], v25, v[2:3]
	v_bfi_b32 v30, v30, 0, 0
	v_bfi_b32 v29, v29, 0, v2
	v_cmp_eq_u64_e64 s[40:41], v[29:30], v[36:37]
	v_mov_b32_e32 v46, v45
	v_mov_b32_e32 v45, v44
	s_and_saveexec_b64 s[50:51], s[40:41]
; %bb.7978:                             ;   in Loop: Header=BB4_7828 Depth=3
	v_bfe_u32 v2, v44, 20, 1
	v_add_co_u32_e64 v2, s[40:41], v44, v2
	v_add_co_u32_e64 v45, s[40:41], -1, v2
; %bb.7979:                             ;   in Loop: Header=BB4_7828 Depth=3
	s_or_b64 exec, exec, s[50:51]
	v_add_u32_e32 v2, 0xffffff81, v24
	v_mov_b32_e32 v22, 0xffffff82
	v_cndmask_b32_e32 v2, v2, v22, vcc
	v_lshrrev_b32_e32 v22, 23, v44
	v_add3_u32 v29, v25, v2, v22
	v_add_u32_e32 v25, 6, v29
	v_and_b32_e32 v2, 0xfffff, v45
	v_add_u32_e32 v2, v2, v44
	v_cmp_ne_u32_e32 vcc, 0, v25
                                        ; implicit-def: $vgpr44_vgpr45
                                        ; implicit-def: $vgpr24
	s_and_saveexec_b64 s[40:41], vcc
	s_xor_b64 s[40:41], exec, s[40:41]
; %bb.7980:                             ;   in Loop: Header=BB4_7828 Depth=3
	v_cmp_lt_u64_e32 vcc, s[74:75], v[2:3]
	v_add_u32_e32 v22, 7, v29
	v_cndmask_b32_e32 v24, v25, v22, vcc
	v_cndmask_b32_e64 v22, 0, 1, vcc
	v_lshrrev_b64 v[44:45], v22, v[2:3]
; %bb.7981:                             ;   in Loop: Header=BB4_7828 Depth=3
	s_andn2_saveexec_b64 s[40:41], s[40:41]
; %bb.7982:                             ;   in Loop: Header=BB4_7828 Depth=3
	v_mov_b32_e32 v45, v3
	v_mov_b32_e32 v44, v2
	v_bfe_u32 v24, v2, 23, 1
; %bb.7983:                             ;   in Loop: Header=BB4_7828 Depth=3
	s_or_b64 exec, exec, s[40:41]
	v_lshrrev_b64 v[29:30], 20, v[44:45]
	v_cmp_gt_i32_e32 vcc, 16, v24
	v_cndmask_b32_e32 v30, 0, v30, vcc
	v_cndmask_b32_e32 v29, 7, v29, vcc
	v_min_i32_e32 v2, 15, v24
	v_cmp_eq_u64_e64 s[40:41], 0, v[29:30]
	v_lshlrev_b32_e32 v2, 3, v2
	v_cmp_eq_u32_e32 vcc, 0, v24
	v_and_b32_e32 v2, 0xf8, v2
	v_and_or_b32 v2, v29, 7, v2
	s_and_b64 s[40:41], vcc, s[40:41]
	v_cndmask_b32_e64 v2, v2, 0, s[40:41]
	v_or_b32_e32 v50, v2, v17
.LBB4_7984:                             ;   in Loop: Header=BB4_7828 Depth=3
	s_or_b64 exec, exec, s[48:49]
                                        ; implicit-def: $vgpr17
.LBB4_7985:                             ;   in Loop: Header=BB4_7828 Depth=3
	s_andn2_saveexec_b64 s[40:41], s[38:39]
; %bb.7986:                             ;   in Loop: Header=BB4_7828 Depth=3
	v_or_b32_e32 v50, 0x7e, v17
; %bb.7987:                             ;   in Loop: Header=BB4_7828 Depth=3
	s_or_b64 exec, exec, s[40:41]
                                        ; implicit-def: $vgpr24
.LBB4_7988:                             ;   in Loop: Header=BB4_7828 Depth=3
	s_andn2_saveexec_b64 s[40:41], s[42:43]
; %bb.7989:                             ;   in Loop: Header=BB4_7828 Depth=3
	v_or_b32_sdwa v50, v24, s68 dst_sel:DWORD dst_unused:UNUSED_PAD src0_sel:BYTE_3 src1_sel:DWORD
; %bb.7990:                             ;   in Loop: Header=BB4_7828 Depth=3
	s_or_b64 exec, exec, s[40:41]
	v_cmp_lt_u64_e32 vcc, s[56:57], v[8:9]
	v_mov_b32_e32 v8, 0
	s_and_saveexec_b64 s[40:41], vcc
	s_cbranch_execz .LBB4_7996
; %bb.7991:                             ;   in Loop: Header=BB4_7828 Depth=3
	v_lshrrev_b32_e32 v2, 24, v9
	v_cmp_ne_u32_e32 vcc, s70, v2
	v_bfrev_b32_e32 v8, 1
	s_and_saveexec_b64 s[42:43], vcc
	s_cbranch_execz .LBB4_7995
; %bb.7992:                             ;   in Loop: Header=BB4_7828 Depth=3
	v_bfe_u32 v9, v9, 24, 7
	v_cmp_ne_u32_e32 vcc, s68, v9
	v_mov_b32_e32 v8, 0x7f800001
	s_and_saveexec_b64 s[38:39], vcc
	s_cbranch_execz .LBB4_7994
; %bb.7993:                             ;   in Loop: Header=BB4_7828 Depth=3
	v_and_b32_e32 v17, 7, v2
	v_ffbh_u32_e32 v8, v17
	v_min_u32_e32 v23, 32, v8
	v_subrev_u32_e32 v8, 28, v23
	v_lshrrev_b32_e32 v22, 3, v9
	v_cmp_gt_u32_e32 vcc, 8, v9
	v_lshlrev_b64 v[8:9], v8, v[2:3]
	v_sub_u32_e32 v9, 29, v23
	v_and_b32_e32 v8, 7, v8
	v_cndmask_b32_e32 v9, v22, v9, vcc
	v_cndmask_b32_e32 v8, v17, v8, vcc
	v_lshlrev_b32_e32 v2, 24, v2
	v_lshlrev_b32_e32 v8, 20, v8
	v_and_b32_e32 v2, 0x80000000, v2
	v_lshl_add_u32 v9, v9, 23, v5
	v_or3_b32 v8, v2, v9, v8
.LBB4_7994:                             ;   in Loop: Header=BB4_7828 Depth=3
	s_or_b64 exec, exec, s[38:39]
.LBB4_7995:                             ;   in Loop: Header=BB4_7828 Depth=3
	s_or_b64 exec, exec, s[42:43]
.LBB4_7996:                             ;   in Loop: Header=BB4_7828 Depth=3
	s_or_b64 exec, exec, s[40:41]
	v_mul_f32_e32 v8, v21, v8
	v_and_b32_e32 v2, 0x7f800000, v8
	v_cmp_ne_u64_e32 vcc, s[62:63], v[2:3]
                                        ; implicit-def: $vgpr51
	s_and_saveexec_b64 s[40:41], vcc
	s_xor_b64 s[42:43], exec, s[40:41]
	s_cbranch_execz .LBB4_8010
; %bb.7997:                             ;   in Loop: Header=BB4_7828 Depth=3
	v_and_b32_e32 v2, 0x7fffffff, v8
	v_cmp_gt_u64_e32 vcc, s[72:73], v[2:3]
	v_and_b32_sdwa v17, v8, s70 dst_sel:DWORD dst_unused:UNUSED_PAD src0_sel:BYTE_3 src1_sel:DWORD
                                        ; implicit-def: $vgpr51
	s_and_saveexec_b64 s[40:41], vcc
	s_xor_b64 s[38:39], exec, s[40:41]
	s_cbranch_execz .LBB4_8007
; %bb.7998:                             ;   in Loop: Header=BB4_7828 Depth=3
	v_mov_b32_e32 v51, 0
	v_cmp_ne_u32_e32 vcc, 0, v8
	s_and_saveexec_b64 s[48:49], vcc
	s_cbranch_execz .LBB4_8006
; %bb.7999:                             ;   in Loop: Header=BB4_7828 Depth=3
	v_bfe_u32 v24, v8, 23, 8
	v_and_b32_e32 v2, 0x7fffff, v8
	v_cmp_gt_u32_e64 s[40:41], s71, v24
	v_sub_u32_e32 v8, 0x79, v24
	v_cmp_eq_u32_e32 vcc, 0, v24
	v_cndmask_b32_e64 v8, 0, v8, s[40:41]
	v_mov_b32_e32 v22, 0x78
	v_cndmask_b32_e32 v25, v8, v22, vcc
	v_or_b32_e32 v9, 0x800000, v2
	v_add_u32_e32 v8, 20, v25
	v_cndmask_b32_e32 v2, v9, v2, vcc
	v_lshlrev_b64 v[8:9], v8, -1
	v_add_u32_e32 v22, 19, v25
	v_lshlrev_b64 v[29:30], v22, 1
	v_bfi_b32 v9, v9, 0, 0
	v_bfi_b32 v8, v8, 0, v2
	v_cmp_eq_u64_e64 s[40:41], v[8:9], v[29:30]
	v_lshrrev_b64 v[8:9], v25, v[2:3]
	v_mov_b32_e32 v45, v9
	v_mov_b32_e32 v44, v8
	s_and_saveexec_b64 s[50:51], s[40:41]
; %bb.8000:                             ;   in Loop: Header=BB4_7828 Depth=3
	v_bfe_u32 v2, v8, 20, 1
	v_add_co_u32_e64 v2, s[40:41], v8, v2
	v_add_co_u32_e64 v44, s[40:41], -1, v2
; %bb.8001:                             ;   in Loop: Header=BB4_7828 Depth=3
	s_or_b64 exec, exec, s[50:51]
	v_add_u32_e32 v2, 0xffffff81, v24
	v_mov_b32_e32 v9, 0xffffff82
	v_cndmask_b32_e32 v2, v2, v9, vcc
	v_lshrrev_b32_e32 v9, 23, v8
	v_add3_u32 v29, v25, v2, v9
	v_add_u32_e32 v25, 6, v29
	v_and_b32_e32 v2, 0xfffff, v44
	v_add_u32_e32 v2, v2, v8
	v_cmp_ne_u32_e32 vcc, 0, v25
                                        ; implicit-def: $vgpr8_vgpr9
                                        ; implicit-def: $vgpr24
	s_and_saveexec_b64 s[40:41], vcc
	s_xor_b64 s[40:41], exec, s[40:41]
; %bb.8002:                             ;   in Loop: Header=BB4_7828 Depth=3
	v_cmp_lt_u64_e32 vcc, s[74:75], v[2:3]
	v_add_u32_e32 v8, 7, v29
	v_cndmask_b32_e32 v24, v25, v8, vcc
	v_cndmask_b32_e64 v8, 0, 1, vcc
	v_lshrrev_b64 v[8:9], v8, v[2:3]
; %bb.8003:                             ;   in Loop: Header=BB4_7828 Depth=3
	s_andn2_saveexec_b64 s[40:41], s[40:41]
; %bb.8004:                             ;   in Loop: Header=BB4_7828 Depth=3
	v_mov_b32_e32 v9, v3
	v_mov_b32_e32 v8, v2
	v_bfe_u32 v24, v2, 23, 1
; %bb.8005:                             ;   in Loop: Header=BB4_7828 Depth=3
	s_or_b64 exec, exec, s[40:41]
	v_lshrrev_b64 v[8:9], 20, v[8:9]
	v_cmp_gt_i32_e32 vcc, 16, v24
	v_cndmask_b32_e32 v9, 0, v9, vcc
	v_cndmask_b32_e32 v8, 7, v8, vcc
	v_min_i32_e32 v2, 15, v24
	v_cmp_eq_u64_e64 s[40:41], 0, v[8:9]
	v_lshlrev_b32_e32 v2, 3, v2
	v_cmp_eq_u32_e32 vcc, 0, v24
	v_and_b32_e32 v2, 0xf8, v2
	v_and_or_b32 v2, v8, 7, v2
	s_and_b64 s[40:41], vcc, s[40:41]
	v_cndmask_b32_e64 v2, v2, 0, s[40:41]
	v_or_b32_e32 v51, v2, v17
.LBB4_8006:                             ;   in Loop: Header=BB4_7828 Depth=3
	s_or_b64 exec, exec, s[48:49]
                                        ; implicit-def: $vgpr17
.LBB4_8007:                             ;   in Loop: Header=BB4_7828 Depth=3
	s_andn2_saveexec_b64 s[40:41], s[38:39]
; %bb.8008:                             ;   in Loop: Header=BB4_7828 Depth=3
	v_or_b32_e32 v51, 0x7e, v17
; %bb.8009:                             ;   in Loop: Header=BB4_7828 Depth=3
	s_or_b64 exec, exec, s[40:41]
                                        ; implicit-def: $vgpr8
.LBB4_8010:                             ;   in Loop: Header=BB4_7828 Depth=3
	s_andn2_saveexec_b64 s[40:41], s[42:43]
; %bb.8011:                             ;   in Loop: Header=BB4_7828 Depth=3
	v_or_b32_sdwa v51, v8, s68 dst_sel:DWORD dst_unused:UNUSED_PAD src0_sel:BYTE_3 src1_sel:DWORD
; %bb.8012:                             ;   in Loop: Header=BB4_7828 Depth=3
	s_or_b64 exec, exec, s[40:41]
	v_cmp_ne_u16_sdwa s[42:43], v10, v3 src0_sel:BYTE_0 src1_sel:DWORD
	v_mov_b32_e32 v2, 0
	s_and_saveexec_b64 s[40:41], s[42:43]
	s_cbranch_execz .LBB4_8018
; %bb.8013:                             ;   in Loop: Header=BB4_7828 Depth=3
	v_cmp_ne_u16_sdwa vcc, v10, s70 src0_sel:BYTE_0 src1_sel:DWORD
	v_bfrev_b32_e32 v2, 1
	s_and_saveexec_b64 s[42:43], vcc
	s_cbranch_execz .LBB4_8017
; %bb.8014:                             ;   in Loop: Header=BB4_7828 Depth=3
	v_and_b32_e32 v8, 0x7f, v10
	v_cmp_ne_u32_e32 vcc, s68, v8
	v_mov_b32_e32 v2, 0x7f800001
	s_and_saveexec_b64 s[38:39], vcc
	s_cbranch_execz .LBB4_8016
; %bb.8015:                             ;   in Loop: Header=BB4_7828 Depth=3
	v_and_b32_e32 v2, 7, v10
	v_ffbh_u32_e32 v2, v2
	v_min_u32_e32 v2, 32, v2
	v_lshrrev_b32_e32 v9, 3, v8
	v_cmp_gt_u32_e32 vcc, 8, v8
	v_subrev_u32_e32 v8, 28, v2
	v_sub_u32_e32 v2, 29, v2
	v_cndmask_b32_e32 v8, 0, v8, vcc
	v_cndmask_b32_e32 v2, v9, v2, vcc
	v_lshlrev_b64 v[8:9], v8, v[10:11]
	v_lshlrev_b32_e32 v9, 24, v10
	v_lshlrev_b32_e32 v8, 20, v8
	v_and_b32_e32 v8, 0x700000, v8
	v_and_b32_e32 v9, 0x80000000, v9
	v_lshl_add_u32 v2, v2, 23, v5
	v_or3_b32 v2, v9, v2, v8
.LBB4_8016:                             ;   in Loop: Header=BB4_7828 Depth=3
	s_or_b64 exec, exec, s[38:39]
.LBB4_8017:                             ;   in Loop: Header=BB4_7828 Depth=3
	s_or_b64 exec, exec, s[42:43]
.LBB4_8018:                             ;   in Loop: Header=BB4_7828 Depth=3
	s_or_b64 exec, exec, s[40:41]
	v_mul_f32_e32 v8, v21, v2
	v_and_b32_e32 v2, 0x7f800000, v8
	v_cmp_ne_u64_e32 vcc, s[62:63], v[2:3]
                                        ; implicit-def: $vgpr24
	s_and_saveexec_b64 s[40:41], vcc
	s_xor_b64 s[42:43], exec, s[40:41]
	s_cbranch_execz .LBB4_8032
; %bb.8019:                             ;   in Loop: Header=BB4_7828 Depth=3
	v_and_b32_e32 v2, 0x7fffffff, v8
	v_cmp_gt_u64_e32 vcc, s[72:73], v[2:3]
	v_and_b32_sdwa v17, v8, s70 dst_sel:DWORD dst_unused:UNUSED_PAD src0_sel:BYTE_3 src1_sel:DWORD
                                        ; implicit-def: $vgpr24
	s_and_saveexec_b64 s[40:41], vcc
	s_xor_b64 s[38:39], exec, s[40:41]
	s_cbranch_execz .LBB4_8029
; %bb.8020:                             ;   in Loop: Header=BB4_7828 Depth=3
	v_mov_b32_e32 v24, 0
	v_cmp_ne_u32_e32 vcc, 0, v8
	s_and_saveexec_b64 s[48:49], vcc
	s_cbranch_execz .LBB4_8028
; %bb.8021:                             ;   in Loop: Header=BB4_7828 Depth=3
	v_bfe_u32 v24, v8, 23, 8
	v_and_b32_e32 v2, 0x7fffff, v8
	v_cmp_gt_u32_e64 s[40:41], s71, v24
	v_sub_u32_e32 v8, 0x79, v24
	v_cmp_eq_u32_e32 vcc, 0, v24
	v_cndmask_b32_e64 v8, 0, v8, s[40:41]
	v_mov_b32_e32 v22, 0x78
	v_cndmask_b32_e32 v25, v8, v22, vcc
	v_or_b32_e32 v9, 0x800000, v2
	v_add_u32_e32 v8, 20, v25
	v_cndmask_b32_e32 v2, v9, v2, vcc
	v_lshlrev_b64 v[8:9], v8, -1
	v_add_u32_e32 v22, 19, v25
	v_lshlrev_b64 v[29:30], v22, 1
	v_bfi_b32 v9, v9, 0, 0
	v_bfi_b32 v8, v8, 0, v2
	v_cmp_eq_u64_e64 s[40:41], v[8:9], v[29:30]
	v_lshrrev_b64 v[8:9], v25, v[2:3]
	v_mov_b32_e32 v45, v9
	v_mov_b32_e32 v44, v8
	s_and_saveexec_b64 s[50:51], s[40:41]
; %bb.8022:                             ;   in Loop: Header=BB4_7828 Depth=3
	v_bfe_u32 v2, v8, 20, 1
	v_add_co_u32_e64 v2, s[40:41], v8, v2
	v_add_co_u32_e64 v44, s[40:41], -1, v2
; %bb.8023:                             ;   in Loop: Header=BB4_7828 Depth=3
	s_or_b64 exec, exec, s[50:51]
	v_add_u32_e32 v2, 0xffffff81, v24
	v_mov_b32_e32 v9, 0xffffff82
	v_cndmask_b32_e32 v2, v2, v9, vcc
	v_lshrrev_b32_e32 v9, 23, v8
	v_add3_u32 v29, v25, v2, v9
	v_add_u32_e32 v25, 6, v29
	v_and_b32_e32 v2, 0xfffff, v44
	v_add_u32_e32 v2, v2, v8
	v_cmp_ne_u32_e32 vcc, 0, v25
                                        ; implicit-def: $vgpr8_vgpr9
                                        ; implicit-def: $vgpr24
	s_and_saveexec_b64 s[40:41], vcc
	s_xor_b64 s[40:41], exec, s[40:41]
; %bb.8024:                             ;   in Loop: Header=BB4_7828 Depth=3
	v_cmp_lt_u64_e32 vcc, s[74:75], v[2:3]
	v_add_u32_e32 v8, 7, v29
	v_cndmask_b32_e32 v24, v25, v8, vcc
	v_cndmask_b32_e64 v8, 0, 1, vcc
	v_lshrrev_b64 v[8:9], v8, v[2:3]
; %bb.8025:                             ;   in Loop: Header=BB4_7828 Depth=3
	s_andn2_saveexec_b64 s[40:41], s[40:41]
; %bb.8026:                             ;   in Loop: Header=BB4_7828 Depth=3
	v_mov_b32_e32 v9, v3
	v_mov_b32_e32 v8, v2
	v_bfe_u32 v24, v2, 23, 1
; %bb.8027:                             ;   in Loop: Header=BB4_7828 Depth=3
	s_or_b64 exec, exec, s[40:41]
	v_lshrrev_b64 v[8:9], 20, v[8:9]
	v_cmp_gt_i32_e32 vcc, 16, v24
	v_cndmask_b32_e32 v9, 0, v9, vcc
	v_cndmask_b32_e32 v8, 7, v8, vcc
	v_min_i32_e32 v2, 15, v24
	v_cmp_eq_u64_e64 s[40:41], 0, v[8:9]
	v_lshlrev_b32_e32 v2, 3, v2
	v_cmp_eq_u32_e32 vcc, 0, v24
	v_and_b32_e32 v2, 0xf8, v2
	v_and_or_b32 v2, v8, 7, v2
	s_and_b64 s[40:41], vcc, s[40:41]
	v_cndmask_b32_e64 v2, v2, 0, s[40:41]
	v_or_b32_e32 v24, v2, v17
.LBB4_8028:                             ;   in Loop: Header=BB4_7828 Depth=3
	s_or_b64 exec, exec, s[48:49]
                                        ; implicit-def: $vgpr17
.LBB4_8029:                             ;   in Loop: Header=BB4_7828 Depth=3
	s_andn2_saveexec_b64 s[40:41], s[38:39]
; %bb.8030:                             ;   in Loop: Header=BB4_7828 Depth=3
	v_or_b32_e32 v24, 0x7e, v17
; %bb.8031:                             ;   in Loop: Header=BB4_7828 Depth=3
	s_or_b64 exec, exec, s[40:41]
                                        ; implicit-def: $vgpr8
.LBB4_8032:                             ;   in Loop: Header=BB4_7828 Depth=3
	s_andn2_saveexec_b64 s[40:41], s[42:43]
; %bb.8033:                             ;   in Loop: Header=BB4_7828 Depth=3
	v_or_b32_sdwa v24, v8, s68 dst_sel:DWORD dst_unused:UNUSED_PAD src0_sel:BYTE_3 src1_sel:DWORD
; %bb.8034:                             ;   in Loop: Header=BB4_7828 Depth=3
	s_or_b64 exec, exec, s[40:41]
	v_lshrrev_b16_e32 v2, 8, v10
	v_cmp_ne_u16_e32 vcc, 0, v2
	v_mov_b32_e32 v8, 0
	s_and_saveexec_b64 s[40:41], vcc
	s_cbranch_execz .LBB4_8040
; %bb.8035:                             ;   in Loop: Header=BB4_7828 Depth=3
	v_cmp_ne_u16_e32 vcc, s70, v2
	v_bfrev_b32_e32 v8, 1
	s_and_saveexec_b64 s[42:43], vcc
	s_cbranch_execz .LBB4_8039
; %bb.8036:                             ;   in Loop: Header=BB4_7828 Depth=3
	v_and_b32_e32 v9, 0x7f, v2
	v_cmp_ne_u32_e32 vcc, s68, v9
	v_mov_b32_e32 v8, 0x7f800001
	s_and_saveexec_b64 s[38:39], vcc
	s_cbranch_execz .LBB4_8038
; %bb.8037:                             ;   in Loop: Header=BB4_7828 Depth=3
	v_and_b32_e32 v17, 7, v2
	v_ffbh_u32_e32 v8, v17
	v_min_u32_e32 v23, 32, v8
	v_subrev_u32_e32 v8, 28, v23
	v_lshrrev_b32_e32 v22, 3, v9
	v_cmp_gt_u32_e32 vcc, 8, v9
	v_lshlrev_b64 v[8:9], v8, v[2:3]
	v_sub_u32_e32 v2, 29, v23
	v_and_b32_e32 v8, 7, v8
	v_cndmask_b32_e32 v2, v22, v2, vcc
	v_cndmask_b32_e32 v8, v17, v8, vcc
	v_lshlrev_b32_e32 v9, 16, v10
	v_lshlrev_b32_e32 v8, 20, v8
	v_and_b32_e32 v9, 0x80000000, v9
	v_lshl_add_u32 v2, v2, 23, v5
	v_or3_b32 v8, v9, v2, v8
.LBB4_8038:                             ;   in Loop: Header=BB4_7828 Depth=3
	s_or_b64 exec, exec, s[38:39]
.LBB4_8039:                             ;   in Loop: Header=BB4_7828 Depth=3
	s_or_b64 exec, exec, s[42:43]
.LBB4_8040:                             ;   in Loop: Header=BB4_7828 Depth=3
	s_or_b64 exec, exec, s[40:41]
	v_mul_f32_e32 v8, v21, v8
	v_and_b32_e32 v2, 0x7f800000, v8
	v_cmp_ne_u64_e32 vcc, s[62:63], v[2:3]
                                        ; implicit-def: $vgpr36
	s_and_saveexec_b64 s[40:41], vcc
	s_xor_b64 s[42:43], exec, s[40:41]
	s_cbranch_execz .LBB4_8054
; %bb.8041:                             ;   in Loop: Header=BB4_7828 Depth=3
	v_and_b32_e32 v2, 0x7fffffff, v8
	v_cmp_gt_u64_e32 vcc, s[72:73], v[2:3]
	v_and_b32_sdwa v17, v8, s70 dst_sel:DWORD dst_unused:UNUSED_PAD src0_sel:BYTE_3 src1_sel:DWORD
                                        ; implicit-def: $vgpr36
	s_and_saveexec_b64 s[40:41], vcc
	s_xor_b64 s[38:39], exec, s[40:41]
	s_cbranch_execz .LBB4_8051
; %bb.8042:                             ;   in Loop: Header=BB4_7828 Depth=3
	v_mov_b32_e32 v36, 0
	v_cmp_ne_u32_e32 vcc, 0, v8
	s_and_saveexec_b64 s[48:49], vcc
	s_cbranch_execz .LBB4_8050
; %bb.8043:                             ;   in Loop: Header=BB4_7828 Depth=3
	v_bfe_u32 v25, v8, 23, 8
	v_and_b32_e32 v2, 0x7fffff, v8
	v_cmp_gt_u32_e64 s[40:41], s71, v25
	v_sub_u32_e32 v8, 0x79, v25
	v_cmp_eq_u32_e32 vcc, 0, v25
	v_cndmask_b32_e64 v8, 0, v8, s[40:41]
	v_mov_b32_e32 v22, 0x78
	v_cndmask_b32_e32 v29, v8, v22, vcc
	v_or_b32_e32 v9, 0x800000, v2
	v_add_u32_e32 v8, 20, v29
	v_cndmask_b32_e32 v2, v9, v2, vcc
	v_lshlrev_b64 v[8:9], v8, -1
	v_add_u32_e32 v22, 19, v29
	v_lshlrev_b64 v[36:37], v22, 1
	v_bfi_b32 v9, v9, 0, 0
	v_bfi_b32 v8, v8, 0, v2
	v_cmp_eq_u64_e64 s[40:41], v[8:9], v[36:37]
	v_lshrrev_b64 v[8:9], v29, v[2:3]
	v_mov_b32_e32 v45, v9
	v_mov_b32_e32 v44, v8
	s_and_saveexec_b64 s[50:51], s[40:41]
; %bb.8044:                             ;   in Loop: Header=BB4_7828 Depth=3
	v_bfe_u32 v2, v8, 20, 1
	v_add_co_u32_e64 v2, s[40:41], v8, v2
	v_add_co_u32_e64 v44, s[40:41], -1, v2
; %bb.8045:                             ;   in Loop: Header=BB4_7828 Depth=3
	s_or_b64 exec, exec, s[50:51]
	v_add_u32_e32 v2, 0xffffff81, v25
	v_mov_b32_e32 v9, 0xffffff82
	v_cndmask_b32_e32 v2, v2, v9, vcc
	v_lshrrev_b32_e32 v9, 23, v8
	v_add3_u32 v30, v29, v2, v9
	v_add_u32_e32 v29, 6, v30
	v_and_b32_e32 v2, 0xfffff, v44
	v_add_u32_e32 v2, v2, v8
	v_cmp_ne_u32_e32 vcc, 0, v29
                                        ; implicit-def: $vgpr8_vgpr9
                                        ; implicit-def: $vgpr25
	s_and_saveexec_b64 s[40:41], vcc
	s_xor_b64 s[40:41], exec, s[40:41]
; %bb.8046:                             ;   in Loop: Header=BB4_7828 Depth=3
	v_cmp_lt_u64_e32 vcc, s[74:75], v[2:3]
	v_add_u32_e32 v8, 7, v30
	v_cndmask_b32_e32 v25, v29, v8, vcc
	v_cndmask_b32_e64 v8, 0, 1, vcc
	v_lshrrev_b64 v[8:9], v8, v[2:3]
; %bb.8047:                             ;   in Loop: Header=BB4_7828 Depth=3
	s_andn2_saveexec_b64 s[40:41], s[40:41]
; %bb.8048:                             ;   in Loop: Header=BB4_7828 Depth=3
	v_mov_b32_e32 v9, v3
	v_mov_b32_e32 v8, v2
	v_bfe_u32 v25, v2, 23, 1
; %bb.8049:                             ;   in Loop: Header=BB4_7828 Depth=3
	s_or_b64 exec, exec, s[40:41]
	v_lshrrev_b64 v[8:9], 20, v[8:9]
	v_cmp_gt_i32_e32 vcc, 16, v25
	v_cndmask_b32_e32 v9, 0, v9, vcc
	v_cndmask_b32_e32 v8, 7, v8, vcc
	v_min_i32_e32 v2, 15, v25
	v_cmp_eq_u64_e64 s[40:41], 0, v[8:9]
	v_lshlrev_b32_e32 v2, 3, v2
	v_cmp_eq_u32_e32 vcc, 0, v25
	v_and_b32_e32 v2, 0xf8, v2
	v_and_or_b32 v2, v8, 7, v2
	s_and_b64 s[40:41], vcc, s[40:41]
	v_cndmask_b32_e64 v2, v2, 0, s[40:41]
	v_or_b32_e32 v36, v2, v17
.LBB4_8050:                             ;   in Loop: Header=BB4_7828 Depth=3
	s_or_b64 exec, exec, s[48:49]
                                        ; implicit-def: $vgpr17
.LBB4_8051:                             ;   in Loop: Header=BB4_7828 Depth=3
	s_andn2_saveexec_b64 s[40:41], s[38:39]
; %bb.8052:                             ;   in Loop: Header=BB4_7828 Depth=3
	v_or_b32_e32 v36, 0x7e, v17
; %bb.8053:                             ;   in Loop: Header=BB4_7828 Depth=3
	s_or_b64 exec, exec, s[40:41]
                                        ; implicit-def: $vgpr8
.LBB4_8054:                             ;   in Loop: Header=BB4_7828 Depth=3
	s_andn2_saveexec_b64 s[40:41], s[42:43]
; %bb.8055:                             ;   in Loop: Header=BB4_7828 Depth=3
	v_or_b32_sdwa v36, v8, s68 dst_sel:DWORD dst_unused:UNUSED_PAD src0_sel:BYTE_3 src1_sel:DWORD
; %bb.8056:                             ;   in Loop: Header=BB4_7828 Depth=3
	s_or_b64 exec, exec, s[40:41]
	v_lshrrev_b32_e32 v2, 16, v10
	v_cmp_ne_u16_sdwa s[42:43], v2, v3 src0_sel:BYTE_0 src1_sel:DWORD
	v_mov_b32_e32 v8, 0
	s_and_saveexec_b64 s[40:41], s[42:43]
	s_cbranch_execz .LBB4_8062
; %bb.8057:                             ;   in Loop: Header=BB4_7828 Depth=3
	v_cmp_ne_u16_sdwa vcc, v2, s70 src0_sel:BYTE_0 src1_sel:DWORD
	v_bfrev_b32_e32 v8, 1
	s_and_saveexec_b64 s[42:43], vcc
	s_cbranch_execz .LBB4_8061
; %bb.8058:                             ;   in Loop: Header=BB4_7828 Depth=3
	v_bfe_u32 v9, v10, 16, 7
	v_cmp_ne_u32_e32 vcc, s68, v9
	v_mov_b32_e32 v8, 0x7f800001
	s_and_saveexec_b64 s[38:39], vcc
	s_cbranch_execz .LBB4_8060
; %bb.8059:                             ;   in Loop: Header=BB4_7828 Depth=3
	v_and_b32_e32 v17, 7, v2
	v_ffbh_u32_e32 v8, v17
	v_min_u32_e32 v23, 32, v8
	v_subrev_u32_e32 v8, 28, v23
	v_lshrrev_b32_e32 v22, 3, v9
	v_cmp_gt_u32_e32 vcc, 8, v9
	v_lshlrev_b64 v[8:9], v8, v[2:3]
	v_sub_u32_e32 v9, 29, v23
	v_and_b32_e32 v8, 7, v8
	v_cndmask_b32_e32 v9, v22, v9, vcc
	v_cndmask_b32_e32 v8, v17, v8, vcc
	v_lshlrev_b32_e32 v2, 24, v2
	v_lshlrev_b32_e32 v8, 20, v8
	v_and_b32_e32 v2, 0x80000000, v2
	v_lshl_add_u32 v9, v9, 23, v5
	v_or3_b32 v8, v2, v9, v8
.LBB4_8060:                             ;   in Loop: Header=BB4_7828 Depth=3
	s_or_b64 exec, exec, s[38:39]
.LBB4_8061:                             ;   in Loop: Header=BB4_7828 Depth=3
	s_or_b64 exec, exec, s[42:43]
.LBB4_8062:                             ;   in Loop: Header=BB4_7828 Depth=3
	s_or_b64 exec, exec, s[40:41]
	v_mul_f32_e32 v8, v21, v8
	v_and_b32_e32 v2, 0x7f800000, v8
	v_cmp_ne_u64_e32 vcc, s[62:63], v[2:3]
                                        ; implicit-def: $vgpr39
	s_and_saveexec_b64 s[40:41], vcc
	s_xor_b64 s[42:43], exec, s[40:41]
	s_cbranch_execz .LBB4_8076
; %bb.8063:                             ;   in Loop: Header=BB4_7828 Depth=3
	v_and_b32_e32 v2, 0x7fffffff, v8
	v_cmp_gt_u64_e32 vcc, s[72:73], v[2:3]
	v_and_b32_sdwa v17, v8, s70 dst_sel:DWORD dst_unused:UNUSED_PAD src0_sel:BYTE_3 src1_sel:DWORD
                                        ; implicit-def: $vgpr39
	s_and_saveexec_b64 s[40:41], vcc
	s_xor_b64 s[38:39], exec, s[40:41]
	s_cbranch_execz .LBB4_8073
; %bb.8064:                             ;   in Loop: Header=BB4_7828 Depth=3
	v_mov_b32_e32 v39, 0
	v_cmp_ne_u32_e32 vcc, 0, v8
	s_and_saveexec_b64 s[48:49], vcc
	s_cbranch_execz .LBB4_8072
; %bb.8065:                             ;   in Loop: Header=BB4_7828 Depth=3
	v_bfe_u32 v25, v8, 23, 8
	v_and_b32_e32 v2, 0x7fffff, v8
	v_cmp_gt_u32_e64 s[40:41], s71, v25
	v_sub_u32_e32 v8, 0x79, v25
	v_cmp_eq_u32_e32 vcc, 0, v25
	v_cndmask_b32_e64 v8, 0, v8, s[40:41]
	v_mov_b32_e32 v22, 0x78
	v_cndmask_b32_e32 v29, v8, v22, vcc
	v_or_b32_e32 v9, 0x800000, v2
	v_add_u32_e32 v8, 20, v29
	v_cndmask_b32_e32 v2, v9, v2, vcc
	v_lshlrev_b64 v[8:9], v8, -1
	v_add_u32_e32 v22, 19, v29
	v_lshlrev_b64 v[53:54], v22, 1
	v_bfi_b32 v9, v9, 0, 0
	v_bfi_b32 v8, v8, 0, v2
	v_cmp_eq_u64_e64 s[40:41], v[8:9], v[53:54]
	v_lshrrev_b64 v[8:9], v29, v[2:3]
	v_mov_b32_e32 v45, v9
	v_mov_b32_e32 v44, v8
	s_and_saveexec_b64 s[50:51], s[40:41]
; %bb.8066:                             ;   in Loop: Header=BB4_7828 Depth=3
	v_bfe_u32 v2, v8, 20, 1
	v_add_co_u32_e64 v2, s[40:41], v8, v2
	v_add_co_u32_e64 v44, s[40:41], -1, v2
; %bb.8067:                             ;   in Loop: Header=BB4_7828 Depth=3
	s_or_b64 exec, exec, s[50:51]
	v_add_u32_e32 v2, 0xffffff81, v25
	v_mov_b32_e32 v9, 0xffffff82
	v_cndmask_b32_e32 v2, v2, v9, vcc
	v_lshrrev_b32_e32 v9, 23, v8
	v_add3_u32 v30, v29, v2, v9
	v_add_u32_e32 v29, 6, v30
	v_and_b32_e32 v2, 0xfffff, v44
	v_add_u32_e32 v2, v2, v8
	v_cmp_ne_u32_e32 vcc, 0, v29
                                        ; implicit-def: $vgpr8_vgpr9
                                        ; implicit-def: $vgpr25
	s_and_saveexec_b64 s[40:41], vcc
	s_xor_b64 s[40:41], exec, s[40:41]
; %bb.8068:                             ;   in Loop: Header=BB4_7828 Depth=3
	v_cmp_lt_u64_e32 vcc, s[74:75], v[2:3]
	v_add_u32_e32 v8, 7, v30
	v_cndmask_b32_e32 v25, v29, v8, vcc
	v_cndmask_b32_e64 v8, 0, 1, vcc
	v_lshrrev_b64 v[8:9], v8, v[2:3]
; %bb.8069:                             ;   in Loop: Header=BB4_7828 Depth=3
	s_andn2_saveexec_b64 s[40:41], s[40:41]
; %bb.8070:                             ;   in Loop: Header=BB4_7828 Depth=3
	v_mov_b32_e32 v9, v3
	v_mov_b32_e32 v8, v2
	v_bfe_u32 v25, v2, 23, 1
; %bb.8071:                             ;   in Loop: Header=BB4_7828 Depth=3
	s_or_b64 exec, exec, s[40:41]
	v_lshrrev_b64 v[8:9], 20, v[8:9]
	v_cmp_gt_i32_e32 vcc, 16, v25
	v_cndmask_b32_e32 v9, 0, v9, vcc
	v_cndmask_b32_e32 v8, 7, v8, vcc
	v_min_i32_e32 v2, 15, v25
	v_cmp_eq_u64_e64 s[40:41], 0, v[8:9]
	v_lshlrev_b32_e32 v2, 3, v2
	v_cmp_eq_u32_e32 vcc, 0, v25
	v_and_b32_e32 v2, 0xf8, v2
	v_and_or_b32 v2, v8, 7, v2
	s_and_b64 s[40:41], vcc, s[40:41]
	v_cndmask_b32_e64 v2, v2, 0, s[40:41]
	v_or_b32_e32 v39, v2, v17
.LBB4_8072:                             ;   in Loop: Header=BB4_7828 Depth=3
	s_or_b64 exec, exec, s[48:49]
                                        ; implicit-def: $vgpr17
.LBB4_8073:                             ;   in Loop: Header=BB4_7828 Depth=3
	s_andn2_saveexec_b64 s[40:41], s[38:39]
; %bb.8074:                             ;   in Loop: Header=BB4_7828 Depth=3
	v_or_b32_e32 v39, 0x7e, v17
; %bb.8075:                             ;   in Loop: Header=BB4_7828 Depth=3
	s_or_b64 exec, exec, s[40:41]
                                        ; implicit-def: $vgpr8
.LBB4_8076:                             ;   in Loop: Header=BB4_7828 Depth=3
	s_andn2_saveexec_b64 s[40:41], s[42:43]
; %bb.8077:                             ;   in Loop: Header=BB4_7828 Depth=3
	v_or_b32_sdwa v39, v8, s68 dst_sel:DWORD dst_unused:UNUSED_PAD src0_sel:BYTE_3 src1_sel:DWORD
; %bb.8078:                             ;   in Loop: Header=BB4_7828 Depth=3
	s_or_b64 exec, exec, s[40:41]
	v_cmp_lt_u32_e32 vcc, s57, v10
	v_mov_b32_e32 v8, 0
	s_and_saveexec_b64 s[40:41], vcc
	s_cbranch_execz .LBB4_8084
; %bb.8079:                             ;   in Loop: Header=BB4_7828 Depth=3
	v_lshrrev_b32_e32 v2, 24, v10
	v_cmp_ne_u32_e32 vcc, s70, v2
	v_bfrev_b32_e32 v8, 1
	s_and_saveexec_b64 s[42:43], vcc
	s_cbranch_execz .LBB4_8083
; %bb.8080:                             ;   in Loop: Header=BB4_7828 Depth=3
	v_bfe_u32 v9, v10, 24, 7
	v_cmp_ne_u32_e32 vcc, s68, v9
	v_mov_b32_e32 v8, 0x7f800001
	s_and_saveexec_b64 s[38:39], vcc
	s_cbranch_execz .LBB4_8082
; %bb.8081:                             ;   in Loop: Header=BB4_7828 Depth=3
	v_and_b32_e32 v17, 7, v2
	v_ffbh_u32_e32 v8, v17
	v_min_u32_e32 v23, 32, v8
	v_subrev_u32_e32 v8, 28, v23
	v_lshrrev_b32_e32 v22, 3, v9
	v_cmp_gt_u32_e32 vcc, 8, v9
	v_lshlrev_b64 v[8:9], v8, v[2:3]
	v_sub_u32_e32 v9, 29, v23
	v_and_b32_e32 v8, 7, v8
	v_cndmask_b32_e32 v9, v22, v9, vcc
	v_cndmask_b32_e32 v8, v17, v8, vcc
	v_lshlrev_b32_e32 v2, 24, v2
	v_lshlrev_b32_e32 v8, 20, v8
	v_and_b32_e32 v2, 0x80000000, v2
	v_lshl_add_u32 v9, v9, 23, v5
	v_or3_b32 v8, v2, v9, v8
.LBB4_8082:                             ;   in Loop: Header=BB4_7828 Depth=3
	s_or_b64 exec, exec, s[38:39]
.LBB4_8083:                             ;   in Loop: Header=BB4_7828 Depth=3
	s_or_b64 exec, exec, s[42:43]
.LBB4_8084:                             ;   in Loop: Header=BB4_7828 Depth=3
	s_or_b64 exec, exec, s[40:41]
	v_mul_f32_e32 v8, v21, v8
	v_and_b32_e32 v2, 0x7f800000, v8
	v_cmp_ne_u64_e32 vcc, s[62:63], v[2:3]
                                        ; implicit-def: $vgpr49
	s_and_saveexec_b64 s[40:41], vcc
	s_xor_b64 s[42:43], exec, s[40:41]
	s_cbranch_execz .LBB4_8098
; %bb.8085:                             ;   in Loop: Header=BB4_7828 Depth=3
	v_and_b32_e32 v2, 0x7fffffff, v8
	v_cmp_gt_u64_e32 vcc, s[72:73], v[2:3]
	v_and_b32_sdwa v17, v8, s70 dst_sel:DWORD dst_unused:UNUSED_PAD src0_sel:BYTE_3 src1_sel:DWORD
                                        ; implicit-def: $vgpr49
	s_and_saveexec_b64 s[40:41], vcc
	s_xor_b64 s[38:39], exec, s[40:41]
	s_cbranch_execz .LBB4_8095
; %bb.8086:                             ;   in Loop: Header=BB4_7828 Depth=3
	v_mov_b32_e32 v49, 0
	v_cmp_ne_u32_e32 vcc, 0, v8
	s_and_saveexec_b64 s[48:49], vcc
	s_cbranch_execz .LBB4_8094
; %bb.8087:                             ;   in Loop: Header=BB4_7828 Depth=3
	v_bfe_u32 v25, v8, 23, 8
	v_and_b32_e32 v2, 0x7fffff, v8
	v_cmp_gt_u32_e64 s[40:41], s71, v25
	v_sub_u32_e32 v8, 0x79, v25
	v_cmp_eq_u32_e32 vcc, 0, v25
	v_cndmask_b32_e64 v8, 0, v8, s[40:41]
	v_mov_b32_e32 v22, 0x78
	v_cndmask_b32_e32 v29, v8, v22, vcc
	v_or_b32_e32 v9, 0x800000, v2
	v_add_u32_e32 v8, 20, v29
	v_cndmask_b32_e32 v2, v9, v2, vcc
	v_lshlrev_b64 v[8:9], v8, -1
	v_add_u32_e32 v22, 19, v29
	v_lshlrev_b64 v[53:54], v22, 1
	v_bfi_b32 v9, v9, 0, 0
	v_bfi_b32 v8, v8, 0, v2
	v_cmp_eq_u64_e64 s[40:41], v[8:9], v[53:54]
	v_lshrrev_b64 v[8:9], v29, v[2:3]
	v_mov_b32_e32 v45, v9
	v_mov_b32_e32 v44, v8
	s_and_saveexec_b64 s[50:51], s[40:41]
; %bb.8088:                             ;   in Loop: Header=BB4_7828 Depth=3
	v_bfe_u32 v2, v8, 20, 1
	v_add_co_u32_e64 v2, s[40:41], v8, v2
	v_add_co_u32_e64 v44, s[40:41], -1, v2
; %bb.8089:                             ;   in Loop: Header=BB4_7828 Depth=3
	s_or_b64 exec, exec, s[50:51]
	v_add_u32_e32 v2, 0xffffff81, v25
	v_mov_b32_e32 v9, 0xffffff82
	v_cndmask_b32_e32 v2, v2, v9, vcc
	v_lshrrev_b32_e32 v9, 23, v8
	v_add3_u32 v30, v29, v2, v9
	v_add_u32_e32 v29, 6, v30
	v_and_b32_e32 v2, 0xfffff, v44
	v_add_u32_e32 v2, v2, v8
	v_cmp_ne_u32_e32 vcc, 0, v29
                                        ; implicit-def: $vgpr8_vgpr9
                                        ; implicit-def: $vgpr25
	s_and_saveexec_b64 s[40:41], vcc
	s_xor_b64 s[40:41], exec, s[40:41]
; %bb.8090:                             ;   in Loop: Header=BB4_7828 Depth=3
	v_cmp_lt_u64_e32 vcc, s[74:75], v[2:3]
	v_add_u32_e32 v8, 7, v30
	v_cndmask_b32_e32 v25, v29, v8, vcc
	v_cndmask_b32_e64 v8, 0, 1, vcc
	v_lshrrev_b64 v[8:9], v8, v[2:3]
; %bb.8091:                             ;   in Loop: Header=BB4_7828 Depth=3
	s_andn2_saveexec_b64 s[40:41], s[40:41]
; %bb.8092:                             ;   in Loop: Header=BB4_7828 Depth=3
	v_mov_b32_e32 v9, v3
	v_mov_b32_e32 v8, v2
	v_bfe_u32 v25, v2, 23, 1
; %bb.8093:                             ;   in Loop: Header=BB4_7828 Depth=3
	s_or_b64 exec, exec, s[40:41]
	v_lshrrev_b64 v[8:9], 20, v[8:9]
	v_cmp_gt_i32_e32 vcc, 16, v25
	v_cndmask_b32_e32 v9, 0, v9, vcc
	v_cndmask_b32_e32 v8, 7, v8, vcc
	v_min_i32_e32 v2, 15, v25
	v_cmp_eq_u64_e64 s[40:41], 0, v[8:9]
	v_lshlrev_b32_e32 v2, 3, v2
	v_cmp_eq_u32_e32 vcc, 0, v25
	v_and_b32_e32 v2, 0xf8, v2
	v_and_or_b32 v2, v8, 7, v2
	s_and_b64 s[40:41], vcc, s[40:41]
	v_cndmask_b32_e64 v2, v2, 0, s[40:41]
	v_or_b32_e32 v49, v2, v17
.LBB4_8094:                             ;   in Loop: Header=BB4_7828 Depth=3
	s_or_b64 exec, exec, s[48:49]
                                        ; implicit-def: $vgpr17
.LBB4_8095:                             ;   in Loop: Header=BB4_7828 Depth=3
	s_andn2_saveexec_b64 s[40:41], s[38:39]
; %bb.8096:                             ;   in Loop: Header=BB4_7828 Depth=3
	v_or_b32_e32 v49, 0x7e, v17
; %bb.8097:                             ;   in Loop: Header=BB4_7828 Depth=3
	s_or_b64 exec, exec, s[40:41]
                                        ; implicit-def: $vgpr8
.LBB4_8098:                             ;   in Loop: Header=BB4_7828 Depth=3
	s_andn2_saveexec_b64 s[40:41], s[42:43]
; %bb.8099:                             ;   in Loop: Header=BB4_7828 Depth=3
	v_or_b32_sdwa v49, v8, s68 dst_sel:DWORD dst_unused:UNUSED_PAD src0_sel:BYTE_3 src1_sel:DWORD
; %bb.8100:                             ;   in Loop: Header=BB4_7828 Depth=3
	s_or_b64 exec, exec, s[40:41]
	v_mov_b32_e32 v2, v11
	v_cmp_ne_u16_sdwa s[42:43], v11, v3 src0_sel:BYTE_0 src1_sel:DWORD
	v_mov_b32_e32 v8, 0
	s_and_saveexec_b64 s[40:41], s[42:43]
	s_cbranch_execz .LBB4_8106
; %bb.8101:                             ;   in Loop: Header=BB4_7828 Depth=3
	v_cmp_ne_u16_sdwa vcc, v11, s70 src0_sel:BYTE_0 src1_sel:DWORD
	v_bfrev_b32_e32 v8, 1
	s_and_saveexec_b64 s[42:43], vcc
	s_cbranch_execz .LBB4_8105
; %bb.8102:                             ;   in Loop: Header=BB4_7828 Depth=3
	v_and_b32_e32 v9, 0x7f, v11
	v_cmp_ne_u32_e32 vcc, s68, v9
	v_mov_b32_e32 v8, 0x7f800001
	s_and_saveexec_b64 s[38:39], vcc
	s_cbranch_execz .LBB4_8104
; %bb.8103:                             ;   in Loop: Header=BB4_7828 Depth=3
	v_and_b32_e32 v8, 7, v11
	v_ffbh_u32_e32 v8, v8
	v_min_u32_e32 v8, 32, v8
	v_lshrrev_b32_e32 v17, 3, v9
	v_cmp_gt_u32_e32 vcc, 8, v9
	v_subrev_u32_e32 v9, 28, v8
	v_sub_u32_e32 v8, 29, v8
	v_cndmask_b32_e32 v17, v17, v8, vcc
	v_cndmask_b32_e32 v8, 0, v9, vcc
	v_lshlrev_b64 v[8:9], v8, v[2:3]
	v_lshlrev_b32_e32 v9, 24, v2
	v_lshlrev_b32_e32 v8, 20, v8
	v_and_b32_e32 v8, 0x700000, v8
	v_and_b32_e32 v9, 0x80000000, v9
	v_lshl_add_u32 v17, v17, 23, v5
	v_or3_b32 v8, v9, v17, v8
.LBB4_8104:                             ;   in Loop: Header=BB4_7828 Depth=3
	s_or_b64 exec, exec, s[38:39]
.LBB4_8105:                             ;   in Loop: Header=BB4_7828 Depth=3
	s_or_b64 exec, exec, s[42:43]
.LBB4_8106:                             ;   in Loop: Header=BB4_7828 Depth=3
	s_or_b64 exec, exec, s[40:41]
	v_mul_f32_e32 v8, v21, v8
	v_and_b32_e32 v29, 0x7f800000, v8
	v_mov_b32_e32 v30, v3
	v_cmp_ne_u64_e32 vcc, s[62:63], v[29:30]
                                        ; implicit-def: $vgpr17
	s_and_saveexec_b64 s[40:41], vcc
	s_xor_b64 s[42:43], exec, s[40:41]
	s_cbranch_execz .LBB4_8120
; %bb.8107:                             ;   in Loop: Header=BB4_7828 Depth=3
	v_and_b32_e32 v29, 0x7fffffff, v8
	v_mov_b32_e32 v30, v3
	v_cmp_gt_u64_e32 vcc, s[72:73], v[29:30]
	v_and_b32_sdwa v25, v8, s70 dst_sel:DWORD dst_unused:UNUSED_PAD src0_sel:BYTE_3 src1_sel:DWORD
                                        ; implicit-def: $vgpr17
	s_and_saveexec_b64 s[40:41], vcc
	s_xor_b64 s[38:39], exec, s[40:41]
	s_cbranch_execz .LBB4_8117
; %bb.8108:                             ;   in Loop: Header=BB4_7828 Depth=3
	v_mov_b32_e32 v17, 0
	v_cmp_ne_u32_e32 vcc, 0, v8
	s_and_saveexec_b64 s[48:49], vcc
	s_cbranch_execz .LBB4_8116
; %bb.8109:                             ;   in Loop: Header=BB4_7828 Depth=3
	v_bfe_u32 v17, v8, 23, 8
	v_and_b32_e32 v9, 0x7fffff, v8
	v_cmp_gt_u32_e64 s[40:41], s71, v17
	v_sub_u32_e32 v8, 0x79, v17
	v_cmp_eq_u32_e32 vcc, 0, v17
	v_cndmask_b32_e64 v8, 0, v8, s[40:41]
	v_mov_b32_e32 v23, 0x78
	v_or_b32_e32 v22, 0x800000, v9
	v_cndmask_b32_e32 v29, v8, v23, vcc
	v_cndmask_b32_e32 v8, v22, v9, vcc
	v_add_u32_e32 v22, 20, v29
	v_lshlrev_b64 v[53:54], v22, -1
	v_mov_b32_e32 v9, v3
	v_add_u32_e32 v22, 19, v29
	v_bfi_b32 v53, v53, 0, v8
	v_lshlrev_b64 v[40:41], v22, 1
	v_lshrrev_b64 v[8:9], v29, v[8:9]
	v_bfi_b32 v54, v54, 0, 0
	v_cmp_eq_u64_e64 s[40:41], v[53:54], v[40:41]
	v_mov_b32_e32 v45, v9
	v_mov_b32_e32 v44, v8
	s_and_saveexec_b64 s[50:51], s[40:41]
; %bb.8110:                             ;   in Loop: Header=BB4_7828 Depth=3
	v_bfe_u32 v9, v8, 20, 1
	v_add_co_u32_e64 v9, s[40:41], v8, v9
	v_add_co_u32_e64 v44, s[40:41], -1, v9
; %bb.8111:                             ;   in Loop: Header=BB4_7828 Depth=3
	s_or_b64 exec, exec, s[50:51]
	v_add_u32_e32 v9, 0xffffff81, v17
	v_mov_b32_e32 v17, 0xffffff82
	v_cndmask_b32_e32 v9, v9, v17, vcc
	v_lshrrev_b32_e32 v17, 23, v8
	v_add3_u32 v30, v29, v9, v17
	v_add_u32_e32 v29, 6, v30
	v_and_b32_e32 v9, 0xfffff, v44
	v_add_u32_e32 v8, v9, v8
	v_mov_b32_e32 v9, v3
	v_cmp_ne_u32_e32 vcc, 0, v29
                                        ; implicit-def: $vgpr17
	s_and_saveexec_b64 s[40:41], vcc
	s_xor_b64 s[40:41], exec, s[40:41]
; %bb.8112:                             ;   in Loop: Header=BB4_7828 Depth=3
	v_cmp_lt_u64_e32 vcc, s[74:75], v[8:9]
	v_add_u32_e32 v17, 7, v30
	v_cndmask_b32_e64 v22, 0, 1, vcc
	v_cndmask_b32_e32 v17, v29, v17, vcc
	v_lshrrev_b64 v[8:9], v22, v[8:9]
; %bb.8113:                             ;   in Loop: Header=BB4_7828 Depth=3
	s_andn2_saveexec_b64 s[40:41], s[40:41]
; %bb.8114:                             ;   in Loop: Header=BB4_7828 Depth=3
	v_bfe_u32 v17, v8, 23, 1
; %bb.8115:                             ;   in Loop: Header=BB4_7828 Depth=3
	s_or_b64 exec, exec, s[40:41]
	v_lshrrev_b64 v[8:9], 20, v[8:9]
	v_cmp_gt_i32_e32 vcc, 16, v17
	v_cndmask_b32_e32 v9, 0, v9, vcc
	v_cndmask_b32_e32 v8, 7, v8, vcc
	v_cmp_eq_u64_e64 s[40:41], 0, v[8:9]
	v_min_i32_e32 v9, 15, v17
	v_lshlrev_b32_e32 v9, 3, v9
	v_cmp_eq_u32_e32 vcc, 0, v17
	v_and_b32_e32 v9, 0xf8, v9
	v_and_or_b32 v8, v8, 7, v9
	s_and_b64 s[40:41], vcc, s[40:41]
	v_cndmask_b32_e64 v8, v8, 0, s[40:41]
	v_or_b32_e32 v17, v8, v25
.LBB4_8116:                             ;   in Loop: Header=BB4_7828 Depth=3
	s_or_b64 exec, exec, s[48:49]
                                        ; implicit-def: $vgpr25
.LBB4_8117:                             ;   in Loop: Header=BB4_7828 Depth=3
	s_andn2_saveexec_b64 s[40:41], s[38:39]
; %bb.8118:                             ;   in Loop: Header=BB4_7828 Depth=3
	v_or_b32_e32 v17, 0x7e, v25
; %bb.8119:                             ;   in Loop: Header=BB4_7828 Depth=3
	s_or_b64 exec, exec, s[40:41]
                                        ; implicit-def: $vgpr8
.LBB4_8120:                             ;   in Loop: Header=BB4_7828 Depth=3
	s_andn2_saveexec_b64 s[40:41], s[42:43]
; %bb.8121:                             ;   in Loop: Header=BB4_7828 Depth=3
	v_or_b32_sdwa v17, v8, s68 dst_sel:DWORD dst_unused:UNUSED_PAD src0_sel:BYTE_3 src1_sel:DWORD
; %bb.8122:                             ;   in Loop: Header=BB4_7828 Depth=3
	s_or_b64 exec, exec, s[40:41]
	v_lshrrev_b16_e32 v8, 8, v2
	v_cmp_ne_u16_e32 vcc, 0, v8
	v_mov_b32_e32 v9, 0
	s_and_saveexec_b64 s[40:41], vcc
	s_cbranch_execz .LBB4_8128
; %bb.8123:                             ;   in Loop: Header=BB4_7828 Depth=3
	v_cmp_ne_u16_e32 vcc, s70, v8
	v_bfrev_b32_e32 v9, 1
	s_and_saveexec_b64 s[42:43], vcc
	s_cbranch_execz .LBB4_8127
; %bb.8124:                             ;   in Loop: Header=BB4_7828 Depth=3
	v_and_b32_e32 v25, 0x7f, v8
	v_cmp_ne_u32_e32 vcc, s68, v25
	v_mov_b32_e32 v9, 0x7f800001
	s_and_saveexec_b64 s[38:39], vcc
	s_cbranch_execz .LBB4_8126
; %bb.8125:                             ;   in Loop: Header=BB4_7828 Depth=3
	v_and_b32_e32 v22, 7, v8
	v_ffbh_u32_e32 v9, v22
	v_lshrrev_b32_e32 v23, 3, v25
	v_cmp_gt_u32_e32 vcc, 8, v25
	v_min_u32_e32 v25, 32, v9
	v_subrev_u32_e32 v9, 28, v25
	v_lshlrev_b64 v[8:9], v9, v[8:9]
	v_sub_u32_e32 v9, 29, v25
	v_and_b32_e32 v8, 7, v8
	v_cndmask_b32_e32 v9, v23, v9, vcc
	v_cndmask_b32_e32 v8, v22, v8, vcc
	v_lshlrev_b32_e32 v2, 16, v2
	v_lshlrev_b32_e32 v8, 20, v8
	v_and_b32_e32 v2, 0x80000000, v2
	v_lshl_add_u32 v9, v9, 23, v5
	v_or3_b32 v9, v2, v9, v8
.LBB4_8126:                             ;   in Loop: Header=BB4_7828 Depth=3
	s_or_b64 exec, exec, s[38:39]
.LBB4_8127:                             ;   in Loop: Header=BB4_7828 Depth=3
	s_or_b64 exec, exec, s[42:43]
.LBB4_8128:                             ;   in Loop: Header=BB4_7828 Depth=3
	s_or_b64 exec, exec, s[40:41]
	v_mul_f32_e32 v8, v21, v9
	v_and_b32_e32 v2, 0x7f800000, v8
	v_cmp_ne_u64_e32 vcc, s[62:63], v[2:3]
                                        ; implicit-def: $vgpr25
	s_and_saveexec_b64 s[40:41], vcc
	s_xor_b64 s[42:43], exec, s[40:41]
	s_cbranch_execz .LBB4_8142
; %bb.8129:                             ;   in Loop: Header=BB4_7828 Depth=3
	v_and_b32_e32 v2, 0x7fffffff, v8
	v_cmp_gt_u64_e32 vcc, s[72:73], v[2:3]
	v_and_b32_sdwa v29, v8, s70 dst_sel:DWORD dst_unused:UNUSED_PAD src0_sel:BYTE_3 src1_sel:DWORD
                                        ; implicit-def: $vgpr25
	s_and_saveexec_b64 s[40:41], vcc
	s_xor_b64 s[38:39], exec, s[40:41]
	s_cbranch_execz .LBB4_8139
; %bb.8130:                             ;   in Loop: Header=BB4_7828 Depth=3
	v_mov_b32_e32 v25, 0
	v_cmp_ne_u32_e32 vcc, 0, v8
	s_and_saveexec_b64 s[48:49], vcc
	s_cbranch_execz .LBB4_8138
; %bb.8131:                             ;   in Loop: Header=BB4_7828 Depth=3
	v_bfe_u32 v25, v8, 23, 8
	v_and_b32_e32 v2, 0x7fffff, v8
	v_cmp_gt_u32_e64 s[40:41], s71, v25
	v_sub_u32_e32 v8, 0x79, v25
	v_cmp_eq_u32_e32 vcc, 0, v25
	v_cndmask_b32_e64 v8, 0, v8, s[40:41]
	v_mov_b32_e32 v22, 0x78
	v_cndmask_b32_e32 v30, v8, v22, vcc
	v_or_b32_e32 v9, 0x800000, v2
	v_add_u32_e32 v8, 20, v30
	v_cndmask_b32_e32 v2, v9, v2, vcc
	v_lshlrev_b64 v[8:9], v8, -1
	v_add_u32_e32 v22, 19, v30
	v_lshlrev_b64 v[53:54], v22, 1
	v_bfi_b32 v9, v9, 0, 0
	v_bfi_b32 v8, v8, 0, v2
	v_cmp_eq_u64_e64 s[40:41], v[8:9], v[53:54]
	v_lshrrev_b64 v[8:9], v30, v[2:3]
	v_mov_b32_e32 v45, v9
	v_mov_b32_e32 v44, v8
	s_and_saveexec_b64 s[50:51], s[40:41]
; %bb.8132:                             ;   in Loop: Header=BB4_7828 Depth=3
	v_bfe_u32 v2, v8, 20, 1
	v_add_co_u32_e64 v2, s[40:41], v8, v2
	v_add_co_u32_e64 v44, s[40:41], -1, v2
; %bb.8133:                             ;   in Loop: Header=BB4_7828 Depth=3
	s_or_b64 exec, exec, s[50:51]
	v_add_u32_e32 v2, 0xffffff81, v25
	v_mov_b32_e32 v9, 0xffffff82
	v_cndmask_b32_e32 v2, v2, v9, vcc
	v_lshrrev_b32_e32 v9, 23, v8
	v_add3_u32 v37, v30, v2, v9
	v_add_u32_e32 v30, 6, v37
	v_and_b32_e32 v2, 0xfffff, v44
	v_add_u32_e32 v2, v2, v8
	v_cmp_ne_u32_e32 vcc, 0, v30
                                        ; implicit-def: $vgpr8_vgpr9
                                        ; implicit-def: $vgpr25
	s_and_saveexec_b64 s[40:41], vcc
	s_xor_b64 s[40:41], exec, s[40:41]
; %bb.8134:                             ;   in Loop: Header=BB4_7828 Depth=3
	v_cmp_lt_u64_e32 vcc, s[74:75], v[2:3]
	v_add_u32_e32 v8, 7, v37
	v_cndmask_b32_e32 v25, v30, v8, vcc
	v_cndmask_b32_e64 v8, 0, 1, vcc
	v_lshrrev_b64 v[8:9], v8, v[2:3]
; %bb.8135:                             ;   in Loop: Header=BB4_7828 Depth=3
	s_andn2_saveexec_b64 s[40:41], s[40:41]
; %bb.8136:                             ;   in Loop: Header=BB4_7828 Depth=3
	v_mov_b32_e32 v9, v3
	v_mov_b32_e32 v8, v2
	v_bfe_u32 v25, v2, 23, 1
; %bb.8137:                             ;   in Loop: Header=BB4_7828 Depth=3
	s_or_b64 exec, exec, s[40:41]
	v_lshrrev_b64 v[8:9], 20, v[8:9]
	v_cmp_gt_i32_e32 vcc, 16, v25
	v_cndmask_b32_e32 v9, 0, v9, vcc
	v_cndmask_b32_e32 v8, 7, v8, vcc
	v_min_i32_e32 v2, 15, v25
	v_cmp_eq_u64_e64 s[40:41], 0, v[8:9]
	v_lshlrev_b32_e32 v2, 3, v2
	v_cmp_eq_u32_e32 vcc, 0, v25
	v_and_b32_e32 v2, 0xf8, v2
	v_and_or_b32 v2, v8, 7, v2
	s_and_b64 s[40:41], vcc, s[40:41]
	v_cndmask_b32_e64 v2, v2, 0, s[40:41]
	v_or_b32_e32 v25, v2, v29
.LBB4_8138:                             ;   in Loop: Header=BB4_7828 Depth=3
	s_or_b64 exec, exec, s[48:49]
                                        ; implicit-def: $vgpr29
.LBB4_8139:                             ;   in Loop: Header=BB4_7828 Depth=3
	s_andn2_saveexec_b64 s[40:41], s[38:39]
; %bb.8140:                             ;   in Loop: Header=BB4_7828 Depth=3
	v_or_b32_e32 v25, 0x7e, v29
; %bb.8141:                             ;   in Loop: Header=BB4_7828 Depth=3
	s_or_b64 exec, exec, s[40:41]
                                        ; implicit-def: $vgpr8
.LBB4_8142:                             ;   in Loop: Header=BB4_7828 Depth=3
	s_andn2_saveexec_b64 s[40:41], s[42:43]
; %bb.8143:                             ;   in Loop: Header=BB4_7828 Depth=3
	v_or_b32_sdwa v25, v8, s68 dst_sel:DWORD dst_unused:UNUSED_PAD src0_sel:BYTE_3 src1_sel:DWORD
; %bb.8144:                             ;   in Loop: Header=BB4_7828 Depth=3
	s_or_b64 exec, exec, s[40:41]
	v_lshrrev_b32_e32 v2, 16, v11
	v_cmp_ne_u16_sdwa s[42:43], v2, v3 src0_sel:BYTE_0 src1_sel:DWORD
	v_mov_b32_e32 v8, 0
	s_and_saveexec_b64 s[40:41], s[42:43]
	s_cbranch_execz .LBB4_8150
; %bb.8145:                             ;   in Loop: Header=BB4_7828 Depth=3
	v_cmp_ne_u16_sdwa vcc, v2, s70 src0_sel:BYTE_0 src1_sel:DWORD
	v_bfrev_b32_e32 v8, 1
	s_and_saveexec_b64 s[42:43], vcc
	s_cbranch_execz .LBB4_8149
; %bb.8146:                             ;   in Loop: Header=BB4_7828 Depth=3
	v_bfe_u32 v9, v11, 16, 7
	v_cmp_ne_u32_e32 vcc, s68, v9
	v_mov_b32_e32 v8, 0x7f800001
	s_and_saveexec_b64 s[38:39], vcc
	s_cbranch_execz .LBB4_8148
; %bb.8147:                             ;   in Loop: Header=BB4_7828 Depth=3
	v_and_b32_e32 v22, 7, v2
	v_ffbh_u32_e32 v8, v22
	v_min_u32_e32 v29, 32, v8
	v_subrev_u32_e32 v8, 28, v29
	v_lshrrev_b32_e32 v23, 3, v9
	v_cmp_gt_u32_e32 vcc, 8, v9
	v_lshlrev_b64 v[8:9], v8, v[2:3]
	v_sub_u32_e32 v9, 29, v29
	v_and_b32_e32 v8, 7, v8
	v_cndmask_b32_e32 v9, v23, v9, vcc
	v_cndmask_b32_e32 v8, v22, v8, vcc
	v_lshlrev_b32_e32 v2, 24, v2
	v_lshlrev_b32_e32 v8, 20, v8
	v_and_b32_e32 v2, 0x80000000, v2
	v_lshl_add_u32 v9, v9, 23, v5
	v_or3_b32 v8, v2, v9, v8
.LBB4_8148:                             ;   in Loop: Header=BB4_7828 Depth=3
	s_or_b64 exec, exec, s[38:39]
.LBB4_8149:                             ;   in Loop: Header=BB4_7828 Depth=3
	s_or_b64 exec, exec, s[42:43]
.LBB4_8150:                             ;   in Loop: Header=BB4_7828 Depth=3
	s_or_b64 exec, exec, s[40:41]
	v_mul_f32_e32 v8, v21, v8
	v_and_b32_e32 v2, 0x7f800000, v8
	v_cmp_ne_u64_e32 vcc, s[62:63], v[2:3]
                                        ; implicit-def: $vgpr29
	s_and_saveexec_b64 s[40:41], vcc
	s_xor_b64 s[42:43], exec, s[40:41]
	s_cbranch_execz .LBB4_8164
; %bb.8151:                             ;   in Loop: Header=BB4_7828 Depth=3
	v_and_b32_e32 v2, 0x7fffffff, v8
	v_cmp_gt_u64_e32 vcc, s[72:73], v[2:3]
	v_and_b32_sdwa v30, v8, s70 dst_sel:DWORD dst_unused:UNUSED_PAD src0_sel:BYTE_3 src1_sel:DWORD
                                        ; implicit-def: $vgpr29
	s_and_saveexec_b64 s[40:41], vcc
	s_xor_b64 s[38:39], exec, s[40:41]
	s_cbranch_execz .LBB4_8161
; %bb.8152:                             ;   in Loop: Header=BB4_7828 Depth=3
	v_mov_b32_e32 v29, 0
	v_cmp_ne_u32_e32 vcc, 0, v8
	s_and_saveexec_b64 s[48:49], vcc
	s_cbranch_execz .LBB4_8160
; %bb.8153:                             ;   in Loop: Header=BB4_7828 Depth=3
	v_bfe_u32 v29, v8, 23, 8
	v_and_b32_e32 v2, 0x7fffff, v8
	v_cmp_gt_u32_e64 s[40:41], s71, v29
	v_sub_u32_e32 v8, 0x79, v29
	v_cmp_eq_u32_e32 vcc, 0, v29
	v_cndmask_b32_e64 v8, 0, v8, s[40:41]
	v_mov_b32_e32 v22, 0x78
	v_cndmask_b32_e32 v37, v8, v22, vcc
	v_or_b32_e32 v9, 0x800000, v2
	v_add_u32_e32 v8, 20, v37
	v_cndmask_b32_e32 v2, v9, v2, vcc
	v_lshlrev_b64 v[8:9], v8, -1
	v_add_u32_e32 v22, 19, v37
	v_lshlrev_b64 v[53:54], v22, 1
	v_bfi_b32 v9, v9, 0, 0
	v_bfi_b32 v8, v8, 0, v2
	v_cmp_eq_u64_e64 s[40:41], v[8:9], v[53:54]
	v_lshrrev_b64 v[8:9], v37, v[2:3]
	v_mov_b32_e32 v45, v9
	v_mov_b32_e32 v44, v8
	s_and_saveexec_b64 s[50:51], s[40:41]
; %bb.8154:                             ;   in Loop: Header=BB4_7828 Depth=3
	v_bfe_u32 v2, v8, 20, 1
	v_add_co_u32_e64 v2, s[40:41], v8, v2
	v_add_co_u32_e64 v44, s[40:41], -1, v2
; %bb.8155:                             ;   in Loop: Header=BB4_7828 Depth=3
	s_or_b64 exec, exec, s[50:51]
	v_add_u32_e32 v2, 0xffffff81, v29
	v_mov_b32_e32 v9, 0xffffff82
	v_cndmask_b32_e32 v2, v2, v9, vcc
	v_lshrrev_b32_e32 v9, 23, v8
	v_add3_u32 v53, v37, v2, v9
	v_add_u32_e32 v37, 6, v53
	v_and_b32_e32 v2, 0xfffff, v44
	v_add_u32_e32 v2, v2, v8
	v_cmp_ne_u32_e32 vcc, 0, v37
                                        ; implicit-def: $vgpr8_vgpr9
                                        ; implicit-def: $vgpr29
	s_and_saveexec_b64 s[40:41], vcc
	s_xor_b64 s[40:41], exec, s[40:41]
; %bb.8156:                             ;   in Loop: Header=BB4_7828 Depth=3
	v_cmp_lt_u64_e32 vcc, s[74:75], v[2:3]
	v_add_u32_e32 v8, 7, v53
	v_cndmask_b32_e32 v29, v37, v8, vcc
	v_cndmask_b32_e64 v8, 0, 1, vcc
	v_lshrrev_b64 v[8:9], v8, v[2:3]
; %bb.8157:                             ;   in Loop: Header=BB4_7828 Depth=3
	s_andn2_saveexec_b64 s[40:41], s[40:41]
; %bb.8158:                             ;   in Loop: Header=BB4_7828 Depth=3
	v_mov_b32_e32 v9, v3
	v_mov_b32_e32 v8, v2
	v_bfe_u32 v29, v2, 23, 1
; %bb.8159:                             ;   in Loop: Header=BB4_7828 Depth=3
	s_or_b64 exec, exec, s[40:41]
	v_lshrrev_b64 v[8:9], 20, v[8:9]
	v_cmp_gt_i32_e32 vcc, 16, v29
	v_cndmask_b32_e32 v9, 0, v9, vcc
	v_cndmask_b32_e32 v8, 7, v8, vcc
	v_min_i32_e32 v2, 15, v29
	v_cmp_eq_u64_e64 s[40:41], 0, v[8:9]
	v_lshlrev_b32_e32 v2, 3, v2
	v_cmp_eq_u32_e32 vcc, 0, v29
	v_and_b32_e32 v2, 0xf8, v2
	v_and_or_b32 v2, v8, 7, v2
	s_and_b64 s[40:41], vcc, s[40:41]
	v_cndmask_b32_e64 v2, v2, 0, s[40:41]
	v_or_b32_e32 v29, v2, v30
.LBB4_8160:                             ;   in Loop: Header=BB4_7828 Depth=3
	s_or_b64 exec, exec, s[48:49]
                                        ; implicit-def: $vgpr30
.LBB4_8161:                             ;   in Loop: Header=BB4_7828 Depth=3
	s_andn2_saveexec_b64 s[40:41], s[38:39]
; %bb.8162:                             ;   in Loop: Header=BB4_7828 Depth=3
	v_or_b32_e32 v29, 0x7e, v30
; %bb.8163:                             ;   in Loop: Header=BB4_7828 Depth=3
	s_or_b64 exec, exec, s[40:41]
                                        ; implicit-def: $vgpr8
.LBB4_8164:                             ;   in Loop: Header=BB4_7828 Depth=3
	s_andn2_saveexec_b64 s[40:41], s[42:43]
; %bb.8165:                             ;   in Loop: Header=BB4_7828 Depth=3
	v_or_b32_sdwa v29, v8, s68 dst_sel:DWORD dst_unused:UNUSED_PAD src0_sel:BYTE_3 src1_sel:DWORD
; %bb.8166:                             ;   in Loop: Header=BB4_7828 Depth=3
	s_or_b64 exec, exec, s[40:41]
	v_cmp_lt_u64_e32 vcc, s[56:57], v[10:11]
	v_mov_b32_e32 v8, 0
	s_and_saveexec_b64 s[40:41], vcc
	s_cbranch_execz .LBB4_8172
; %bb.8167:                             ;   in Loop: Header=BB4_7828 Depth=3
	v_lshrrev_b32_e32 v2, 24, v11
	v_cmp_ne_u32_e32 vcc, s70, v2
	v_bfrev_b32_e32 v8, 1
	s_and_saveexec_b64 s[42:43], vcc
	s_cbranch_execz .LBB4_8171
; %bb.8168:                             ;   in Loop: Header=BB4_7828 Depth=3
	v_bfe_u32 v9, v11, 24, 7
	v_cmp_ne_u32_e32 vcc, s68, v9
	v_mov_b32_e32 v8, 0x7f800001
	s_and_saveexec_b64 s[38:39], vcc
	s_cbranch_execz .LBB4_8170
; %bb.8169:                             ;   in Loop: Header=BB4_7828 Depth=3
	v_and_b32_e32 v10, 7, v2
	v_ffbh_u32_e32 v8, v10
	v_min_u32_e32 v22, 32, v8
	v_subrev_u32_e32 v8, 28, v22
	v_lshrrev_b32_e32 v11, 3, v9
	v_cmp_gt_u32_e32 vcc, 8, v9
	v_lshlrev_b64 v[8:9], v8, v[2:3]
	v_sub_u32_e32 v9, 29, v22
	v_and_b32_e32 v8, 7, v8
	v_cndmask_b32_e32 v9, v11, v9, vcc
	v_cndmask_b32_e32 v8, v10, v8, vcc
	v_lshlrev_b32_e32 v2, 24, v2
	v_lshlrev_b32_e32 v8, 20, v8
	v_and_b32_e32 v2, 0x80000000, v2
	v_lshl_add_u32 v9, v9, 23, v5
	v_or3_b32 v8, v2, v9, v8
.LBB4_8170:                             ;   in Loop: Header=BB4_7828 Depth=3
	s_or_b64 exec, exec, s[38:39]
.LBB4_8171:                             ;   in Loop: Header=BB4_7828 Depth=3
	s_or_b64 exec, exec, s[42:43]
.LBB4_8172:                             ;   in Loop: Header=BB4_7828 Depth=3
	s_or_b64 exec, exec, s[40:41]
	v_mul_f32_e32 v8, v21, v8
	v_and_b32_e32 v2, 0x7f800000, v8
	v_cmp_ne_u64_e32 vcc, s[62:63], v[2:3]
                                        ; implicit-def: $vgpr37
	s_and_saveexec_b64 s[40:41], vcc
	s_xor_b64 s[42:43], exec, s[40:41]
	s_cbranch_execz .LBB4_8186
; %bb.8173:                             ;   in Loop: Header=BB4_7828 Depth=3
	v_and_b32_e32 v2, 0x7fffffff, v8
	v_cmp_gt_u64_e32 vcc, s[72:73], v[2:3]
	v_and_b32_sdwa v11, v8, s70 dst_sel:DWORD dst_unused:UNUSED_PAD src0_sel:BYTE_3 src1_sel:DWORD
                                        ; implicit-def: $vgpr37
	s_and_saveexec_b64 s[40:41], vcc
	s_xor_b64 s[38:39], exec, s[40:41]
	s_cbranch_execz .LBB4_8183
; %bb.8174:                             ;   in Loop: Header=BB4_7828 Depth=3
	v_mov_b32_e32 v37, 0
	v_cmp_ne_u32_e32 vcc, 0, v8
	s_and_saveexec_b64 s[48:49], vcc
	s_cbranch_execz .LBB4_8182
; %bb.8175:                             ;   in Loop: Header=BB4_7828 Depth=3
	v_bfe_u32 v21, v8, 23, 8
	v_and_b32_e32 v2, 0x7fffff, v8
	v_cmp_gt_u32_e64 s[40:41], s71, v21
	v_sub_u32_e32 v8, 0x79, v21
	v_cmp_eq_u32_e32 vcc, 0, v21
	v_cndmask_b32_e64 v8, 0, v8, s[40:41]
	v_mov_b32_e32 v10, 0x78
	v_cndmask_b32_e32 v30, v8, v10, vcc
	v_or_b32_e32 v9, 0x800000, v2
	v_add_u32_e32 v8, 20, v30
	v_cndmask_b32_e32 v2, v9, v2, vcc
	v_lshlrev_b64 v[8:9], v8, -1
	v_add_u32_e32 v10, 19, v30
	v_lshlrev_b64 v[53:54], v10, 1
	v_bfi_b32 v9, v9, 0, 0
	v_bfi_b32 v8, v8, 0, v2
	v_cmp_eq_u64_e64 s[40:41], v[8:9], v[53:54]
	v_lshrrev_b64 v[8:9], v30, v[2:3]
	v_mov_b32_e32 v10, v9
	v_mov_b32_e32 v9, v8
	s_and_saveexec_b64 s[50:51], s[40:41]
; %bb.8176:                             ;   in Loop: Header=BB4_7828 Depth=3
	v_bfe_u32 v2, v8, 20, 1
	v_add_co_u32_e64 v2, s[40:41], v8, v2
	v_add_co_u32_e64 v9, s[40:41], -1, v2
; %bb.8177:                             ;   in Loop: Header=BB4_7828 Depth=3
	s_or_b64 exec, exec, s[50:51]
	v_add_u32_e32 v2, 0xffffff81, v21
	v_mov_b32_e32 v10, 0xffffff82
	v_cndmask_b32_e32 v2, v2, v10, vcc
	v_lshrrev_b32_e32 v10, 23, v8
	v_add3_u32 v30, v30, v2, v10
	v_add_u32_e32 v21, 6, v30
	v_and_b32_e32 v2, 0xfffff, v9
	v_add_u32_e32 v2, v2, v8
	v_cmp_ne_u32_e32 vcc, 0, v21
                                        ; implicit-def: $vgpr8_vgpr9
                                        ; implicit-def: $vgpr10
	s_and_saveexec_b64 s[40:41], vcc
	s_xor_b64 s[40:41], exec, s[40:41]
; %bb.8178:                             ;   in Loop: Header=BB4_7828 Depth=3
	v_cmp_lt_u64_e32 vcc, s[74:75], v[2:3]
	v_add_u32_e32 v8, 7, v30
	v_cndmask_b32_e32 v10, v21, v8, vcc
	v_cndmask_b32_e64 v8, 0, 1, vcc
	v_lshrrev_b64 v[8:9], v8, v[2:3]
; %bb.8179:                             ;   in Loop: Header=BB4_7828 Depth=3
	s_andn2_saveexec_b64 s[40:41], s[40:41]
; %bb.8180:                             ;   in Loop: Header=BB4_7828 Depth=3
	v_mov_b32_e32 v9, v3
	v_mov_b32_e32 v8, v2
	v_bfe_u32 v10, v2, 23, 1
; %bb.8181:                             ;   in Loop: Header=BB4_7828 Depth=3
	s_or_b64 exec, exec, s[40:41]
	v_lshrrev_b64 v[8:9], 20, v[8:9]
	v_cmp_gt_i32_e32 vcc, 16, v10
	v_cndmask_b32_e32 v9, 0, v9, vcc
	v_cndmask_b32_e32 v8, 7, v8, vcc
	v_min_i32_e32 v2, 15, v10
	v_cmp_eq_u64_e64 s[40:41], 0, v[8:9]
	v_lshlrev_b32_e32 v2, 3, v2
	v_cmp_eq_u32_e32 vcc, 0, v10
	v_and_b32_e32 v2, 0xf8, v2
	v_and_or_b32 v2, v8, 7, v2
	s_and_b64 s[40:41], vcc, s[40:41]
	v_cndmask_b32_e64 v2, v2, 0, s[40:41]
	v_or_b32_e32 v37, v2, v11
.LBB4_8182:                             ;   in Loop: Header=BB4_7828 Depth=3
	s_or_b64 exec, exec, s[48:49]
                                        ; implicit-def: $vgpr11
.LBB4_8183:                             ;   in Loop: Header=BB4_7828 Depth=3
	s_andn2_saveexec_b64 s[40:41], s[38:39]
; %bb.8184:                             ;   in Loop: Header=BB4_7828 Depth=3
	v_or_b32_e32 v37, 0x7e, v11
; %bb.8185:                             ;   in Loop: Header=BB4_7828 Depth=3
	s_or_b64 exec, exec, s[40:41]
                                        ; implicit-def: $vgpr8
.LBB4_8186:                             ;   in Loop: Header=BB4_7828 Depth=3
	s_andn2_saveexec_b64 s[40:41], s[42:43]
; %bb.8187:                             ;   in Loop: Header=BB4_7828 Depth=3
	v_or_b32_sdwa v37, v8, s68 dst_sel:DWORD dst_unused:UNUSED_PAD src0_sel:BYTE_3 src1_sel:DWORD
; %bb.8188:                             ;   in Loop: Header=BB4_7828 Depth=3
	s_or_b64 exec, exec, s[40:41]
	v_lshl_or_b32 v21, v28, 8, v4
	v_lshlrev_b32_e32 v2, 16, v38
	v_lshlrev_b32_e32 v8, 24, v52
	v_or3_b32 v2, v2, v8, v21
	global_load_dwordx4 v[8:11], v[14:15], off glc slc
	v_cmp_ne_u32_e32 vcc, 0, v4
	v_mov_b32_e32 v28, 0
	s_and_saveexec_b64 s[40:41], vcc
	s_cbranch_execz .LBB4_8194
; %bb.8189:                             ;   in Loop: Header=BB4_7828 Depth=3
	v_cmp_ne_u32_e32 vcc, s70, v4
	v_bfrev_b32_e32 v28, 1
	s_and_saveexec_b64 s[42:43], vcc
	s_cbranch_execz .LBB4_8193
; %bb.8190:                             ;   in Loop: Header=BB4_7828 Depth=3
	v_and_b32_e32 v30, 0x7f, v4
	v_cmp_ne_u32_e32 vcc, s68, v30
	v_mov_b32_e32 v28, 0x7f800001
	s_and_saveexec_b64 s[38:39], vcc
	s_cbranch_execz .LBB4_8192
; %bb.8191:                             ;   in Loop: Header=BB4_7828 Depth=3
	v_and_b32_e32 v4, 7, v4
	v_ffbh_u32_e32 v4, v4
	v_min_u32_e32 v4, 32, v4
	v_lshrrev_b32_e32 v22, 3, v30
	v_cmp_gt_u32_e32 vcc, 8, v30
	v_subrev_u32_e32 v23, 28, v4
	v_sub_u32_e32 v4, 29, v4
	v_cndmask_b32_e32 v4, v22, v4, vcc
	v_cndmask_b32_e32 v22, 0, v23, vcc
	v_lshlrev_b64 v[52:53], v22, v[2:3]
	v_lshlrev_b32_e32 v23, 24, v2
	v_lshlrev_b32_e32 v22, 20, v52
	v_and_b32_e32 v22, 0x700000, v22
	v_and_b32_e32 v23, 0x80000000, v23
	v_lshl_add_u32 v4, v4, 23, v5
	v_or3_b32 v28, v23, v4, v22
.LBB4_8192:                             ;   in Loop: Header=BB4_7828 Depth=3
	s_or_b64 exec, exec, s[38:39]
.LBB4_8193:                             ;   in Loop: Header=BB4_7828 Depth=3
	s_or_b64 exec, exec, s[42:43]
.LBB4_8194:                             ;   in Loop: Header=BB4_7828 Depth=3
	s_or_b64 exec, exec, s[40:41]
	s_waitcnt vmcnt(0)
	v_cmp_gt_i16_sdwa s[42:43], v8, s68 src0_sel:BYTE_0 src1_sel:DWORD
	s_mov_b64 s[40:41], 0
	s_and_saveexec_b64 vcc, s[42:43]
	s_xor_b64 s[42:43], exec, vcc
	s_cbranch_execz .LBB4_8619
; %bb.8195:                             ;   in Loop: Header=BB4_7828 Depth=3
	v_cmp_eq_u16_sdwa s[38:39], v8, s70 src0_sel:BYTE_0 src1_sel:DWORD
	s_mov_b64 s[40:41], -1
	s_and_saveexec_b64 vcc, s[38:39]
; %bb.8196:                             ;   in Loop: Header=BB4_7828 Depth=3
	s_xor_b64 s[40:41], exec, -1
; %bb.8197:                             ;   in Loop: Header=BB4_7828 Depth=3
	s_or_b64 exec, exec, vcc
	s_and_b64 s[40:41], s[40:41], exec
	s_or_saveexec_b64 s[42:43], s[42:43]
	v_bfrev_b32_e32 v4, 1
	s_xor_b64 exec, exec, s[42:43]
	s_cbranch_execnz .LBB4_8620
.LBB4_8198:                             ;   in Loop: Header=BB4_7828 Depth=3
	s_or_b64 exec, exec, s[42:43]
	s_and_saveexec_b64 s[42:43], s[40:41]
	s_cbranch_execz .LBB4_8200
.LBB4_8199:                             ;   in Loop: Header=BB4_7828 Depth=3
	v_and_b32_e32 v4, 7, v8
	v_ffbh_u32_e32 v4, v4
	v_and_b32_e32 v22, 0x7f, v8
	v_min_u32_e32 v4, 32, v4
	v_bfe_u32 v23, v8, 3, 4
	v_subrev_u32_e32 v30, 28, v4
	v_sub_u32_e32 v4, 29, v4
	v_cmp_gt_u32_e32 vcc, 8, v22
	v_cndmask_b32_e32 v4, v23, v4, vcc
	v_cndmask_b32_e32 v23, 0, v30, vcc
	v_lshlrev_b64 v[52:53], v23, v[8:9]
	v_lshlrev_b32_e32 v30, 24, v8
	v_lshlrev_b32_e32 v23, 20, v52
	v_and_b32_e32 v23, 0x700000, v23
	v_and_b32_e32 v30, 0x80000000, v30
	v_lshl_add_u32 v4, v4, 23, v5
	v_or3_b32 v4, v30, v4, v23
	v_cmp_ne_u32_e32 vcc, s68, v22
	v_mov_b32_e32 v22, 0x7f800001
	v_cndmask_b32_e32 v4, v22, v4, vcc
.LBB4_8200:                             ;   in Loop: Header=BB4_7828 Depth=3
	s_or_b64 exec, exec, s[42:43]
	v_add_f32_e32 v30, v28, v4
	v_and_b32_e32 v52, 0x7f800000, v30
	v_mov_b32_e32 v53, v3
	v_cmp_ne_u64_e32 vcc, s[62:63], v[52:53]
                                        ; implicit-def: $vgpr4
	s_and_saveexec_b64 s[40:41], vcc
	s_xor_b64 s[42:43], exec, s[40:41]
	s_cbranch_execz .LBB4_8214
; %bb.8201:                             ;   in Loop: Header=BB4_7828 Depth=3
	v_and_b32_e32 v52, 0x7fffffff, v30
	v_mov_b32_e32 v53, v3
	v_cmp_gt_u64_e32 vcc, s[72:73], v[52:53]
	v_and_b32_sdwa v28, v30, s70 dst_sel:DWORD dst_unused:UNUSED_PAD src0_sel:BYTE_3 src1_sel:DWORD
                                        ; implicit-def: $vgpr4
	s_and_saveexec_b64 s[40:41], vcc
	s_xor_b64 s[38:39], exec, s[40:41]
	s_cbranch_execz .LBB4_8211
; %bb.8202:                             ;   in Loop: Header=BB4_7828 Depth=3
	v_mov_b32_e32 v4, 0
	v_cmp_ne_u32_e32 vcc, 0, v30
	s_and_saveexec_b64 s[48:49], vcc
	s_cbranch_execz .LBB4_8210
; %bb.8203:                             ;   in Loop: Header=BB4_7828 Depth=3
	v_bfe_u32 v4, v30, 23, 8
	v_cmp_gt_u32_e64 s[40:41], s71, v4
	v_sub_u32_e32 v23, 0x79, v4
	v_and_b32_e32 v22, 0x7fffff, v30
	v_cmp_eq_u32_e32 vcc, 0, v4
	v_cndmask_b32_e64 v23, 0, v23, s[40:41]
	v_mov_b32_e32 v30, 0x78
	v_or_b32_e32 v32, 0x800000, v22
	v_cndmask_b32_e32 v30, v23, v30, vcc
	v_cndmask_b32_e32 v52, v32, v22, vcc
	v_add_u32_e32 v22, 20, v30
	v_mov_b32_e32 v53, v3
	v_lshlrev_b64 v[54:55], v22, -1
	v_add_u32_e32 v22, 19, v30
	v_lshlrev_b64 v[40:41], v22, 1
	v_lshrrev_b64 v[44:45], v30, v[52:53]
	v_bfi_b32 v55, v55, 0, 0
	v_bfi_b32 v54, v54, 0, v52
	v_cmp_eq_u64_e64 s[40:41], v[54:55], v[40:41]
	v_mov_b32_e32 v46, v45
	v_mov_b32_e32 v45, v44
	s_and_saveexec_b64 s[50:51], s[40:41]
; %bb.8204:                             ;   in Loop: Header=BB4_7828 Depth=3
	v_bfe_u32 v22, v44, 20, 1
	v_add_co_u32_e64 v22, s[40:41], v44, v22
	v_add_co_u32_e64 v45, s[40:41], -1, v22
; %bb.8205:                             ;   in Loop: Header=BB4_7828 Depth=3
	s_or_b64 exec, exec, s[50:51]
	v_add_u32_e32 v4, 0xffffff81, v4
	v_mov_b32_e32 v22, 0xffffff82
	v_cndmask_b32_e32 v4, v4, v22, vcc
	v_lshrrev_b32_e32 v22, 23, v44
	v_add3_u32 v38, v30, v4, v22
	v_add_u32_e32 v30, 6, v38
	v_and_b32_e32 v4, 0xfffff, v45
	v_add_u32_e32 v44, v4, v44
	v_mov_b32_e32 v45, v3
	v_cmp_ne_u32_e32 vcc, 0, v30
                                        ; implicit-def: $vgpr4
	s_and_saveexec_b64 s[40:41], vcc
	s_xor_b64 s[40:41], exec, s[40:41]
; %bb.8206:                             ;   in Loop: Header=BB4_7828 Depth=3
	v_cmp_lt_u64_e32 vcc, s[74:75], v[44:45]
	v_add_u32_e32 v4, 7, v38
	v_cndmask_b32_e64 v22, 0, 1, vcc
	v_cndmask_b32_e32 v4, v30, v4, vcc
	v_lshrrev_b64 v[44:45], v22, v[44:45]
; %bb.8207:                             ;   in Loop: Header=BB4_7828 Depth=3
	s_andn2_saveexec_b64 s[40:41], s[40:41]
; %bb.8208:                             ;   in Loop: Header=BB4_7828 Depth=3
	v_bfe_u32 v4, v44, 23, 1
; %bb.8209:                             ;   in Loop: Header=BB4_7828 Depth=3
	s_or_b64 exec, exec, s[40:41]
	v_lshrrev_b64 v[52:53], 20, v[44:45]
	v_cmp_gt_i32_e32 vcc, 16, v4
	v_cndmask_b32_e32 v53, 0, v53, vcc
	v_cndmask_b32_e32 v52, 7, v52, vcc
	v_cmp_eq_u32_e32 vcc, 0, v4
	v_min_i32_e32 v4, 15, v4
	v_cmp_eq_u64_e64 s[40:41], 0, v[52:53]
	v_lshlrev_b32_e32 v4, 3, v4
	v_and_b32_e32 v4, 0xf8, v4
	v_and_or_b32 v4, v52, 7, v4
	s_and_b64 s[40:41], vcc, s[40:41]
	v_cndmask_b32_e64 v4, v4, 0, s[40:41]
	v_or_b32_e32 v4, v4, v28
.LBB4_8210:                             ;   in Loop: Header=BB4_7828 Depth=3
	s_or_b64 exec, exec, s[48:49]
                                        ; implicit-def: $vgpr28
.LBB4_8211:                             ;   in Loop: Header=BB4_7828 Depth=3
	s_andn2_saveexec_b64 s[40:41], s[38:39]
; %bb.8212:                             ;   in Loop: Header=BB4_7828 Depth=3
	v_or_b32_e32 v4, 0x7e, v28
; %bb.8213:                             ;   in Loop: Header=BB4_7828 Depth=3
	s_or_b64 exec, exec, s[40:41]
                                        ; implicit-def: $vgpr30
.LBB4_8214:                             ;   in Loop: Header=BB4_7828 Depth=3
	s_andn2_saveexec_b64 s[40:41], s[42:43]
; %bb.8215:                             ;   in Loop: Header=BB4_7828 Depth=3
	v_or_b32_sdwa v4, v30, s68 dst_sel:DWORD dst_unused:UNUSED_PAD src0_sel:BYTE_3 src1_sel:DWORD
; %bb.8216:                             ;   in Loop: Header=BB4_7828 Depth=3
	s_or_b64 exec, exec, s[40:41]
	v_lshrrev_b16_e32 v30, 8, v21
	v_cmp_ne_u16_e32 vcc, 0, v30
	v_mov_b32_e32 v28, 0
	s_and_saveexec_b64 s[40:41], vcc
	s_cbranch_execz .LBB4_8222
; %bb.8217:                             ;   in Loop: Header=BB4_7828 Depth=3
	v_cmp_ne_u16_e32 vcc, s70, v30
	v_bfrev_b32_e32 v28, 1
	s_and_saveexec_b64 s[42:43], vcc
	s_cbranch_execz .LBB4_8221
; %bb.8218:                             ;   in Loop: Header=BB4_7828 Depth=3
	v_and_b32_e32 v38, 0x7f, v30
	v_cmp_ne_u32_e32 vcc, s68, v38
	v_mov_b32_e32 v28, 0x7f800001
	s_and_saveexec_b64 s[38:39], vcc
	s_cbranch_execz .LBB4_8220
; %bb.8219:                             ;   in Loop: Header=BB4_7828 Depth=3
	v_and_b32_e32 v22, 7, v30
	v_ffbh_u32_e32 v28, v22
	v_min_u32_e32 v28, 32, v28
	v_subrev_u32_e32 v32, 28, v28
	v_lshlrev_b64 v[52:53], v32, v[30:31]
	v_lshrrev_b32_e32 v23, 3, v38
	v_cmp_gt_u32_e32 vcc, 8, v38
	v_sub_u32_e32 v28, 29, v28
	v_and_b32_e32 v30, 7, v52
	v_cndmask_b32_e32 v23, v23, v28, vcc
	v_cndmask_b32_e32 v22, v22, v30, vcc
	v_lshlrev_b32_e32 v21, 16, v21
	v_lshlrev_b32_e32 v22, 20, v22
	v_and_b32_e32 v21, 0x80000000, v21
	v_lshl_add_u32 v23, v23, 23, v5
	v_or3_b32 v28, v21, v23, v22
.LBB4_8220:                             ;   in Loop: Header=BB4_7828 Depth=3
	s_or_b64 exec, exec, s[38:39]
.LBB4_8221:                             ;   in Loop: Header=BB4_7828 Depth=3
	s_or_b64 exec, exec, s[42:43]
.LBB4_8222:                             ;   in Loop: Header=BB4_7828 Depth=3
	s_or_b64 exec, exec, s[40:41]
	v_lshrrev_b16_e32 v44, 8, v8
	v_cmp_lt_i16_e32 vcc, s68, v44
	s_mov_b64 s[40:41], 0
	s_and_saveexec_b64 s[42:43], vcc
	s_xor_b64 s[42:43], exec, s[42:43]
	s_cbranch_execz .LBB4_8621
; %bb.8223:                             ;   in Loop: Header=BB4_7828 Depth=3
	v_cmp_eq_u16_e32 vcc, s70, v44
	s_mov_b64 s[40:41], -1
	s_and_saveexec_b64 s[38:39], vcc
; %bb.8224:                             ;   in Loop: Header=BB4_7828 Depth=3
	s_xor_b64 s[40:41], exec, -1
; %bb.8225:                             ;   in Loop: Header=BB4_7828 Depth=3
	s_or_b64 exec, exec, s[38:39]
	s_and_b64 s[40:41], s[40:41], exec
	s_or_saveexec_b64 s[42:43], s[42:43]
	v_bfrev_b32_e32 v21, 1
	s_xor_b64 exec, exec, s[42:43]
	s_cbranch_execnz .LBB4_8622
.LBB4_8226:                             ;   in Loop: Header=BB4_7828 Depth=3
	s_or_b64 exec, exec, s[42:43]
	s_and_saveexec_b64 s[42:43], s[40:41]
	s_cbranch_execz .LBB4_8228
.LBB4_8227:                             ;   in Loop: Header=BB4_7828 Depth=3
	v_and_b32_e32 v21, 7, v44
	v_ffbh_u32_e32 v30, v21
	v_min_u32_e32 v30, 32, v30
	v_mov_b32_e32 v45, v3
	v_subrev_u32_e32 v32, 28, v30
	v_lshlrev_b64 v[52:53], v32, v[44:45]
	v_and_b32_e32 v22, 0x7f, v44
	v_bfe_u32 v23, v44, 3, 4
	v_sub_u32_e32 v30, 29, v30
	v_and_b32_e32 v32, 7, v52
	v_cmp_gt_u32_e32 vcc, 8, v22
	v_cndmask_b32_e32 v23, v23, v30, vcc
	v_cndmask_b32_e32 v21, v21, v32, vcc
	v_lshlrev_b32_e32 v30, 24, v44
	v_lshlrev_b32_e32 v21, 20, v21
	v_and_b32_e32 v30, 0x80000000, v30
	v_lshl_add_u32 v23, v23, 23, v5
	v_or3_b32 v21, v30, v23, v21
	v_cmp_ne_u32_e32 vcc, s68, v22
	v_mov_b32_e32 v22, 0x7f800001
	v_cndmask_b32_e32 v21, v22, v21, vcc
.LBB4_8228:                             ;   in Loop: Header=BB4_7828 Depth=3
	s_or_b64 exec, exec, s[42:43]
	v_add_f32_e32 v30, v28, v21
	v_and_b32_e32 v52, 0x7f800000, v30
	v_mov_b32_e32 v53, v3
	v_cmp_ne_u64_e32 vcc, s[62:63], v[52:53]
                                        ; implicit-def: $vgpr21
	s_and_saveexec_b64 s[40:41], vcc
	s_xor_b64 s[42:43], exec, s[40:41]
	s_cbranch_execz .LBB4_8242
; %bb.8229:                             ;   in Loop: Header=BB4_7828 Depth=3
	v_and_b32_e32 v52, 0x7fffffff, v30
	v_mov_b32_e32 v53, v3
	v_cmp_gt_u64_e32 vcc, s[72:73], v[52:53]
	v_and_b32_sdwa v28, v30, s70 dst_sel:DWORD dst_unused:UNUSED_PAD src0_sel:BYTE_3 src1_sel:DWORD
                                        ; implicit-def: $vgpr21
	s_and_saveexec_b64 s[40:41], vcc
	s_xor_b64 s[38:39], exec, s[40:41]
	s_cbranch_execz .LBB4_8239
; %bb.8230:                             ;   in Loop: Header=BB4_7828 Depth=3
	v_mov_b32_e32 v21, 0
	v_cmp_ne_u32_e32 vcc, 0, v30
	s_and_saveexec_b64 s[48:49], vcc
	s_cbranch_execz .LBB4_8238
; %bb.8231:                             ;   in Loop: Header=BB4_7828 Depth=3
	v_bfe_u32 v21, v30, 23, 8
	v_cmp_gt_u32_e64 s[40:41], s71, v21
	v_sub_u32_e32 v23, 0x79, v21
	v_and_b32_e32 v22, 0x7fffff, v30
	v_cmp_eq_u32_e32 vcc, 0, v21
	v_cndmask_b32_e64 v23, 0, v23, s[40:41]
	v_mov_b32_e32 v30, 0x78
	v_or_b32_e32 v32, 0x800000, v22
	v_cndmask_b32_e32 v30, v23, v30, vcc
	v_cndmask_b32_e32 v52, v32, v22, vcc
	v_add_u32_e32 v22, 20, v30
	v_mov_b32_e32 v53, v3
	v_lshlrev_b64 v[54:55], v22, -1
	v_add_u32_e32 v22, 19, v30
	v_lshlrev_b64 v[40:41], v22, 1
	v_lshrrev_b64 v[44:45], v30, v[52:53]
	v_bfi_b32 v55, v55, 0, 0
	v_bfi_b32 v54, v54, 0, v52
	v_cmp_eq_u64_e64 s[40:41], v[54:55], v[40:41]
	v_mov_b32_e32 v46, v45
	v_mov_b32_e32 v45, v44
	s_and_saveexec_b64 s[50:51], s[40:41]
; %bb.8232:                             ;   in Loop: Header=BB4_7828 Depth=3
	v_bfe_u32 v22, v44, 20, 1
	v_add_co_u32_e64 v22, s[40:41], v44, v22
	v_add_co_u32_e64 v45, s[40:41], -1, v22
; %bb.8233:                             ;   in Loop: Header=BB4_7828 Depth=3
	s_or_b64 exec, exec, s[50:51]
	v_add_u32_e32 v21, 0xffffff81, v21
	v_mov_b32_e32 v22, 0xffffff82
	v_cndmask_b32_e32 v21, v21, v22, vcc
	v_lshrrev_b32_e32 v22, 23, v44
	v_add3_u32 v38, v30, v21, v22
	v_add_u32_e32 v30, 6, v38
	v_and_b32_e32 v21, 0xfffff, v45
	v_add_u32_e32 v44, v21, v44
	v_mov_b32_e32 v45, v3
	v_cmp_ne_u32_e32 vcc, 0, v30
                                        ; implicit-def: $vgpr21
	s_and_saveexec_b64 s[40:41], vcc
	s_xor_b64 s[40:41], exec, s[40:41]
; %bb.8234:                             ;   in Loop: Header=BB4_7828 Depth=3
	v_cmp_lt_u64_e32 vcc, s[74:75], v[44:45]
	v_add_u32_e32 v21, 7, v38
	v_cndmask_b32_e64 v22, 0, 1, vcc
	v_cndmask_b32_e32 v21, v30, v21, vcc
	v_lshrrev_b64 v[44:45], v22, v[44:45]
; %bb.8235:                             ;   in Loop: Header=BB4_7828 Depth=3
	s_andn2_saveexec_b64 s[40:41], s[40:41]
; %bb.8236:                             ;   in Loop: Header=BB4_7828 Depth=3
	v_bfe_u32 v21, v44, 23, 1
; %bb.8237:                             ;   in Loop: Header=BB4_7828 Depth=3
	s_or_b64 exec, exec, s[40:41]
	v_lshrrev_b64 v[52:53], 20, v[44:45]
	v_cmp_gt_i32_e32 vcc, 16, v21
	v_cndmask_b32_e32 v53, 0, v53, vcc
	v_cndmask_b32_e32 v52, 7, v52, vcc
	v_cmp_eq_u32_e32 vcc, 0, v21
	v_min_i32_e32 v21, 15, v21
	v_cmp_eq_u64_e64 s[40:41], 0, v[52:53]
	v_lshlrev_b32_e32 v21, 3, v21
	v_and_b32_e32 v21, 0xf8, v21
	v_and_or_b32 v21, v52, 7, v21
	s_and_b64 s[40:41], vcc, s[40:41]
	v_cndmask_b32_e64 v21, v21, 0, s[40:41]
	v_or_b32_e32 v21, v21, v28
.LBB4_8238:                             ;   in Loop: Header=BB4_7828 Depth=3
	s_or_b64 exec, exec, s[48:49]
                                        ; implicit-def: $vgpr28
.LBB4_8239:                             ;   in Loop: Header=BB4_7828 Depth=3
	s_andn2_saveexec_b64 s[40:41], s[38:39]
; %bb.8240:                             ;   in Loop: Header=BB4_7828 Depth=3
	v_or_b32_e32 v21, 0x7e, v28
; %bb.8241:                             ;   in Loop: Header=BB4_7828 Depth=3
	s_or_b64 exec, exec, s[40:41]
                                        ; implicit-def: $vgpr30
.LBB4_8242:                             ;   in Loop: Header=BB4_7828 Depth=3
	s_andn2_saveexec_b64 s[40:41], s[42:43]
; %bb.8243:                             ;   in Loop: Header=BB4_7828 Depth=3
	v_or_b32_sdwa v21, v30, s68 dst_sel:DWORD dst_unused:UNUSED_PAD src0_sel:BYTE_3 src1_sel:DWORD
; %bb.8244:                             ;   in Loop: Header=BB4_7828 Depth=3
	s_or_b64 exec, exec, s[40:41]
	v_and_b32_sdwa v38, v2, s69 dst_sel:DWORD dst_unused:UNUSED_PAD src0_sel:WORD_1 src1_sel:DWORD
	v_lshrrev_b32_e32 v30, 16, v2
	v_cmp_ne_u16_e32 vcc, 0, v38
	v_mov_b32_e32 v28, 0
	s_and_saveexec_b64 s[40:41], vcc
	s_cbranch_execz .LBB4_8250
; %bb.8245:                             ;   in Loop: Header=BB4_7828 Depth=3
	v_cmp_ne_u16_e32 vcc, s70, v38
	v_bfrev_b32_e32 v28, 1
	s_and_saveexec_b64 s[42:43], vcc
	s_cbranch_execz .LBB4_8249
; %bb.8246:                             ;   in Loop: Header=BB4_7828 Depth=3
	v_bfe_u32 v38, v2, 16, 7
	v_cmp_ne_u32_e32 vcc, s68, v38
	v_mov_b32_e32 v28, 0x7f800001
	s_and_saveexec_b64 s[38:39], vcc
	s_cbranch_execz .LBB4_8248
; %bb.8247:                             ;   in Loop: Header=BB4_7828 Depth=3
	v_and_b32_e32 v22, 7, v30
	v_ffbh_u32_e32 v28, v22
	v_min_u32_e32 v28, 32, v28
	v_subrev_u32_e32 v32, 28, v28
	v_lshlrev_b64 v[52:53], v32, v[30:31]
	v_lshrrev_b32_e32 v23, 3, v38
	v_cmp_gt_u32_e32 vcc, 8, v38
	v_sub_u32_e32 v28, 29, v28
	v_and_b32_e32 v30, 7, v52
	v_cndmask_b32_e32 v23, v23, v28, vcc
	v_mov_b32_e32 v28, 24
	v_cndmask_b32_e32 v22, v22, v30, vcc
	v_lshlrev_b32_sdwa v28, v28, v2 dst_sel:DWORD dst_unused:UNUSED_PAD src0_sel:DWORD src1_sel:WORD_1
	v_lshlrev_b32_e32 v22, 20, v22
	v_and_b32_e32 v28, 0x80000000, v28
	v_lshl_add_u32 v23, v23, 23, v5
	v_or3_b32 v28, v28, v23, v22
.LBB4_8248:                             ;   in Loop: Header=BB4_7828 Depth=3
	s_or_b64 exec, exec, s[38:39]
.LBB4_8249:                             ;   in Loop: Header=BB4_7828 Depth=3
	s_or_b64 exec, exec, s[42:43]
.LBB4_8250:                             ;   in Loop: Header=BB4_7828 Depth=3
	s_or_b64 exec, exec, s[40:41]
	v_lshrrev_b32_e32 v30, 16, v8
	v_cmp_gt_i16_sdwa s[42:43], v30, s68 src0_sel:BYTE_0 src1_sel:DWORD
	s_mov_b64 s[40:41], 0
	s_and_saveexec_b64 vcc, s[42:43]
	s_xor_b64 s[42:43], exec, vcc
	s_cbranch_execz .LBB4_8623
; %bb.8251:                             ;   in Loop: Header=BB4_7828 Depth=3
	v_cmp_eq_u16_sdwa s[38:39], v30, s70 src0_sel:BYTE_0 src1_sel:DWORD
	s_mov_b64 s[40:41], -1
	s_and_saveexec_b64 vcc, s[38:39]
; %bb.8252:                             ;   in Loop: Header=BB4_7828 Depth=3
	s_xor_b64 s[40:41], exec, -1
; %bb.8253:                             ;   in Loop: Header=BB4_7828 Depth=3
	s_or_b64 exec, exec, vcc
	s_and_b64 s[40:41], s[40:41], exec
	s_or_saveexec_b64 s[42:43], s[42:43]
	v_bfrev_b32_e32 v38, 1
	s_xor_b64 exec, exec, s[42:43]
	s_cbranch_execnz .LBB4_8624
.LBB4_8254:                             ;   in Loop: Header=BB4_7828 Depth=3
	s_or_b64 exec, exec, s[42:43]
	s_and_saveexec_b64 s[42:43], s[40:41]
	s_cbranch_execz .LBB4_8256
.LBB4_8255:                             ;   in Loop: Header=BB4_7828 Depth=3
	v_and_b32_e32 v22, 7, v30
	v_ffbh_u32_e32 v33, v22
	v_min_u32_e32 v33, 32, v33
	v_subrev_u32_e32 v38, 28, v33
	v_lshlrev_b64 v[52:53], v38, v[30:31]
	v_and_b32_e32 v23, 0x7f, v30
	v_bfe_u32 v32, v30, 3, 4
	v_sub_u32_e32 v33, 29, v33
	v_and_b32_e32 v38, 7, v52
	v_cmp_gt_u32_e32 vcc, 8, v23
	v_cndmask_b32_e32 v32, v32, v33, vcc
	v_cndmask_b32_e32 v22, v22, v38, vcc
	v_lshlrev_b32_e32 v30, 24, v30
	v_lshlrev_b32_e32 v22, 20, v22
	v_and_b32_e32 v30, 0x80000000, v30
	v_lshl_add_u32 v32, v32, 23, v5
	v_or3_b32 v22, v30, v32, v22
	v_cmp_ne_u32_e32 vcc, s68, v23
	v_mov_b32_e32 v23, 0x7f800001
	v_cndmask_b32_e32 v38, v23, v22, vcc
.LBB4_8256:                             ;   in Loop: Header=BB4_7828 Depth=3
	s_or_b64 exec, exec, s[42:43]
	v_add_f32_e32 v38, v28, v38
	v_and_b32_e32 v52, 0x7f800000, v38
	v_mov_b32_e32 v53, v3
	v_cmp_ne_u64_e32 vcc, s[62:63], v[52:53]
                                        ; implicit-def: $vgpr28
	s_and_saveexec_b64 s[40:41], vcc
	s_xor_b64 s[42:43], exec, s[40:41]
	s_cbranch_execz .LBB4_8270
; %bb.8257:                             ;   in Loop: Header=BB4_7828 Depth=3
	v_and_b32_e32 v52, 0x7fffffff, v38
	v_mov_b32_e32 v53, v3
	v_cmp_gt_u64_e32 vcc, s[72:73], v[52:53]
	v_and_b32_sdwa v30, v38, s70 dst_sel:DWORD dst_unused:UNUSED_PAD src0_sel:BYTE_3 src1_sel:DWORD
                                        ; implicit-def: $vgpr28
	s_and_saveexec_b64 s[40:41], vcc
	s_xor_b64 s[38:39], exec, s[40:41]
	s_cbranch_execz .LBB4_8267
; %bb.8258:                             ;   in Loop: Header=BB4_7828 Depth=3
	v_mov_b32_e32 v28, 0
	v_cmp_ne_u32_e32 vcc, 0, v38
	s_and_saveexec_b64 s[48:49], vcc
	s_cbranch_execz .LBB4_8266
; %bb.8259:                             ;   in Loop: Header=BB4_7828 Depth=3
	v_bfe_u32 v28, v38, 23, 8
	v_cmp_gt_u32_e64 s[40:41], s71, v28
	v_sub_u32_e32 v23, 0x79, v28
	v_and_b32_e32 v22, 0x7fffff, v38
	v_cmp_eq_u32_e32 vcc, 0, v28
	v_cndmask_b32_e64 v23, 0, v23, s[40:41]
	v_mov_b32_e32 v33, 0x78
	v_or_b32_e32 v32, 0x800000, v22
	v_cndmask_b32_e32 v38, v23, v33, vcc
	v_cndmask_b32_e32 v52, v32, v22, vcc
	v_add_u32_e32 v22, 20, v38
	v_mov_b32_e32 v53, v3
	v_lshlrev_b64 v[54:55], v22, -1
	v_add_u32_e32 v22, 19, v38
	v_lshlrev_b64 v[40:41], v22, 1
	v_lshrrev_b64 v[44:45], v38, v[52:53]
	v_bfi_b32 v55, v55, 0, 0
	v_bfi_b32 v54, v54, 0, v52
	v_cmp_eq_u64_e64 s[40:41], v[54:55], v[40:41]
	v_mov_b32_e32 v46, v45
	v_mov_b32_e32 v45, v44
	s_and_saveexec_b64 s[50:51], s[40:41]
; %bb.8260:                             ;   in Loop: Header=BB4_7828 Depth=3
	v_bfe_u32 v22, v44, 20, 1
	v_add_co_u32_e64 v22, s[40:41], v44, v22
	v_add_co_u32_e64 v45, s[40:41], -1, v22
; %bb.8261:                             ;   in Loop: Header=BB4_7828 Depth=3
	s_or_b64 exec, exec, s[50:51]
	v_add_u32_e32 v22, 0xffffff81, v28
	v_mov_b32_e32 v23, 0xffffff82
	v_cndmask_b32_e32 v22, v22, v23, vcc
	v_lshrrev_b32_e32 v23, 23, v44
	v_add3_u32 v52, v38, v22, v23
	v_add_u32_e32 v38, 6, v52
	v_and_b32_e32 v22, 0xfffff, v45
	v_add_u32_e32 v44, v22, v44
	v_mov_b32_e32 v45, v3
	v_cmp_ne_u32_e32 vcc, 0, v38
                                        ; implicit-def: $vgpr28
	s_and_saveexec_b64 s[40:41], vcc
	s_xor_b64 s[40:41], exec, s[40:41]
; %bb.8262:                             ;   in Loop: Header=BB4_7828 Depth=3
	v_cmp_lt_u64_e32 vcc, s[74:75], v[44:45]
	v_add_u32_e32 v22, 7, v52
	v_cndmask_b32_e32 v28, v38, v22, vcc
	v_cndmask_b32_e64 v22, 0, 1, vcc
	v_lshrrev_b64 v[44:45], v22, v[44:45]
; %bb.8263:                             ;   in Loop: Header=BB4_7828 Depth=3
	s_andn2_saveexec_b64 s[40:41], s[40:41]
; %bb.8264:                             ;   in Loop: Header=BB4_7828 Depth=3
	v_bfe_u32 v28, v44, 23, 1
; %bb.8265:                             ;   in Loop: Header=BB4_7828 Depth=3
	s_or_b64 exec, exec, s[40:41]
	v_lshrrev_b64 v[52:53], 20, v[44:45]
	v_cmp_gt_i32_e32 vcc, 16, v28
	v_cndmask_b32_e32 v53, 0, v53, vcc
	v_cndmask_b32_e32 v52, 7, v52, vcc
	v_min_i32_e32 v22, 15, v28
	v_cmp_eq_u64_e64 s[40:41], 0, v[52:53]
	v_lshlrev_b32_e32 v22, 3, v22
	v_cmp_eq_u32_e32 vcc, 0, v28
	v_and_b32_e32 v22, 0xf8, v22
	v_and_or_b32 v22, v52, 7, v22
	s_and_b64 s[40:41], vcc, s[40:41]
	v_cndmask_b32_e64 v22, v22, 0, s[40:41]
	v_or_b32_e32 v28, v22, v30
.LBB4_8266:                             ;   in Loop: Header=BB4_7828 Depth=3
	s_or_b64 exec, exec, s[48:49]
                                        ; implicit-def: $vgpr30
.LBB4_8267:                             ;   in Loop: Header=BB4_7828 Depth=3
	s_andn2_saveexec_b64 s[40:41], s[38:39]
; %bb.8268:                             ;   in Loop: Header=BB4_7828 Depth=3
	v_or_b32_e32 v28, 0x7e, v30
; %bb.8269:                             ;   in Loop: Header=BB4_7828 Depth=3
	s_or_b64 exec, exec, s[40:41]
                                        ; implicit-def: $vgpr38
.LBB4_8270:                             ;   in Loop: Header=BB4_7828 Depth=3
	s_andn2_saveexec_b64 s[40:41], s[42:43]
; %bb.8271:                             ;   in Loop: Header=BB4_7828 Depth=3
	v_or_b32_sdwa v28, v38, s68 dst_sel:DWORD dst_unused:UNUSED_PAD src0_sel:BYTE_3 src1_sel:DWORD
; %bb.8272:                             ;   in Loop: Header=BB4_7828 Depth=3
	s_or_b64 exec, exec, s[40:41]
	v_cmp_lt_u32_e32 vcc, s57, v2
	v_mov_b32_e32 v38, 0
	s_and_saveexec_b64 s[40:41], vcc
	s_cbranch_execz .LBB4_8278
; %bb.8273:                             ;   in Loop: Header=BB4_7828 Depth=3
	v_lshrrev_b32_e32 v30, 24, v2
	v_cmp_ne_u32_e32 vcc, s70, v30
	v_bfrev_b32_e32 v38, 1
	s_and_saveexec_b64 s[42:43], vcc
	s_cbranch_execz .LBB4_8277
; %bb.8274:                             ;   in Loop: Header=BB4_7828 Depth=3
	v_bfe_u32 v2, v2, 24, 7
	v_cmp_ne_u32_e32 vcc, s68, v2
	v_mov_b32_e32 v38, 0x7f800001
	s_and_saveexec_b64 s[38:39], vcc
	s_cbranch_execz .LBB4_8276
; %bb.8275:                             ;   in Loop: Header=BB4_7828 Depth=3
	v_and_b32_e32 v22, 7, v30
	v_lshrrev_b32_e32 v23, 3, v2
	v_cmp_gt_u32_e32 vcc, 8, v2
	v_ffbh_u32_e32 v2, v22
	v_min_u32_e32 v2, 32, v2
	v_subrev_u32_e32 v32, 28, v2
	v_lshlrev_b64 v[52:53], v32, v[30:31]
	v_sub_u32_e32 v2, 29, v2
	v_and_b32_e32 v32, 7, v52
	v_cndmask_b32_e32 v2, v23, v2, vcc
	v_cndmask_b32_e32 v22, v22, v32, vcc
	v_lshlrev_b32_e32 v23, 24, v30
	v_lshlrev_b32_e32 v22, 20, v22
	v_and_b32_e32 v23, 0x80000000, v23
	v_lshl_add_u32 v2, v2, 23, v5
	v_or3_b32 v38, v23, v2, v22
.LBB4_8276:                             ;   in Loop: Header=BB4_7828 Depth=3
	s_or_b64 exec, exec, s[38:39]
.LBB4_8277:                             ;   in Loop: Header=BB4_7828 Depth=3
	s_or_b64 exec, exec, s[42:43]
.LBB4_8278:                             ;   in Loop: Header=BB4_7828 Depth=3
	s_or_b64 exec, exec, s[40:41]
	v_bfe_u32 v22, v8, 24, 3
	v_ffbh_u32_e32 v32, v22
	v_min_u32_e32 v32, 32, v32
	v_lshrrev_b32_e32 v2, 24, v8
	v_subrev_u32_e32 v33, 28, v32
	v_lshlrev_b64 v[52:53], v33, v[2:3]
	v_bfe_u32 v23, v8, 24, 7
	v_bfe_u32 v30, v2, 3, 4
	v_sub_u32_e32 v32, 29, v32
	v_and_b32_e32 v33, 7, v52
	v_cmp_gt_u32_e32 vcc, 8, v23
	v_cndmask_b32_e32 v30, v30, v32, vcc
	v_cndmask_b32_e32 v22, v22, v33, vcc
	v_lshlrev_b32_e32 v22, 20, v22
	v_and_b32_e32 v32, 0x80000000, v8
	v_lshl_add_u32 v30, v30, 23, v5
	v_or3_b32 v22, v32, v30, v22
	v_cmp_ne_u32_e32 vcc, s68, v23
	v_mov_b32_e32 v23, 0x7f800001
	v_cndmask_b32_e32 v22, v23, v22, vcc
	v_cmp_ne_u32_e32 vcc, s70, v2
	v_bfrev_b32_e32 v2, 1
	v_cndmask_b32_e32 v2, v2, v22, vcc
	v_cmp_lt_u32_e32 vcc, s57, v8
	v_cndmask_b32_e32 v2, 0, v2, vcc
	v_add_f32_e32 v52, v2, v38
	v_and_b32_e32 v2, 0x7f800000, v52
	v_cmp_ne_u64_e32 vcc, s[62:63], v[2:3]
                                        ; implicit-def: $vgpr38
	s_and_saveexec_b64 s[40:41], vcc
	s_xor_b64 s[42:43], exec, s[40:41]
	s_cbranch_execz .LBB4_8292
; %bb.8279:                             ;   in Loop: Header=BB4_7828 Depth=3
	v_and_b32_e32 v2, 0x7fffffff, v52
	v_cmp_gt_u64_e32 vcc, s[72:73], v[2:3]
	v_and_b32_sdwa v30, v52, s70 dst_sel:DWORD dst_unused:UNUSED_PAD src0_sel:BYTE_3 src1_sel:DWORD
                                        ; implicit-def: $vgpr38
	s_and_saveexec_b64 s[40:41], vcc
	s_xor_b64 s[38:39], exec, s[40:41]
	s_cbranch_execz .LBB4_8289
; %bb.8280:                             ;   in Loop: Header=BB4_7828 Depth=3
	v_mov_b32_e32 v38, 0
	v_cmp_ne_u32_e32 vcc, 0, v52
	s_and_saveexec_b64 s[48:49], vcc
	s_cbranch_execz .LBB4_8288
; %bb.8281:                             ;   in Loop: Header=BB4_7828 Depth=3
	v_bfe_u32 v38, v52, 23, 8
	v_cmp_gt_u32_e64 s[40:41], s71, v38
	v_sub_u32_e32 v22, 0x79, v38
	v_cmp_eq_u32_e32 vcc, 0, v38
	v_cndmask_b32_e64 v22, 0, v22, s[40:41]
	v_mov_b32_e32 v32, 0x78
	v_and_b32_e32 v2, 0x7fffff, v52
	v_cndmask_b32_e32 v52, v22, v32, vcc
	v_or_b32_e32 v23, 0x800000, v2
	v_add_u32_e32 v22, 20, v52
	v_cndmask_b32_e32 v2, v23, v2, vcc
	v_lshlrev_b64 v[53:54], v22, -1
	v_add_u32_e32 v22, 19, v52
	v_lshlrev_b64 v[40:41], v22, 1
	v_lshrrev_b64 v[44:45], v52, v[2:3]
	v_bfi_b32 v54, v54, 0, 0
	v_bfi_b32 v53, v53, 0, v2
	v_cmp_eq_u64_e64 s[40:41], v[53:54], v[40:41]
	v_mov_b32_e32 v46, v45
	v_mov_b32_e32 v45, v44
	s_and_saveexec_b64 s[50:51], s[40:41]
; %bb.8282:                             ;   in Loop: Header=BB4_7828 Depth=3
	v_bfe_u32 v2, v44, 20, 1
	v_add_co_u32_e64 v2, s[40:41], v44, v2
	v_add_co_u32_e64 v45, s[40:41], -1, v2
; %bb.8283:                             ;   in Loop: Header=BB4_7828 Depth=3
	s_or_b64 exec, exec, s[50:51]
	v_add_u32_e32 v2, 0xffffff81, v38
	v_mov_b32_e32 v22, 0xffffff82
	v_cndmask_b32_e32 v2, v2, v22, vcc
	v_lshrrev_b32_e32 v22, 23, v44
	v_add3_u32 v53, v52, v2, v22
	v_add_u32_e32 v52, 6, v53
	v_and_b32_e32 v2, 0xfffff, v45
	v_add_u32_e32 v2, v2, v44
	v_cmp_ne_u32_e32 vcc, 0, v52
                                        ; implicit-def: $vgpr44_vgpr45
                                        ; implicit-def: $vgpr38
	s_and_saveexec_b64 s[40:41], vcc
	s_xor_b64 s[40:41], exec, s[40:41]
; %bb.8284:                             ;   in Loop: Header=BB4_7828 Depth=3
	v_cmp_lt_u64_e32 vcc, s[74:75], v[2:3]
	v_add_u32_e32 v22, 7, v53
	v_cndmask_b32_e32 v38, v52, v22, vcc
	v_cndmask_b32_e64 v22, 0, 1, vcc
	v_lshrrev_b64 v[44:45], v22, v[2:3]
; %bb.8285:                             ;   in Loop: Header=BB4_7828 Depth=3
	s_andn2_saveexec_b64 s[40:41], s[40:41]
; %bb.8286:                             ;   in Loop: Header=BB4_7828 Depth=3
	v_mov_b32_e32 v45, v3
	v_mov_b32_e32 v44, v2
	v_bfe_u32 v38, v2, 23, 1
; %bb.8287:                             ;   in Loop: Header=BB4_7828 Depth=3
	s_or_b64 exec, exec, s[40:41]
	v_lshrrev_b64 v[52:53], 20, v[44:45]
	v_cmp_gt_i32_e32 vcc, 16, v38
	v_cndmask_b32_e32 v53, 0, v53, vcc
	v_cndmask_b32_e32 v52, 7, v52, vcc
	v_min_i32_e32 v2, 15, v38
	v_cmp_eq_u64_e64 s[40:41], 0, v[52:53]
	v_lshlrev_b32_e32 v2, 3, v2
	v_cmp_eq_u32_e32 vcc, 0, v38
	v_and_b32_e32 v2, 0xf8, v2
	v_and_or_b32 v2, v52, 7, v2
	s_and_b64 s[40:41], vcc, s[40:41]
	v_cndmask_b32_e64 v2, v2, 0, s[40:41]
	v_or_b32_e32 v38, v2, v30
.LBB4_8288:                             ;   in Loop: Header=BB4_7828 Depth=3
	s_or_b64 exec, exec, s[48:49]
                                        ; implicit-def: $vgpr30
.LBB4_8289:                             ;   in Loop: Header=BB4_7828 Depth=3
	s_andn2_saveexec_b64 s[40:41], s[38:39]
; %bb.8290:                             ;   in Loop: Header=BB4_7828 Depth=3
	v_or_b32_e32 v38, 0x7e, v30
; %bb.8291:                             ;   in Loop: Header=BB4_7828 Depth=3
	s_or_b64 exec, exec, s[40:41]
                                        ; implicit-def: $vgpr52
.LBB4_8292:                             ;   in Loop: Header=BB4_7828 Depth=3
	s_andn2_saveexec_b64 s[40:41], s[42:43]
; %bb.8293:                             ;   in Loop: Header=BB4_7828 Depth=3
	v_or_b32_sdwa v38, v52, s68 dst_sel:DWORD dst_unused:UNUSED_PAD src0_sel:BYTE_3 src1_sel:DWORD
; %bb.8294:                             ;   in Loop: Header=BB4_7828 Depth=3
	s_or_b64 exec, exec, s[40:41]
	v_lshl_or_b32 v48, v48, 8, v34
	v_lshlrev_b32_e32 v2, 16, v50
	v_lshlrev_b32_e32 v22, 24, v51
	v_or3_b32 v2, v2, v22, v48
	v_cmp_ne_u32_e32 vcc, 0, v34
	v_mov_b32_e32 v30, 0
	s_and_saveexec_b64 s[40:41], vcc
	s_cbranch_execz .LBB4_8300
; %bb.8295:                             ;   in Loop: Header=BB4_7828 Depth=3
	v_cmp_ne_u32_e32 vcc, s70, v34
	v_bfrev_b32_e32 v30, 1
	s_and_saveexec_b64 s[42:43], vcc
	s_cbranch_execz .LBB4_8299
; %bb.8296:                             ;   in Loop: Header=BB4_7828 Depth=3
	v_and_b32_e32 v50, 0x7f, v34
	v_cmp_ne_u32_e32 vcc, s68, v50
	v_mov_b32_e32 v30, 0x7f800001
	s_and_saveexec_b64 s[38:39], vcc
	s_cbranch_execz .LBB4_8298
; %bb.8297:                             ;   in Loop: Header=BB4_7828 Depth=3
	v_and_b32_e32 v22, 7, v34
	v_ffbh_u32_e32 v22, v22
	v_min_u32_e32 v22, 32, v22
	v_lshrrev_b32_e32 v23, 3, v50
	v_cmp_gt_u32_e32 vcc, 8, v50
	v_subrev_u32_e32 v30, 28, v22
	v_sub_u32_e32 v22, 29, v22
	v_cndmask_b32_e32 v22, v23, v22, vcc
	v_cndmask_b32_e32 v23, 0, v30, vcc
	v_lshlrev_b64 v[50:51], v23, v[2:3]
	v_lshlrev_b32_e32 v30, 24, v2
	v_lshlrev_b32_e32 v23, 20, v50
	v_and_b32_e32 v23, 0x700000, v23
	v_and_b32_e32 v30, 0x80000000, v30
	v_lshl_add_u32 v22, v22, 23, v5
	v_or3_b32 v30, v30, v22, v23
.LBB4_8298:                             ;   in Loop: Header=BB4_7828 Depth=3
	s_or_b64 exec, exec, s[38:39]
.LBB4_8299:                             ;   in Loop: Header=BB4_7828 Depth=3
	s_or_b64 exec, exec, s[42:43]
.LBB4_8300:                             ;   in Loop: Header=BB4_7828 Depth=3
	s_or_b64 exec, exec, s[40:41]
	v_cmp_gt_i16_sdwa s[42:43], v9, s68 src0_sel:BYTE_0 src1_sel:DWORD
	s_mov_b64 s[40:41], 0
	s_and_saveexec_b64 vcc, s[42:43]
	s_xor_b64 s[42:43], exec, vcc
	s_cbranch_execz .LBB4_8304
; %bb.8301:                             ;   in Loop: Header=BB4_7828 Depth=3
	v_cmp_eq_u16_sdwa s[38:39], v9, s70 src0_sel:BYTE_0 src1_sel:DWORD
	s_mov_b64 s[40:41], -1
	s_and_saveexec_b64 vcc, s[38:39]
; %bb.8302:                             ;   in Loop: Header=BB4_7828 Depth=3
	s_xor_b64 s[40:41], exec, -1
; %bb.8303:                             ;   in Loop: Header=BB4_7828 Depth=3
	s_or_b64 exec, exec, vcc
	s_and_b64 s[40:41], s[40:41], exec
.LBB4_8304:                             ;   in Loop: Header=BB4_7828 Depth=3
	s_or_saveexec_b64 s[42:43], s[42:43]
	v_bfrev_b32_e32 v34, 1
	s_xor_b64 exec, exec, s[42:43]
; %bb.8305:                             ;   in Loop: Header=BB4_7828 Depth=3
	v_cmp_ne_u16_sdwa vcc, v9, v3 src0_sel:BYTE_0 src1_sel:DWORD
	s_andn2_b64 s[40:41], s[40:41], exec
	s_and_b64 vcc, vcc, exec
	v_mov_b32_e32 v34, 0
	s_or_b64 s[40:41], s[40:41], vcc
; %bb.8306:                             ;   in Loop: Header=BB4_7828 Depth=3
	s_or_b64 exec, exec, s[42:43]
	v_mov_b32_e32 v44, v9
	v_mov_b32_e32 v45, v3
	s_and_saveexec_b64 s[42:43], s[40:41]
	s_cbranch_execz .LBB4_8308
; %bb.8307:                             ;   in Loop: Header=BB4_7828 Depth=3
	v_and_b32_e32 v22, 7, v9
	v_ffbh_u32_e32 v22, v22
	v_and_b32_e32 v23, 0x7f, v9
	v_min_u32_e32 v22, 32, v22
	v_bfe_u32 v32, v9, 3, 4
	v_subrev_u32_e32 v33, 28, v22
	v_sub_u32_e32 v22, 29, v22
	v_cmp_gt_u32_e32 vcc, 8, v23
	v_cndmask_b32_e32 v22, v32, v22, vcc
	v_cndmask_b32_e32 v32, 0, v33, vcc
	v_lshlrev_b64 v[50:51], v32, v[44:45]
	v_lshlrev_b32_e32 v33, 24, v44
	v_lshlrev_b32_e32 v32, 20, v50
	v_and_b32_e32 v32, 0x700000, v32
	v_and_b32_e32 v33, 0x80000000, v33
	v_lshl_add_u32 v22, v22, 23, v5
	v_or3_b32 v22, v33, v22, v32
	v_cmp_ne_u32_e32 vcc, s68, v23
	v_mov_b32_e32 v23, 0x7f800001
	v_cndmask_b32_e32 v34, v23, v22, vcc
.LBB4_8308:                             ;   in Loop: Header=BB4_7828 Depth=3
	s_or_b64 exec, exec, s[42:43]
	v_add_f32_e32 v50, v30, v34
	v_and_b32_e32 v51, 0x7f800000, v50
	v_mov_b32_e32 v52, v3
	v_cmp_ne_u64_e32 vcc, s[62:63], v[51:52]
                                        ; implicit-def: $vgpr34
	s_and_saveexec_b64 s[40:41], vcc
	s_xor_b64 s[42:43], exec, s[40:41]
	s_cbranch_execz .LBB4_8322
; %bb.8309:                             ;   in Loop: Header=BB4_7828 Depth=3
	v_and_b32_e32 v51, 0x7fffffff, v50
	v_mov_b32_e32 v52, v3
	v_cmp_gt_u64_e32 vcc, s[72:73], v[51:52]
	v_and_b32_sdwa v30, v50, s70 dst_sel:DWORD dst_unused:UNUSED_PAD src0_sel:BYTE_3 src1_sel:DWORD
                                        ; implicit-def: $vgpr34
	s_and_saveexec_b64 s[40:41], vcc
	s_xor_b64 s[38:39], exec, s[40:41]
	s_cbranch_execz .LBB4_8319
; %bb.8310:                             ;   in Loop: Header=BB4_7828 Depth=3
	v_mov_b32_e32 v34, 0
	v_cmp_ne_u32_e32 vcc, 0, v50
	s_and_saveexec_b64 s[48:49], vcc
	s_cbranch_execz .LBB4_8318
; %bb.8311:                             ;   in Loop: Header=BB4_7828 Depth=3
	v_bfe_u32 v34, v50, 23, 8
	v_cmp_gt_u32_e64 s[40:41], s71, v34
	v_sub_u32_e32 v23, 0x79, v34
	v_and_b32_e32 v22, 0x7fffff, v50
	v_cmp_eq_u32_e32 vcc, 0, v34
	v_cndmask_b32_e64 v23, 0, v23, s[40:41]
	v_mov_b32_e32 v33, 0x78
	v_or_b32_e32 v32, 0x800000, v22
	v_cndmask_b32_e32 v50, v23, v33, vcc
	v_cndmask_b32_e32 v51, v32, v22, vcc
	v_add_u32_e32 v22, 20, v50
	v_mov_b32_e32 v52, v3
	v_lshlrev_b64 v[53:54], v22, -1
	v_add_u32_e32 v22, 19, v50
	v_lshlrev_b64 v[40:41], v22, 1
	v_lshrrev_b64 v[45:46], v50, v[51:52]
	v_bfi_b32 v54, v54, 0, 0
	v_bfi_b32 v53, v53, 0, v51
	v_cmp_eq_u64_e64 s[40:41], v[53:54], v[40:41]
	v_mov_b32_e32 v47, v46
	v_mov_b32_e32 v46, v45
	s_and_saveexec_b64 s[50:51], s[40:41]
; %bb.8312:                             ;   in Loop: Header=BB4_7828 Depth=3
	v_bfe_u32 v22, v45, 20, 1
	v_add_co_u32_e64 v22, s[40:41], v45, v22
	v_add_co_u32_e64 v46, s[40:41], -1, v22
; %bb.8313:                             ;   in Loop: Header=BB4_7828 Depth=3
	s_or_b64 exec, exec, s[50:51]
	v_add_u32_e32 v22, 0xffffff81, v34
	v_mov_b32_e32 v23, 0xffffff82
	v_cndmask_b32_e32 v22, v22, v23, vcc
	v_lshrrev_b32_e32 v23, 23, v45
	v_add3_u32 v51, v50, v22, v23
	v_add_u32_e32 v50, 6, v51
	v_and_b32_e32 v22, 0xfffff, v46
	v_add_u32_e32 v45, v22, v45
	v_mov_b32_e32 v46, v3
	v_cmp_ne_u32_e32 vcc, 0, v50
                                        ; implicit-def: $vgpr34
	s_and_saveexec_b64 s[40:41], vcc
	s_xor_b64 s[40:41], exec, s[40:41]
; %bb.8314:                             ;   in Loop: Header=BB4_7828 Depth=3
	v_cmp_lt_u64_e32 vcc, s[74:75], v[45:46]
	v_add_u32_e32 v22, 7, v51
	v_cndmask_b32_e32 v34, v50, v22, vcc
	v_cndmask_b32_e64 v22, 0, 1, vcc
	v_lshrrev_b64 v[45:46], v22, v[45:46]
; %bb.8315:                             ;   in Loop: Header=BB4_7828 Depth=3
	s_andn2_saveexec_b64 s[40:41], s[40:41]
; %bb.8316:                             ;   in Loop: Header=BB4_7828 Depth=3
	v_bfe_u32 v34, v45, 23, 1
; %bb.8317:                             ;   in Loop: Header=BB4_7828 Depth=3
	s_or_b64 exec, exec, s[40:41]
	v_lshrrev_b64 v[50:51], 20, v[45:46]
	v_cmp_gt_i32_e32 vcc, 16, v34
	v_cndmask_b32_e32 v51, 0, v51, vcc
	v_cndmask_b32_e32 v50, 7, v50, vcc
	v_min_i32_e32 v22, 15, v34
	v_cmp_eq_u64_e64 s[40:41], 0, v[50:51]
	v_lshlrev_b32_e32 v22, 3, v22
	v_cmp_eq_u32_e32 vcc, 0, v34
	v_and_b32_e32 v22, 0xf8, v22
	v_and_or_b32 v22, v50, 7, v22
	s_and_b64 s[40:41], vcc, s[40:41]
	v_cndmask_b32_e64 v22, v22, 0, s[40:41]
	v_or_b32_e32 v34, v22, v30
.LBB4_8318:                             ;   in Loop: Header=BB4_7828 Depth=3
	s_or_b64 exec, exec, s[48:49]
                                        ; implicit-def: $vgpr30
.LBB4_8319:                             ;   in Loop: Header=BB4_7828 Depth=3
	s_andn2_saveexec_b64 s[40:41], s[38:39]
; %bb.8320:                             ;   in Loop: Header=BB4_7828 Depth=3
	v_or_b32_e32 v34, 0x7e, v30
; %bb.8321:                             ;   in Loop: Header=BB4_7828 Depth=3
	s_or_b64 exec, exec, s[40:41]
                                        ; implicit-def: $vgpr50
.LBB4_8322:                             ;   in Loop: Header=BB4_7828 Depth=3
	s_andn2_saveexec_b64 s[40:41], s[42:43]
; %bb.8323:                             ;   in Loop: Header=BB4_7828 Depth=3
	v_or_b32_sdwa v34, v50, s68 dst_sel:DWORD dst_unused:UNUSED_PAD src0_sel:BYTE_3 src1_sel:DWORD
; %bb.8324:                             ;   in Loop: Header=BB4_7828 Depth=3
	s_or_b64 exec, exec, s[40:41]
	v_lshrrev_b16_e32 v30, 8, v48
	v_cmp_ne_u16_e32 vcc, 0, v30
	v_mov_b32_e32 v50, 0
	s_and_saveexec_b64 s[40:41], vcc
	s_cbranch_execz .LBB4_8330
; %bb.8325:                             ;   in Loop: Header=BB4_7828 Depth=3
	v_cmp_ne_u16_e32 vcc, s70, v30
	v_bfrev_b32_e32 v50, 1
	s_and_saveexec_b64 s[42:43], vcc
	s_cbranch_execz .LBB4_8329
; %bb.8326:                             ;   in Loop: Header=BB4_7828 Depth=3
	v_and_b32_e32 v51, 0x7f, v30
	v_cmp_ne_u32_e32 vcc, s68, v51
	v_mov_b32_e32 v50, 0x7f800001
	s_and_saveexec_b64 s[38:39], vcc
	s_cbranch_execz .LBB4_8328
; %bb.8327:                             ;   in Loop: Header=BB4_7828 Depth=3
	v_and_b32_e32 v22, 7, v30
	v_ffbh_u32_e32 v32, v22
	v_min_u32_e32 v32, 32, v32
	v_subrev_u32_e32 v33, 28, v32
	v_lshrrev_b32_e32 v23, 3, v51
	v_cmp_gt_u32_e32 vcc, 8, v51
	v_lshlrev_b64 v[50:51], v33, v[30:31]
	v_sub_u32_e32 v30, 29, v32
	v_and_b32_e32 v32, 7, v50
	v_cndmask_b32_e32 v23, v23, v30, vcc
	v_cndmask_b32_e32 v22, v22, v32, vcc
	v_lshlrev_b32_e32 v30, 16, v48
	v_lshlrev_b32_e32 v22, 20, v22
	v_and_b32_e32 v30, 0x80000000, v30
	v_lshl_add_u32 v23, v23, 23, v5
	v_or3_b32 v50, v30, v23, v22
.LBB4_8328:                             ;   in Loop: Header=BB4_7828 Depth=3
	s_or_b64 exec, exec, s[38:39]
.LBB4_8329:                             ;   in Loop: Header=BB4_7828 Depth=3
	s_or_b64 exec, exec, s[42:43]
.LBB4_8330:                             ;   in Loop: Header=BB4_7828 Depth=3
	s_or_b64 exec, exec, s[40:41]
	v_lshrrev_b16_e32 v44, 8, v44
	v_cmp_lt_i16_e32 vcc, s68, v44
	s_mov_b64 s[40:41], 0
	s_and_saveexec_b64 s[42:43], vcc
	s_xor_b64 s[42:43], exec, s[42:43]
	s_cbranch_execz .LBB4_8625
; %bb.8331:                             ;   in Loop: Header=BB4_7828 Depth=3
	v_cmp_eq_u16_e32 vcc, s70, v44
	s_mov_b64 s[40:41], -1
	s_and_saveexec_b64 s[38:39], vcc
; %bb.8332:                             ;   in Loop: Header=BB4_7828 Depth=3
	s_xor_b64 s[40:41], exec, -1
; %bb.8333:                             ;   in Loop: Header=BB4_7828 Depth=3
	s_or_b64 exec, exec, s[38:39]
	s_and_b64 s[40:41], s[40:41], exec
	s_or_saveexec_b64 s[42:43], s[42:43]
	v_bfrev_b32_e32 v30, 1
	s_xor_b64 exec, exec, s[42:43]
	s_cbranch_execnz .LBB4_8626
.LBB4_8334:                             ;   in Loop: Header=BB4_7828 Depth=3
	s_or_b64 exec, exec, s[42:43]
	s_and_saveexec_b64 s[42:43], s[40:41]
	s_cbranch_execz .LBB4_8336
.LBB4_8335:                             ;   in Loop: Header=BB4_7828 Depth=3
	v_and_b32_e32 v22, 7, v44
	v_ffbh_u32_e32 v32, v22
	v_min_u32_e32 v32, 32, v32
	v_mov_b32_e32 v45, v3
	v_subrev_u32_e32 v33, 28, v32
	v_lshlrev_b64 v[51:52], v33, v[44:45]
	v_and_b32_e32 v23, 0x7f, v44
	v_bfe_u32 v30, v44, 3, 4
	v_sub_u32_e32 v32, 29, v32
	v_and_b32_e32 v33, 7, v51
	v_cmp_gt_u32_e32 vcc, 8, v23
	v_cndmask_b32_e32 v30, v30, v32, vcc
	v_cndmask_b32_e32 v22, v22, v33, vcc
	v_lshlrev_b32_e32 v32, 24, v44
	v_lshlrev_b32_e32 v22, 20, v22
	v_and_b32_e32 v32, 0x80000000, v32
	v_lshl_add_u32 v30, v30, 23, v5
	v_or3_b32 v22, v32, v30, v22
	v_cmp_ne_u32_e32 vcc, s68, v23
	v_mov_b32_e32 v23, 0x7f800001
	v_cndmask_b32_e32 v30, v23, v22, vcc
.LBB4_8336:                             ;   in Loop: Header=BB4_7828 Depth=3
	s_or_b64 exec, exec, s[42:43]
	v_add_f32_e32 v50, v50, v30
	v_and_b32_e32 v51, 0x7f800000, v50
	v_mov_b32_e32 v52, v3
	v_cmp_ne_u64_e32 vcc, s[62:63], v[51:52]
                                        ; implicit-def: $vgpr48
	s_and_saveexec_b64 s[40:41], vcc
	s_xor_b64 s[42:43], exec, s[40:41]
	s_cbranch_execz .LBB4_8350
; %bb.8337:                             ;   in Loop: Header=BB4_7828 Depth=3
	v_and_b32_e32 v51, 0x7fffffff, v50
	v_mov_b32_e32 v52, v3
	v_cmp_gt_u64_e32 vcc, s[72:73], v[51:52]
	v_and_b32_sdwa v30, v50, s70 dst_sel:DWORD dst_unused:UNUSED_PAD src0_sel:BYTE_3 src1_sel:DWORD
                                        ; implicit-def: $vgpr48
	s_and_saveexec_b64 s[40:41], vcc
	s_xor_b64 s[38:39], exec, s[40:41]
	s_cbranch_execz .LBB4_8347
; %bb.8338:                             ;   in Loop: Header=BB4_7828 Depth=3
	v_mov_b32_e32 v48, 0
	v_cmp_ne_u32_e32 vcc, 0, v50
	s_and_saveexec_b64 s[48:49], vcc
	s_cbranch_execz .LBB4_8346
; %bb.8339:                             ;   in Loop: Header=BB4_7828 Depth=3
	v_bfe_u32 v48, v50, 23, 8
	v_cmp_gt_u32_e64 s[40:41], s71, v48
	v_sub_u32_e32 v23, 0x79, v48
	v_and_b32_e32 v22, 0x7fffff, v50
	v_cmp_eq_u32_e32 vcc, 0, v48
	v_cndmask_b32_e64 v23, 0, v23, s[40:41]
	v_mov_b32_e32 v33, 0x78
	v_or_b32_e32 v32, 0x800000, v22
	v_cndmask_b32_e32 v50, v23, v33, vcc
	v_cndmask_b32_e32 v51, v32, v22, vcc
	v_add_u32_e32 v22, 20, v50
	v_mov_b32_e32 v52, v3
	v_lshlrev_b64 v[53:54], v22, -1
	v_add_u32_e32 v22, 19, v50
	v_lshlrev_b64 v[40:41], v22, 1
	v_lshrrev_b64 v[44:45], v50, v[51:52]
	v_bfi_b32 v54, v54, 0, 0
	v_bfi_b32 v53, v53, 0, v51
	v_cmp_eq_u64_e64 s[40:41], v[53:54], v[40:41]
	v_mov_b32_e32 v46, v45
	v_mov_b32_e32 v45, v44
	s_and_saveexec_b64 s[50:51], s[40:41]
; %bb.8340:                             ;   in Loop: Header=BB4_7828 Depth=3
	v_bfe_u32 v22, v44, 20, 1
	v_add_co_u32_e64 v22, s[40:41], v44, v22
	v_add_co_u32_e64 v45, s[40:41], -1, v22
; %bb.8341:                             ;   in Loop: Header=BB4_7828 Depth=3
	s_or_b64 exec, exec, s[50:51]
	v_add_u32_e32 v22, 0xffffff81, v48
	v_mov_b32_e32 v23, 0xffffff82
	v_cndmask_b32_e32 v22, v22, v23, vcc
	v_lshrrev_b32_e32 v23, 23, v44
	v_add3_u32 v51, v50, v22, v23
	v_add_u32_e32 v50, 6, v51
	v_and_b32_e32 v22, 0xfffff, v45
	v_add_u32_e32 v44, v22, v44
	v_mov_b32_e32 v45, v3
	v_cmp_ne_u32_e32 vcc, 0, v50
                                        ; implicit-def: $vgpr48
	s_and_saveexec_b64 s[40:41], vcc
	s_xor_b64 s[40:41], exec, s[40:41]
; %bb.8342:                             ;   in Loop: Header=BB4_7828 Depth=3
	v_cmp_lt_u64_e32 vcc, s[74:75], v[44:45]
	v_add_u32_e32 v22, 7, v51
	v_cndmask_b32_e32 v48, v50, v22, vcc
	v_cndmask_b32_e64 v22, 0, 1, vcc
	v_lshrrev_b64 v[44:45], v22, v[44:45]
; %bb.8343:                             ;   in Loop: Header=BB4_7828 Depth=3
	s_andn2_saveexec_b64 s[40:41], s[40:41]
; %bb.8344:                             ;   in Loop: Header=BB4_7828 Depth=3
	v_bfe_u32 v48, v44, 23, 1
; %bb.8345:                             ;   in Loop: Header=BB4_7828 Depth=3
	s_or_b64 exec, exec, s[40:41]
	v_lshrrev_b64 v[50:51], 20, v[44:45]
	v_cmp_gt_i32_e32 vcc, 16, v48
	v_cndmask_b32_e32 v51, 0, v51, vcc
	v_cndmask_b32_e32 v50, 7, v50, vcc
	v_min_i32_e32 v22, 15, v48
	v_cmp_eq_u64_e64 s[40:41], 0, v[50:51]
	v_lshlrev_b32_e32 v22, 3, v22
	v_cmp_eq_u32_e32 vcc, 0, v48
	v_and_b32_e32 v22, 0xf8, v22
	v_and_or_b32 v22, v50, 7, v22
	s_and_b64 s[40:41], vcc, s[40:41]
	v_cndmask_b32_e64 v22, v22, 0, s[40:41]
	v_or_b32_e32 v48, v22, v30
.LBB4_8346:                             ;   in Loop: Header=BB4_7828 Depth=3
	s_or_b64 exec, exec, s[48:49]
                                        ; implicit-def: $vgpr30
.LBB4_8347:                             ;   in Loop: Header=BB4_7828 Depth=3
	s_andn2_saveexec_b64 s[40:41], s[38:39]
; %bb.8348:                             ;   in Loop: Header=BB4_7828 Depth=3
	v_or_b32_e32 v48, 0x7e, v30
; %bb.8349:                             ;   in Loop: Header=BB4_7828 Depth=3
	s_or_b64 exec, exec, s[40:41]
                                        ; implicit-def: $vgpr50
.LBB4_8350:                             ;   in Loop: Header=BB4_7828 Depth=3
	s_andn2_saveexec_b64 s[40:41], s[42:43]
; %bb.8351:                             ;   in Loop: Header=BB4_7828 Depth=3
	v_or_b32_sdwa v48, v50, s68 dst_sel:DWORD dst_unused:UNUSED_PAD src0_sel:BYTE_3 src1_sel:DWORD
; %bb.8352:                             ;   in Loop: Header=BB4_7828 Depth=3
	s_or_b64 exec, exec, s[40:41]
	v_lshrrev_b32_e32 v30, 16, v2
	v_cmp_ne_u16_sdwa s[42:43], v30, v3 src0_sel:BYTE_0 src1_sel:DWORD
	v_mov_b32_e32 v50, 0
	s_and_saveexec_b64 s[40:41], s[42:43]
	s_cbranch_execz .LBB4_8358
; %bb.8353:                             ;   in Loop: Header=BB4_7828 Depth=3
	v_cmp_ne_u16_sdwa vcc, v30, s70 src0_sel:BYTE_0 src1_sel:DWORD
	v_bfrev_b32_e32 v50, 1
	s_and_saveexec_b64 s[42:43], vcc
	s_cbranch_execz .LBB4_8357
; %bb.8354:                             ;   in Loop: Header=BB4_7828 Depth=3
	v_bfe_u32 v51, v2, 16, 7
	v_cmp_ne_u32_e32 vcc, s68, v51
	v_mov_b32_e32 v50, 0x7f800001
	s_and_saveexec_b64 s[38:39], vcc
	s_cbranch_execz .LBB4_8356
; %bb.8355:                             ;   in Loop: Header=BB4_7828 Depth=3
	v_and_b32_e32 v22, 7, v30
	v_ffbh_u32_e32 v32, v22
	v_min_u32_e32 v32, 32, v32
	v_subrev_u32_e32 v33, 28, v32
	v_lshrrev_b32_e32 v23, 3, v51
	v_cmp_gt_u32_e32 vcc, 8, v51
	v_lshlrev_b64 v[50:51], v33, v[30:31]
	v_sub_u32_e32 v32, 29, v32
	v_and_b32_e32 v33, 7, v50
	v_cndmask_b32_e32 v23, v23, v32, vcc
	v_cndmask_b32_e32 v22, v22, v33, vcc
	v_lshlrev_b32_e32 v30, 24, v30
	v_lshlrev_b32_e32 v22, 20, v22
	v_and_b32_e32 v30, 0x80000000, v30
	v_lshl_add_u32 v23, v23, 23, v5
	v_or3_b32 v50, v30, v23, v22
.LBB4_8356:                             ;   in Loop: Header=BB4_7828 Depth=3
	s_or_b64 exec, exec, s[38:39]
.LBB4_8357:                             ;   in Loop: Header=BB4_7828 Depth=3
	s_or_b64 exec, exec, s[42:43]
.LBB4_8358:                             ;   in Loop: Header=BB4_7828 Depth=3
	s_or_b64 exec, exec, s[40:41]
	v_lshrrev_b32_e32 v30, 16, v9
	v_cmp_gt_i16_sdwa s[42:43], v30, s68 src0_sel:BYTE_0 src1_sel:DWORD
	s_mov_b64 s[40:41], 0
	s_and_saveexec_b64 vcc, s[42:43]
	s_xor_b64 s[42:43], exec, vcc
	s_cbranch_execz .LBB4_8627
; %bb.8359:                             ;   in Loop: Header=BB4_7828 Depth=3
	v_cmp_eq_u16_sdwa s[38:39], v30, s70 src0_sel:BYTE_0 src1_sel:DWORD
	s_mov_b64 s[40:41], -1
	s_and_saveexec_b64 vcc, s[38:39]
; %bb.8360:                             ;   in Loop: Header=BB4_7828 Depth=3
	s_xor_b64 s[40:41], exec, -1
; %bb.8361:                             ;   in Loop: Header=BB4_7828 Depth=3
	s_or_b64 exec, exec, vcc
	s_and_b64 s[40:41], s[40:41], exec
	s_or_saveexec_b64 s[42:43], s[42:43]
	v_bfrev_b32_e32 v51, 1
	s_xor_b64 exec, exec, s[42:43]
	s_cbranch_execnz .LBB4_8628
.LBB4_8362:                             ;   in Loop: Header=BB4_7828 Depth=3
	s_or_b64 exec, exec, s[42:43]
	s_and_saveexec_b64 s[42:43], s[40:41]
	s_cbranch_execz .LBB4_8364
.LBB4_8363:                             ;   in Loop: Header=BB4_7828 Depth=3
	v_and_b32_e32 v22, 7, v30
	v_ffbh_u32_e32 v33, v22
	v_min_u32_e32 v33, 32, v33
	v_subrev_u32_e32 v51, 28, v33
	v_lshlrev_b64 v[51:52], v51, v[30:31]
	v_and_b32_e32 v23, 0x7f, v30
	v_bfe_u32 v32, v30, 3, 4
	v_sub_u32_e32 v33, 29, v33
	v_and_b32_e32 v51, 7, v51
	v_cmp_gt_u32_e32 vcc, 8, v23
	v_cndmask_b32_e32 v32, v32, v33, vcc
	v_cndmask_b32_e32 v22, v22, v51, vcc
	v_lshlrev_b32_e32 v30, 24, v30
	v_lshlrev_b32_e32 v22, 20, v22
	v_and_b32_e32 v30, 0x80000000, v30
	v_lshl_add_u32 v32, v32, 23, v5
	v_or3_b32 v22, v30, v32, v22
	v_cmp_ne_u32_e32 vcc, s68, v23
	v_mov_b32_e32 v23, 0x7f800001
	v_cndmask_b32_e32 v51, v23, v22, vcc
.LBB4_8364:                             ;   in Loop: Header=BB4_7828 Depth=3
	s_or_b64 exec, exec, s[42:43]
	v_add_f32_e32 v51, v50, v51
	v_and_b32_e32 v52, 0x7f800000, v51
	v_mov_b32_e32 v53, v3
	v_cmp_ne_u64_e32 vcc, s[62:63], v[52:53]
                                        ; implicit-def: $vgpr50
	s_and_saveexec_b64 s[40:41], vcc
	s_xor_b64 s[42:43], exec, s[40:41]
	s_cbranch_execz .LBB4_8378
; %bb.8365:                             ;   in Loop: Header=BB4_7828 Depth=3
	v_and_b32_e32 v52, 0x7fffffff, v51
	v_mov_b32_e32 v53, v3
	v_cmp_gt_u64_e32 vcc, s[72:73], v[52:53]
	v_and_b32_sdwa v30, v51, s70 dst_sel:DWORD dst_unused:UNUSED_PAD src0_sel:BYTE_3 src1_sel:DWORD
                                        ; implicit-def: $vgpr50
	s_and_saveexec_b64 s[40:41], vcc
	s_xor_b64 s[38:39], exec, s[40:41]
	s_cbranch_execz .LBB4_8375
; %bb.8366:                             ;   in Loop: Header=BB4_7828 Depth=3
	v_mov_b32_e32 v50, 0
	v_cmp_ne_u32_e32 vcc, 0, v51
	s_and_saveexec_b64 s[48:49], vcc
	s_cbranch_execz .LBB4_8374
; %bb.8367:                             ;   in Loop: Header=BB4_7828 Depth=3
	v_bfe_u32 v50, v51, 23, 8
	v_cmp_gt_u32_e64 s[40:41], s71, v50
	v_sub_u32_e32 v23, 0x79, v50
	v_and_b32_e32 v22, 0x7fffff, v51
	v_cmp_eq_u32_e32 vcc, 0, v50
	v_cndmask_b32_e64 v23, 0, v23, s[40:41]
	v_mov_b32_e32 v33, 0x78
	v_or_b32_e32 v32, 0x800000, v22
	v_cndmask_b32_e32 v51, v23, v33, vcc
	v_cndmask_b32_e32 v52, v32, v22, vcc
	v_add_u32_e32 v22, 20, v51
	v_mov_b32_e32 v53, v3
	v_lshlrev_b64 v[54:55], v22, -1
	v_add_u32_e32 v22, 19, v51
	v_lshlrev_b64 v[40:41], v22, 1
	v_lshrrev_b64 v[44:45], v51, v[52:53]
	v_bfi_b32 v55, v55, 0, 0
	v_bfi_b32 v54, v54, 0, v52
	v_cmp_eq_u64_e64 s[40:41], v[54:55], v[40:41]
	v_mov_b32_e32 v46, v45
	v_mov_b32_e32 v45, v44
	s_and_saveexec_b64 s[50:51], s[40:41]
; %bb.8368:                             ;   in Loop: Header=BB4_7828 Depth=3
	v_bfe_u32 v22, v44, 20, 1
	v_add_co_u32_e64 v22, s[40:41], v44, v22
	v_add_co_u32_e64 v45, s[40:41], -1, v22
; %bb.8369:                             ;   in Loop: Header=BB4_7828 Depth=3
	s_or_b64 exec, exec, s[50:51]
	v_add_u32_e32 v22, 0xffffff81, v50
	v_mov_b32_e32 v23, 0xffffff82
	v_cndmask_b32_e32 v22, v22, v23, vcc
	v_lshrrev_b32_e32 v23, 23, v44
	v_add3_u32 v52, v51, v22, v23
	v_add_u32_e32 v51, 6, v52
	v_and_b32_e32 v22, 0xfffff, v45
	v_add_u32_e32 v44, v22, v44
	v_mov_b32_e32 v45, v3
	v_cmp_ne_u32_e32 vcc, 0, v51
                                        ; implicit-def: $vgpr50
	s_and_saveexec_b64 s[40:41], vcc
	s_xor_b64 s[40:41], exec, s[40:41]
; %bb.8370:                             ;   in Loop: Header=BB4_7828 Depth=3
	v_cmp_lt_u64_e32 vcc, s[74:75], v[44:45]
	v_add_u32_e32 v22, 7, v52
	v_cndmask_b32_e32 v50, v51, v22, vcc
	v_cndmask_b32_e64 v22, 0, 1, vcc
	v_lshrrev_b64 v[44:45], v22, v[44:45]
; %bb.8371:                             ;   in Loop: Header=BB4_7828 Depth=3
	s_andn2_saveexec_b64 s[40:41], s[40:41]
; %bb.8372:                             ;   in Loop: Header=BB4_7828 Depth=3
	v_bfe_u32 v50, v44, 23, 1
; %bb.8373:                             ;   in Loop: Header=BB4_7828 Depth=3
	s_or_b64 exec, exec, s[40:41]
	v_lshrrev_b64 v[51:52], 20, v[44:45]
	v_cmp_gt_i32_e32 vcc, 16, v50
	v_cndmask_b32_e32 v52, 0, v52, vcc
	v_cndmask_b32_e32 v51, 7, v51, vcc
	v_min_i32_e32 v22, 15, v50
	v_cmp_eq_u64_e64 s[40:41], 0, v[51:52]
	v_lshlrev_b32_e32 v22, 3, v22
	v_cmp_eq_u32_e32 vcc, 0, v50
	v_and_b32_e32 v22, 0xf8, v22
	v_and_or_b32 v22, v51, 7, v22
	s_and_b64 s[40:41], vcc, s[40:41]
	v_cndmask_b32_e64 v22, v22, 0, s[40:41]
	v_or_b32_e32 v50, v22, v30
.LBB4_8374:                             ;   in Loop: Header=BB4_7828 Depth=3
	s_or_b64 exec, exec, s[48:49]
                                        ; implicit-def: $vgpr30
.LBB4_8375:                             ;   in Loop: Header=BB4_7828 Depth=3
	s_andn2_saveexec_b64 s[40:41], s[38:39]
; %bb.8376:                             ;   in Loop: Header=BB4_7828 Depth=3
	v_or_b32_e32 v50, 0x7e, v30
; %bb.8377:                             ;   in Loop: Header=BB4_7828 Depth=3
	s_or_b64 exec, exec, s[40:41]
                                        ; implicit-def: $vgpr51
.LBB4_8378:                             ;   in Loop: Header=BB4_7828 Depth=3
	s_andn2_saveexec_b64 s[40:41], s[42:43]
; %bb.8379:                             ;   in Loop: Header=BB4_7828 Depth=3
	v_or_b32_sdwa v50, v51, s68 dst_sel:DWORD dst_unused:UNUSED_PAD src0_sel:BYTE_3 src1_sel:DWORD
; %bb.8380:                             ;   in Loop: Header=BB4_7828 Depth=3
	s_or_b64 exec, exec, s[40:41]
	v_cmp_lt_u32_e32 vcc, s57, v2
	v_mov_b32_e32 v51, 0
	s_and_saveexec_b64 s[40:41], vcc
	s_cbranch_execz .LBB4_8386
; %bb.8381:                             ;   in Loop: Header=BB4_7828 Depth=3
	v_lshrrev_b32_e32 v30, 24, v2
	v_cmp_ne_u32_sdwa vcc, v2, s70 src0_sel:BYTE_3 src1_sel:DWORD
	v_bfrev_b32_e32 v51, 1
	s_and_saveexec_b64 s[42:43], vcc
	s_cbranch_execz .LBB4_8385
; %bb.8382:                             ;   in Loop: Header=BB4_7828 Depth=3
	v_bfe_u32 v52, v2, 24, 7
	v_cmp_ne_u32_e32 vcc, s68, v52
	v_mov_b32_e32 v51, 0x7f800001
	s_and_saveexec_b64 s[38:39], vcc
	s_cbranch_execz .LBB4_8384
; %bb.8383:                             ;   in Loop: Header=BB4_7828 Depth=3
	v_and_b32_e32 v22, 7, v30
	v_ffbh_u32_e32 v32, v22
	v_min_u32_e32 v32, 32, v32
	v_subrev_u32_e32 v33, 28, v32
	v_lshrrev_b32_e32 v23, 3, v52
	v_cmp_gt_u32_e32 vcc, 8, v52
	v_lshlrev_b64 v[51:52], v33, v[30:31]
	v_sub_u32_e32 v30, 29, v32
	v_and_b32_e32 v32, 7, v51
	v_cndmask_b32_e32 v23, v23, v30, vcc
	v_mov_b32_e32 v30, 24
	v_cndmask_b32_e32 v22, v22, v32, vcc
	v_lshlrev_b32_sdwa v2, v30, v2 dst_sel:DWORD dst_unused:UNUSED_PAD src0_sel:DWORD src1_sel:BYTE_3
	v_lshlrev_b32_e32 v22, 20, v22
	v_and_b32_e32 v2, 0x80000000, v2
	v_lshl_add_u32 v23, v23, 23, v5
	v_or3_b32 v51, v2, v23, v22
.LBB4_8384:                             ;   in Loop: Header=BB4_7828 Depth=3
	s_or_b64 exec, exec, s[38:39]
.LBB4_8385:                             ;   in Loop: Header=BB4_7828 Depth=3
	s_or_b64 exec, exec, s[42:43]
.LBB4_8386:                             ;   in Loop: Header=BB4_7828 Depth=3
	s_or_b64 exec, exec, s[40:41]
	v_bfe_u32 v22, v9, 24, 3
	v_ffbh_u32_e32 v32, v22
	v_min_u32_e32 v32, 32, v32
	v_lshrrev_b32_e32 v2, 24, v9
	v_subrev_u32_e32 v33, 28, v32
	v_lshlrev_b64 v[52:53], v33, v[2:3]
	v_bfe_u32 v23, v9, 24, 7
	v_bfe_u32 v30, v2, 3, 4
	v_sub_u32_e32 v32, 29, v32
	v_and_b32_e32 v33, 7, v52
	v_cmp_gt_u32_e32 vcc, 8, v23
	v_cndmask_b32_e32 v30, v30, v32, vcc
	v_cndmask_b32_e32 v22, v22, v33, vcc
	v_lshlrev_b32_e32 v22, 20, v22
	v_and_b32_e32 v32, 0x80000000, v9
	v_lshl_add_u32 v30, v30, 23, v5
	v_or3_b32 v22, v32, v30, v22
	v_cmp_ne_u32_e32 vcc, s68, v23
	v_mov_b32_e32 v23, 0x7f800001
	v_cndmask_b32_e32 v22, v23, v22, vcc
	v_cmp_ne_u32_e32 vcc, s70, v2
	v_bfrev_b32_e32 v2, 1
	v_cndmask_b32_e32 v2, v2, v22, vcc
	v_cmp_lt_u64_e32 vcc, s[56:57], v[8:9]
                                        ; implicit-def: $vgpr30
	v_cndmask_b32_e32 v2, 0, v2, vcc
	v_add_f32_e32 v8, v2, v51
	v_and_b32_e32 v2, 0x7f800000, v8
	v_cmp_ne_u64_e32 vcc, s[62:63], v[2:3]
	s_and_saveexec_b64 s[40:41], vcc
	s_xor_b64 s[42:43], exec, s[40:41]
	s_cbranch_execz .LBB4_8400
; %bb.8387:                             ;   in Loop: Header=BB4_7828 Depth=3
	v_and_b32_e32 v2, 0x7fffffff, v8
	v_cmp_gt_u64_e32 vcc, s[72:73], v[2:3]
	v_and_b32_sdwa v51, v8, s70 dst_sel:DWORD dst_unused:UNUSED_PAD src0_sel:BYTE_3 src1_sel:DWORD
                                        ; implicit-def: $vgpr30
	s_and_saveexec_b64 s[40:41], vcc
	s_xor_b64 s[38:39], exec, s[40:41]
	s_cbranch_execz .LBB4_8397
; %bb.8388:                             ;   in Loop: Header=BB4_7828 Depth=3
	v_mov_b32_e32 v30, 0
	v_cmp_ne_u32_e32 vcc, 0, v8
	s_and_saveexec_b64 s[48:49], vcc
	s_cbranch_execz .LBB4_8396
; %bb.8389:                             ;   in Loop: Header=BB4_7828 Depth=3
	v_bfe_u32 v30, v8, 23, 8
	v_and_b32_e32 v2, 0x7fffff, v8
	v_cmp_gt_u32_e64 s[40:41], s71, v30
	v_sub_u32_e32 v8, 0x79, v30
	v_cmp_eq_u32_e32 vcc, 0, v30
	v_cndmask_b32_e64 v8, 0, v8, s[40:41]
	v_mov_b32_e32 v22, 0x78
	v_cndmask_b32_e32 v52, v8, v22, vcc
	v_or_b32_e32 v9, 0x800000, v2
	v_add_u32_e32 v8, 20, v52
	v_cndmask_b32_e32 v2, v9, v2, vcc
	v_lshlrev_b64 v[8:9], v8, -1
	v_add_u32_e32 v22, 19, v52
	v_lshlrev_b64 v[53:54], v22, 1
	v_bfi_b32 v9, v9, 0, 0
	v_bfi_b32 v8, v8, 0, v2
	v_cmp_eq_u64_e64 s[40:41], v[8:9], v[53:54]
	v_lshrrev_b64 v[8:9], v52, v[2:3]
	v_mov_b32_e32 v45, v9
	v_mov_b32_e32 v44, v8
	s_and_saveexec_b64 s[50:51], s[40:41]
; %bb.8390:                             ;   in Loop: Header=BB4_7828 Depth=3
	v_bfe_u32 v2, v8, 20, 1
	v_add_co_u32_e64 v2, s[40:41], v8, v2
	v_add_co_u32_e64 v44, s[40:41], -1, v2
; %bb.8391:                             ;   in Loop: Header=BB4_7828 Depth=3
	s_or_b64 exec, exec, s[50:51]
	v_add_u32_e32 v2, 0xffffff81, v30
	v_mov_b32_e32 v9, 0xffffff82
	v_cndmask_b32_e32 v2, v2, v9, vcc
	v_lshrrev_b32_e32 v9, 23, v8
	v_add3_u32 v53, v52, v2, v9
	v_add_u32_e32 v52, 6, v53
	v_and_b32_e32 v2, 0xfffff, v44
	v_add_u32_e32 v2, v2, v8
	v_cmp_ne_u32_e32 vcc, 0, v52
                                        ; implicit-def: $vgpr8_vgpr9
                                        ; implicit-def: $vgpr30
	s_and_saveexec_b64 s[40:41], vcc
	s_xor_b64 s[40:41], exec, s[40:41]
; %bb.8392:                             ;   in Loop: Header=BB4_7828 Depth=3
	v_cmp_lt_u64_e32 vcc, s[74:75], v[2:3]
	v_add_u32_e32 v8, 7, v53
	v_cndmask_b32_e32 v30, v52, v8, vcc
	v_cndmask_b32_e64 v8, 0, 1, vcc
	v_lshrrev_b64 v[8:9], v8, v[2:3]
; %bb.8393:                             ;   in Loop: Header=BB4_7828 Depth=3
	s_andn2_saveexec_b64 s[40:41], s[40:41]
; %bb.8394:                             ;   in Loop: Header=BB4_7828 Depth=3
	v_mov_b32_e32 v9, v3
	v_mov_b32_e32 v8, v2
	v_bfe_u32 v30, v2, 23, 1
; %bb.8395:                             ;   in Loop: Header=BB4_7828 Depth=3
	s_or_b64 exec, exec, s[40:41]
	v_lshrrev_b64 v[8:9], 20, v[8:9]
	v_cmp_gt_i32_e32 vcc, 16, v30
	v_cndmask_b32_e32 v9, 0, v9, vcc
	v_cndmask_b32_e32 v8, 7, v8, vcc
	v_min_i32_e32 v2, 15, v30
	v_cmp_eq_u64_e64 s[40:41], 0, v[8:9]
	v_lshlrev_b32_e32 v2, 3, v2
	v_cmp_eq_u32_e32 vcc, 0, v30
	v_and_b32_e32 v2, 0xf8, v2
	v_and_or_b32 v2, v8, 7, v2
	s_and_b64 s[40:41], vcc, s[40:41]
	v_cndmask_b32_e64 v2, v2, 0, s[40:41]
	v_or_b32_e32 v30, v2, v51
.LBB4_8396:                             ;   in Loop: Header=BB4_7828 Depth=3
	s_or_b64 exec, exec, s[48:49]
                                        ; implicit-def: $vgpr51
.LBB4_8397:                             ;   in Loop: Header=BB4_7828 Depth=3
	s_andn2_saveexec_b64 s[40:41], s[38:39]
; %bb.8398:                             ;   in Loop: Header=BB4_7828 Depth=3
	v_or_b32_e32 v30, 0x7e, v51
; %bb.8399:                             ;   in Loop: Header=BB4_7828 Depth=3
	s_or_b64 exec, exec, s[40:41]
                                        ; implicit-def: $vgpr8
.LBB4_8400:                             ;   in Loop: Header=BB4_7828 Depth=3
	s_andn2_saveexec_b64 s[40:41], s[42:43]
; %bb.8401:                             ;   in Loop: Header=BB4_7828 Depth=3
	v_or_b32_sdwa v30, v8, s68 dst_sel:DWORD dst_unused:UNUSED_PAD src0_sel:BYTE_3 src1_sel:DWORD
; %bb.8402:                             ;   in Loop: Header=BB4_7828 Depth=3
	s_or_b64 exec, exec, s[40:41]
	v_lshl_or_b32 v36, v36, 8, v24
	v_lshlrev_b32_e32 v2, 16, v39
	v_lshlrev_b32_e32 v8, 24, v49
	v_or3_b32 v2, v2, v8, v36
	v_cmp_ne_u32_e32 vcc, 0, v24
	v_mov_b32_e32 v8, 0
	s_and_saveexec_b64 s[40:41], vcc
	s_cbranch_execz .LBB4_8408
; %bb.8403:                             ;   in Loop: Header=BB4_7828 Depth=3
	v_cmp_ne_u32_e32 vcc, s70, v24
	v_bfrev_b32_e32 v8, 1
	s_and_saveexec_b64 s[42:43], vcc
	s_cbranch_execz .LBB4_8407
; %bb.8404:                             ;   in Loop: Header=BB4_7828 Depth=3
	v_and_b32_e32 v9, 0x7f, v24
	v_cmp_ne_u32_e32 vcc, s68, v9
	v_mov_b32_e32 v8, 0x7f800001
	s_and_saveexec_b64 s[38:39], vcc
	s_cbranch_execz .LBB4_8406
; %bb.8405:                             ;   in Loop: Header=BB4_7828 Depth=3
	v_and_b32_e32 v8, 7, v24
	v_ffbh_u32_e32 v8, v8
	v_min_u32_e32 v8, 32, v8
	v_lshrrev_b32_e32 v22, 3, v9
	v_cmp_gt_u32_e32 vcc, 8, v9
	v_subrev_u32_e32 v9, 28, v8
	v_sub_u32_e32 v8, 29, v8
	v_cndmask_b32_e32 v22, v22, v8, vcc
	v_cndmask_b32_e32 v8, 0, v9, vcc
	v_lshlrev_b64 v[8:9], v8, v[2:3]
	v_lshlrev_b32_e32 v9, 24, v2
	v_lshlrev_b32_e32 v8, 20, v8
	v_and_b32_e32 v8, 0x700000, v8
	v_and_b32_e32 v9, 0x80000000, v9
	v_lshl_add_u32 v22, v22, 23, v5
	v_or3_b32 v8, v9, v22, v8
.LBB4_8406:                             ;   in Loop: Header=BB4_7828 Depth=3
	s_or_b64 exec, exec, s[38:39]
.LBB4_8407:                             ;   in Loop: Header=BB4_7828 Depth=3
	s_or_b64 exec, exec, s[42:43]
.LBB4_8408:                             ;   in Loop: Header=BB4_7828 Depth=3
	s_or_b64 exec, exec, s[40:41]
	v_cmp_gt_i16_sdwa s[42:43], v10, s68 src0_sel:BYTE_0 src1_sel:DWORD
	s_mov_b64 s[40:41], 0
	s_and_saveexec_b64 vcc, s[42:43]
	s_xor_b64 s[42:43], exec, vcc
	s_cbranch_execz .LBB4_8629
; %bb.8409:                             ;   in Loop: Header=BB4_7828 Depth=3
	v_cmp_eq_u16_sdwa s[38:39], v10, s70 src0_sel:BYTE_0 src1_sel:DWORD
	s_mov_b64 s[40:41], -1
	s_and_saveexec_b64 vcc, s[38:39]
; %bb.8410:                             ;   in Loop: Header=BB4_7828 Depth=3
	s_xor_b64 s[40:41], exec, -1
; %bb.8411:                             ;   in Loop: Header=BB4_7828 Depth=3
	s_or_b64 exec, exec, vcc
	s_and_b64 s[40:41], s[40:41], exec
	s_or_saveexec_b64 s[42:43], s[42:43]
	v_bfrev_b32_e32 v9, 1
	s_xor_b64 exec, exec, s[42:43]
	s_cbranch_execnz .LBB4_8630
.LBB4_8412:                             ;   in Loop: Header=BB4_7828 Depth=3
	s_or_b64 exec, exec, s[42:43]
	s_and_saveexec_b64 s[42:43], s[40:41]
	s_cbranch_execz .LBB4_8414
.LBB4_8413:                             ;   in Loop: Header=BB4_7828 Depth=3
	v_and_b32_e32 v9, 7, v10
	v_ffbh_u32_e32 v9, v9
	v_and_b32_e32 v22, 0x7f, v10
	v_min_u32_e32 v9, 32, v9
	v_bfe_u32 v23, v10, 3, 4
	v_subrev_u32_e32 v24, 28, v9
	v_sub_u32_e32 v9, 29, v9
	v_cmp_gt_u32_e32 vcc, 8, v22
	v_cndmask_b32_e32 v9, v23, v9, vcc
	v_cndmask_b32_e32 v23, 0, v24, vcc
	v_lshlrev_b64 v[51:52], v23, v[10:11]
	v_lshlrev_b32_e32 v24, 24, v10
	v_lshlrev_b32_e32 v23, 20, v51
	v_and_b32_e32 v23, 0x700000, v23
	v_and_b32_e32 v24, 0x80000000, v24
	v_lshl_add_u32 v9, v9, 23, v5
	v_or3_b32 v9, v24, v9, v23
	v_cmp_ne_u32_e32 vcc, s68, v22
	v_mov_b32_e32 v22, 0x7f800001
	v_cndmask_b32_e32 v9, v22, v9, vcc
.LBB4_8414:                             ;   in Loop: Header=BB4_7828 Depth=3
	s_or_b64 exec, exec, s[42:43]
	v_add_f32_e32 v8, v8, v9
	v_and_b32_e32 v51, 0x7f800000, v8
	v_mov_b32_e32 v52, v3
	v_cmp_ne_u64_e32 vcc, s[62:63], v[51:52]
                                        ; implicit-def: $vgpr24
	s_and_saveexec_b64 s[40:41], vcc
	s_xor_b64 s[42:43], exec, s[40:41]
	s_cbranch_execz .LBB4_8428
; %bb.8415:                             ;   in Loop: Header=BB4_7828 Depth=3
	v_and_b32_e32 v51, 0x7fffffff, v8
	v_mov_b32_e32 v52, v3
	v_cmp_gt_u64_e32 vcc, s[72:73], v[51:52]
	v_and_b32_sdwa v39, v8, s70 dst_sel:DWORD dst_unused:UNUSED_PAD src0_sel:BYTE_3 src1_sel:DWORD
                                        ; implicit-def: $vgpr24
	s_and_saveexec_b64 s[40:41], vcc
	s_xor_b64 s[38:39], exec, s[40:41]
	s_cbranch_execz .LBB4_8425
; %bb.8416:                             ;   in Loop: Header=BB4_7828 Depth=3
	v_mov_b32_e32 v24, 0
	v_cmp_ne_u32_e32 vcc, 0, v8
	s_and_saveexec_b64 s[48:49], vcc
	s_cbranch_execz .LBB4_8424
; %bb.8417:                             ;   in Loop: Header=BB4_7828 Depth=3
	v_bfe_u32 v24, v8, 23, 8
	v_and_b32_e32 v9, 0x7fffff, v8
	v_cmp_gt_u32_e64 s[40:41], s71, v24
	v_sub_u32_e32 v8, 0x79, v24
	v_cmp_eq_u32_e32 vcc, 0, v24
	v_cndmask_b32_e64 v8, 0, v8, s[40:41]
	v_mov_b32_e32 v23, 0x78
	v_or_b32_e32 v22, 0x800000, v9
	v_cndmask_b32_e32 v49, v8, v23, vcc
	v_cndmask_b32_e32 v8, v22, v9, vcc
	v_add_u32_e32 v22, 20, v49
	v_lshlrev_b64 v[51:52], v22, -1
	v_mov_b32_e32 v9, v3
	v_add_u32_e32 v22, 19, v49
	v_bfi_b32 v51, v51, 0, v8
	v_lshlrev_b64 v[53:54], v22, 1
	v_lshrrev_b64 v[8:9], v49, v[8:9]
	v_bfi_b32 v52, v52, 0, 0
	v_cmp_eq_u64_e64 s[40:41], v[51:52], v[53:54]
	v_mov_b32_e32 v45, v9
	v_mov_b32_e32 v44, v8
	s_and_saveexec_b64 s[50:51], s[40:41]
; %bb.8418:                             ;   in Loop: Header=BB4_7828 Depth=3
	v_bfe_u32 v9, v8, 20, 1
	v_add_co_u32_e64 v9, s[40:41], v8, v9
	v_add_co_u32_e64 v44, s[40:41], -1, v9
; %bb.8419:                             ;   in Loop: Header=BB4_7828 Depth=3
	s_or_b64 exec, exec, s[50:51]
	v_add_u32_e32 v9, 0xffffff81, v24
	v_mov_b32_e32 v22, 0xffffff82
	v_cndmask_b32_e32 v9, v9, v22, vcc
	v_lshrrev_b32_e32 v22, 23, v8
	v_add3_u32 v51, v49, v9, v22
	v_add_u32_e32 v49, 6, v51
	v_and_b32_e32 v9, 0xfffff, v44
	v_add_u32_e32 v8, v9, v8
	v_mov_b32_e32 v9, v3
	v_cmp_ne_u32_e32 vcc, 0, v49
                                        ; implicit-def: $vgpr24
	s_and_saveexec_b64 s[40:41], vcc
	s_xor_b64 s[40:41], exec, s[40:41]
; %bb.8420:                             ;   in Loop: Header=BB4_7828 Depth=3
	v_cmp_lt_u64_e32 vcc, s[74:75], v[8:9]
	v_add_u32_e32 v22, 7, v51
	v_cndmask_b32_e32 v24, v49, v22, vcc
	v_cndmask_b32_e64 v22, 0, 1, vcc
	v_lshrrev_b64 v[8:9], v22, v[8:9]
; %bb.8421:                             ;   in Loop: Header=BB4_7828 Depth=3
	s_andn2_saveexec_b64 s[40:41], s[40:41]
; %bb.8422:                             ;   in Loop: Header=BB4_7828 Depth=3
	v_bfe_u32 v24, v8, 23, 1
; %bb.8423:                             ;   in Loop: Header=BB4_7828 Depth=3
	s_or_b64 exec, exec, s[40:41]
	v_lshrrev_b64 v[8:9], 20, v[8:9]
	v_cmp_gt_i32_e32 vcc, 16, v24
	v_cndmask_b32_e32 v9, 0, v9, vcc
	v_cndmask_b32_e32 v8, 7, v8, vcc
	v_cmp_eq_u64_e64 s[40:41], 0, v[8:9]
	v_min_i32_e32 v9, 15, v24
	v_lshlrev_b32_e32 v9, 3, v9
	v_cmp_eq_u32_e32 vcc, 0, v24
	v_and_b32_e32 v9, 0xf8, v9
	v_and_or_b32 v8, v8, 7, v9
	s_and_b64 s[40:41], vcc, s[40:41]
	v_cndmask_b32_e64 v8, v8, 0, s[40:41]
	v_or_b32_e32 v24, v8, v39
.LBB4_8424:                             ;   in Loop: Header=BB4_7828 Depth=3
	s_or_b64 exec, exec, s[48:49]
                                        ; implicit-def: $vgpr39
.LBB4_8425:                             ;   in Loop: Header=BB4_7828 Depth=3
	s_andn2_saveexec_b64 s[40:41], s[38:39]
; %bb.8426:                             ;   in Loop: Header=BB4_7828 Depth=3
	v_or_b32_e32 v24, 0x7e, v39
; %bb.8427:                             ;   in Loop: Header=BB4_7828 Depth=3
	s_or_b64 exec, exec, s[40:41]
                                        ; implicit-def: $vgpr8
.LBB4_8428:                             ;   in Loop: Header=BB4_7828 Depth=3
	s_andn2_saveexec_b64 s[40:41], s[42:43]
; %bb.8429:                             ;   in Loop: Header=BB4_7828 Depth=3
	v_or_b32_sdwa v24, v8, s68 dst_sel:DWORD dst_unused:UNUSED_PAD src0_sel:BYTE_3 src1_sel:DWORD
; %bb.8430:                             ;   in Loop: Header=BB4_7828 Depth=3
	s_or_b64 exec, exec, s[40:41]
	v_lshrrev_b16_e32 v8, 8, v36
	v_cmp_ne_u16_e32 vcc, 0, v8
	v_mov_b32_e32 v39, 0
	s_and_saveexec_b64 s[40:41], vcc
	s_cbranch_execz .LBB4_8436
; %bb.8431:                             ;   in Loop: Header=BB4_7828 Depth=3
	v_cmp_ne_u16_e32 vcc, s70, v8
	v_bfrev_b32_e32 v39, 1
	s_and_saveexec_b64 s[42:43], vcc
	s_cbranch_execz .LBB4_8435
; %bb.8432:                             ;   in Loop: Header=BB4_7828 Depth=3
	v_and_b32_e32 v9, 0x7f, v8
	v_cmp_ne_u32_e32 vcc, s68, v9
	v_mov_b32_e32 v39, 0x7f800001
	s_and_saveexec_b64 s[38:39], vcc
	s_cbranch_execz .LBB4_8434
; %bb.8433:                             ;   in Loop: Header=BB4_7828 Depth=3
	v_and_b32_e32 v22, 7, v8
	v_lshrrev_b32_e32 v23, 3, v9
	v_cmp_gt_u32_e32 vcc, 8, v9
	v_ffbh_u32_e32 v9, v22
	v_min_u32_e32 v32, 32, v9
	v_subrev_u32_e32 v9, 28, v32
	v_lshlrev_b64 v[8:9], v9, v[8:9]
	v_sub_u32_e32 v9, 29, v32
	v_and_b32_e32 v8, 7, v8
	v_cndmask_b32_e32 v9, v23, v9, vcc
	v_cndmask_b32_e32 v8, v22, v8, vcc
	v_lshlrev_b32_e32 v22, 16, v36
	v_lshlrev_b32_e32 v8, 20, v8
	v_and_b32_e32 v22, 0x80000000, v22
	v_lshl_add_u32 v9, v9, 23, v5
	v_or3_b32 v39, v22, v9, v8
.LBB4_8434:                             ;   in Loop: Header=BB4_7828 Depth=3
	s_or_b64 exec, exec, s[38:39]
.LBB4_8435:                             ;   in Loop: Header=BB4_7828 Depth=3
	s_or_b64 exec, exec, s[42:43]
.LBB4_8436:                             ;   in Loop: Header=BB4_7828 Depth=3
	s_or_b64 exec, exec, s[40:41]
	v_lshrrev_b16_e32 v8, 8, v10
	v_cmp_lt_i16_e32 vcc, s68, v8
	s_mov_b64 s[40:41], 0
	s_and_saveexec_b64 s[42:43], vcc
	s_xor_b64 s[42:43], exec, s[42:43]
	s_cbranch_execz .LBB4_8631
; %bb.8437:                             ;   in Loop: Header=BB4_7828 Depth=3
	v_cmp_eq_u16_e32 vcc, s70, v8
	s_mov_b64 s[40:41], -1
	s_and_saveexec_b64 s[38:39], vcc
; %bb.8438:                             ;   in Loop: Header=BB4_7828 Depth=3
	s_xor_b64 s[40:41], exec, -1
; %bb.8439:                             ;   in Loop: Header=BB4_7828 Depth=3
	s_or_b64 exec, exec, s[38:39]
	s_and_b64 s[40:41], s[40:41], exec
	s_or_saveexec_b64 s[42:43], s[42:43]
	v_bfrev_b32_e32 v9, 1
	s_xor_b64 exec, exec, s[42:43]
	s_cbranch_execnz .LBB4_8632
.LBB4_8440:                             ;   in Loop: Header=BB4_7828 Depth=3
	s_or_b64 exec, exec, s[42:43]
	s_and_saveexec_b64 s[42:43], s[40:41]
	s_cbranch_execz .LBB4_8442
.LBB4_8441:                             ;   in Loop: Header=BB4_7828 Depth=3
	v_and_b32_e32 v22, 7, v8
	v_ffbh_u32_e32 v33, v22
	v_min_u32_e32 v33, 32, v33
	v_mov_b32_e32 v9, v3
	v_subrev_u32_e32 v36, 28, v33
	v_lshlrev_b64 v[51:52], v36, v[8:9]
	v_and_b32_e32 v23, 0x7f, v8
	v_bfe_u32 v32, v8, 3, 4
	v_sub_u32_e32 v9, 29, v33
	v_and_b32_e32 v33, 7, v51
	v_cmp_gt_u32_e32 vcc, 8, v23
	v_cndmask_b32_e32 v9, v32, v9, vcc
	v_cndmask_b32_e32 v22, v22, v33, vcc
	v_lshlrev_b32_e32 v8, 24, v8
	v_lshlrev_b32_e32 v22, 20, v22
	v_and_b32_e32 v8, 0x80000000, v8
	v_lshl_add_u32 v9, v9, 23, v5
	v_or3_b32 v8, v8, v9, v22
	v_cmp_ne_u32_e32 vcc, s68, v23
	v_mov_b32_e32 v9, 0x7f800001
	v_cndmask_b32_e32 v9, v9, v8, vcc
.LBB4_8442:                             ;   in Loop: Header=BB4_7828 Depth=3
	s_or_b64 exec, exec, s[42:43]
	v_add_f32_e32 v8, v39, v9
	v_and_b32_e32 v51, 0x7f800000, v8
	v_mov_b32_e32 v52, v3
	v_cmp_ne_u64_e32 vcc, s[62:63], v[51:52]
                                        ; implicit-def: $vgpr36
	s_and_saveexec_b64 s[40:41], vcc
	s_xor_b64 s[42:43], exec, s[40:41]
	s_cbranch_execz .LBB4_8456
; %bb.8443:                             ;   in Loop: Header=BB4_7828 Depth=3
	v_and_b32_e32 v51, 0x7fffffff, v8
	v_mov_b32_e32 v52, v3
	v_cmp_gt_u64_e32 vcc, s[72:73], v[51:52]
	v_and_b32_sdwa v39, v8, s70 dst_sel:DWORD dst_unused:UNUSED_PAD src0_sel:BYTE_3 src1_sel:DWORD
                                        ; implicit-def: $vgpr36
	s_and_saveexec_b64 s[40:41], vcc
	s_xor_b64 s[38:39], exec, s[40:41]
	s_cbranch_execz .LBB4_8453
; %bb.8444:                             ;   in Loop: Header=BB4_7828 Depth=3
	v_mov_b32_e32 v36, 0
	v_cmp_ne_u32_e32 vcc, 0, v8
	s_and_saveexec_b64 s[48:49], vcc
	s_cbranch_execz .LBB4_8452
; %bb.8445:                             ;   in Loop: Header=BB4_7828 Depth=3
	v_bfe_u32 v36, v8, 23, 8
	v_and_b32_e32 v9, 0x7fffff, v8
	v_cmp_gt_u32_e64 s[40:41], s71, v36
	v_sub_u32_e32 v8, 0x79, v36
	v_cmp_eq_u32_e32 vcc, 0, v36
	v_cndmask_b32_e64 v8, 0, v8, s[40:41]
	v_mov_b32_e32 v23, 0x78
	v_or_b32_e32 v22, 0x800000, v9
	v_cndmask_b32_e32 v49, v8, v23, vcc
	v_cndmask_b32_e32 v8, v22, v9, vcc
	v_add_u32_e32 v22, 20, v49
	v_lshlrev_b64 v[51:52], v22, -1
	v_mov_b32_e32 v9, v3
	v_add_u32_e32 v22, 19, v49
	v_bfi_b32 v51, v51, 0, v8
	v_lshlrev_b64 v[53:54], v22, 1
	v_lshrrev_b64 v[8:9], v49, v[8:9]
	v_bfi_b32 v52, v52, 0, 0
	v_cmp_eq_u64_e64 s[40:41], v[51:52], v[53:54]
	v_mov_b32_e32 v45, v9
	v_mov_b32_e32 v44, v8
	s_and_saveexec_b64 s[50:51], s[40:41]
; %bb.8446:                             ;   in Loop: Header=BB4_7828 Depth=3
	v_bfe_u32 v9, v8, 20, 1
	v_add_co_u32_e64 v9, s[40:41], v8, v9
	v_add_co_u32_e64 v44, s[40:41], -1, v9
; %bb.8447:                             ;   in Loop: Header=BB4_7828 Depth=3
	s_or_b64 exec, exec, s[50:51]
	v_add_u32_e32 v9, 0xffffff81, v36
	v_mov_b32_e32 v22, 0xffffff82
	v_cndmask_b32_e32 v9, v9, v22, vcc
	v_lshrrev_b32_e32 v22, 23, v8
	v_add3_u32 v51, v49, v9, v22
	v_add_u32_e32 v49, 6, v51
	v_and_b32_e32 v9, 0xfffff, v44
	v_add_u32_e32 v8, v9, v8
	v_mov_b32_e32 v9, v3
	v_cmp_ne_u32_e32 vcc, 0, v49
                                        ; implicit-def: $vgpr36
	s_and_saveexec_b64 s[40:41], vcc
	s_xor_b64 s[40:41], exec, s[40:41]
; %bb.8448:                             ;   in Loop: Header=BB4_7828 Depth=3
	v_cmp_lt_u64_e32 vcc, s[74:75], v[8:9]
	v_add_u32_e32 v22, 7, v51
	v_cndmask_b32_e32 v36, v49, v22, vcc
	v_cndmask_b32_e64 v22, 0, 1, vcc
	v_lshrrev_b64 v[8:9], v22, v[8:9]
; %bb.8449:                             ;   in Loop: Header=BB4_7828 Depth=3
	s_andn2_saveexec_b64 s[40:41], s[40:41]
; %bb.8450:                             ;   in Loop: Header=BB4_7828 Depth=3
	v_bfe_u32 v36, v8, 23, 1
; %bb.8451:                             ;   in Loop: Header=BB4_7828 Depth=3
	s_or_b64 exec, exec, s[40:41]
	v_lshrrev_b64 v[8:9], 20, v[8:9]
	v_cmp_gt_i32_e32 vcc, 16, v36
	v_cndmask_b32_e32 v9, 0, v9, vcc
	v_cndmask_b32_e32 v8, 7, v8, vcc
	v_cmp_eq_u64_e64 s[40:41], 0, v[8:9]
	v_min_i32_e32 v9, 15, v36
	v_lshlrev_b32_e32 v9, 3, v9
	v_cmp_eq_u32_e32 vcc, 0, v36
	v_and_b32_e32 v9, 0xf8, v9
	v_and_or_b32 v8, v8, 7, v9
	s_and_b64 s[40:41], vcc, s[40:41]
	v_cndmask_b32_e64 v8, v8, 0, s[40:41]
	v_or_b32_e32 v36, v8, v39
.LBB4_8452:                             ;   in Loop: Header=BB4_7828 Depth=3
	s_or_b64 exec, exec, s[48:49]
                                        ; implicit-def: $vgpr39
.LBB4_8453:                             ;   in Loop: Header=BB4_7828 Depth=3
	s_andn2_saveexec_b64 s[40:41], s[38:39]
; %bb.8454:                             ;   in Loop: Header=BB4_7828 Depth=3
	v_or_b32_e32 v36, 0x7e, v39
; %bb.8455:                             ;   in Loop: Header=BB4_7828 Depth=3
	s_or_b64 exec, exec, s[40:41]
                                        ; implicit-def: $vgpr8
.LBB4_8456:                             ;   in Loop: Header=BB4_7828 Depth=3
	s_andn2_saveexec_b64 s[40:41], s[42:43]
; %bb.8457:                             ;   in Loop: Header=BB4_7828 Depth=3
	v_or_b32_sdwa v36, v8, s68 dst_sel:DWORD dst_unused:UNUSED_PAD src0_sel:BYTE_3 src1_sel:DWORD
; %bb.8458:                             ;   in Loop: Header=BB4_7828 Depth=3
	s_or_b64 exec, exec, s[40:41]
	v_lshrrev_b32_e32 v8, 16, v2
	v_cmp_ne_u16_sdwa s[42:43], v8, v3 src0_sel:BYTE_0 src1_sel:DWORD
	v_mov_b32_e32 v9, 0
	s_and_saveexec_b64 s[40:41], s[42:43]
	s_cbranch_execz .LBB4_8464
; %bb.8459:                             ;   in Loop: Header=BB4_7828 Depth=3
	v_cmp_ne_u16_sdwa vcc, v8, s70 src0_sel:BYTE_0 src1_sel:DWORD
	v_bfrev_b32_e32 v9, 1
	s_and_saveexec_b64 s[42:43], vcc
	s_cbranch_execz .LBB4_8463
; %bb.8460:                             ;   in Loop: Header=BB4_7828 Depth=3
	v_bfe_u32 v39, v2, 16, 7
	v_cmp_ne_u32_e32 vcc, s68, v39
	v_mov_b32_e32 v9, 0x7f800001
	s_and_saveexec_b64 s[38:39], vcc
	s_cbranch_execz .LBB4_8462
; %bb.8461:                             ;   in Loop: Header=BB4_7828 Depth=3
	v_and_b32_e32 v9, 7, v8
	v_ffbh_u32_e32 v23, v9
	v_min_u32_e32 v23, 32, v23
	v_subrev_u32_e32 v32, 28, v23
	v_lshlrev_b64 v[51:52], v32, v[8:9]
	v_lshrrev_b32_e32 v22, 3, v39
	v_cmp_gt_u32_e32 vcc, 8, v39
	v_sub_u32_e32 v23, 29, v23
	v_and_b32_e32 v32, 7, v51
	v_cndmask_b32_e32 v22, v22, v23, vcc
	v_cndmask_b32_e32 v9, v9, v32, vcc
	v_lshlrev_b32_e32 v8, 24, v8
	v_lshlrev_b32_e32 v9, 20, v9
	v_and_b32_e32 v8, 0x80000000, v8
	v_lshl_add_u32 v22, v22, 23, v5
	v_or3_b32 v9, v8, v22, v9
.LBB4_8462:                             ;   in Loop: Header=BB4_7828 Depth=3
	s_or_b64 exec, exec, s[38:39]
.LBB4_8463:                             ;   in Loop: Header=BB4_7828 Depth=3
	s_or_b64 exec, exec, s[42:43]
.LBB4_8464:                             ;   in Loop: Header=BB4_7828 Depth=3
	s_or_b64 exec, exec, s[40:41]
	v_lshrrev_b32_e32 v8, 16, v10
	v_cmp_gt_i16_sdwa s[42:43], v8, s68 src0_sel:BYTE_0 src1_sel:DWORD
	s_mov_b64 s[40:41], 0
	s_and_saveexec_b64 vcc, s[42:43]
	s_xor_b64 s[42:43], exec, vcc
	s_cbranch_execz .LBB4_8633
; %bb.8465:                             ;   in Loop: Header=BB4_7828 Depth=3
	v_cmp_eq_u16_sdwa s[38:39], v8, s70 src0_sel:BYTE_0 src1_sel:DWORD
	s_mov_b64 s[40:41], -1
	s_and_saveexec_b64 vcc, s[38:39]
; %bb.8466:                             ;   in Loop: Header=BB4_7828 Depth=3
	s_xor_b64 s[40:41], exec, -1
; %bb.8467:                             ;   in Loop: Header=BB4_7828 Depth=3
	s_or_b64 exec, exec, vcc
	s_and_b64 s[40:41], s[40:41], exec
	s_or_saveexec_b64 s[42:43], s[42:43]
	v_bfrev_b32_e32 v39, 1
	s_xor_b64 exec, exec, s[42:43]
	s_cbranch_execnz .LBB4_8634
.LBB4_8468:                             ;   in Loop: Header=BB4_7828 Depth=3
	s_or_b64 exec, exec, s[42:43]
	s_and_saveexec_b64 s[42:43], s[40:41]
	s_cbranch_execz .LBB4_8470
.LBB4_8469:                             ;   in Loop: Header=BB4_7828 Depth=3
	v_and_b32_e32 v22, 7, v8
	v_ffbh_u32_e32 v33, v22
	v_min_u32_e32 v33, 32, v33
	v_subrev_u32_e32 v39, 28, v33
	v_lshlrev_b64 v[51:52], v39, v[8:9]
	v_and_b32_e32 v23, 0x7f, v8
	v_bfe_u32 v32, v8, 3, 4
	v_sub_u32_e32 v33, 29, v33
	v_and_b32_e32 v39, 7, v51
	v_cmp_gt_u32_e32 vcc, 8, v23
	v_cndmask_b32_e32 v32, v32, v33, vcc
	v_cndmask_b32_e32 v22, v22, v39, vcc
	v_lshlrev_b32_e32 v8, 24, v8
	v_lshlrev_b32_e32 v22, 20, v22
	v_and_b32_e32 v8, 0x80000000, v8
	v_lshl_add_u32 v32, v32, 23, v5
	v_or3_b32 v8, v8, v32, v22
	v_cmp_ne_u32_e32 vcc, s68, v23
	v_mov_b32_e32 v22, 0x7f800001
	v_cndmask_b32_e32 v39, v22, v8, vcc
.LBB4_8470:                             ;   in Loop: Header=BB4_7828 Depth=3
	s_or_b64 exec, exec, s[42:43]
	v_add_f32_e32 v8, v9, v39
	v_and_b32_e32 v51, 0x7f800000, v8
	v_mov_b32_e32 v52, v3
	v_cmp_ne_u64_e32 vcc, s[62:63], v[51:52]
                                        ; implicit-def: $vgpr39
	s_and_saveexec_b64 s[40:41], vcc
	s_xor_b64 s[42:43], exec, s[40:41]
	s_cbranch_execz .LBB4_8484
; %bb.8471:                             ;   in Loop: Header=BB4_7828 Depth=3
	v_and_b32_e32 v51, 0x7fffffff, v8
	v_mov_b32_e32 v52, v3
	v_cmp_gt_u64_e32 vcc, s[72:73], v[51:52]
	v_and_b32_sdwa v49, v8, s70 dst_sel:DWORD dst_unused:UNUSED_PAD src0_sel:BYTE_3 src1_sel:DWORD
                                        ; implicit-def: $vgpr39
	s_and_saveexec_b64 s[40:41], vcc
	s_xor_b64 s[38:39], exec, s[40:41]
	s_cbranch_execz .LBB4_8481
; %bb.8472:                             ;   in Loop: Header=BB4_7828 Depth=3
	v_mov_b32_e32 v39, 0
	v_cmp_ne_u32_e32 vcc, 0, v8
	s_and_saveexec_b64 s[48:49], vcc
	s_cbranch_execz .LBB4_8480
; %bb.8473:                             ;   in Loop: Header=BB4_7828 Depth=3
	v_bfe_u32 v39, v8, 23, 8
	v_and_b32_e32 v9, 0x7fffff, v8
	v_cmp_gt_u32_e64 s[40:41], s71, v39
	v_sub_u32_e32 v8, 0x79, v39
	v_cmp_eq_u32_e32 vcc, 0, v39
	v_cndmask_b32_e64 v8, 0, v8, s[40:41]
	v_mov_b32_e32 v23, 0x78
	v_or_b32_e32 v22, 0x800000, v9
	v_cndmask_b32_e32 v51, v8, v23, vcc
	v_cndmask_b32_e32 v8, v22, v9, vcc
	v_add_u32_e32 v22, 20, v51
	v_lshlrev_b64 v[52:53], v22, -1
	v_mov_b32_e32 v9, v3
	v_add_u32_e32 v22, 19, v51
	v_bfi_b32 v52, v52, 0, v8
	v_lshlrev_b64 v[54:55], v22, 1
	v_lshrrev_b64 v[8:9], v51, v[8:9]
	v_bfi_b32 v53, v53, 0, 0
	v_cmp_eq_u64_e64 s[40:41], v[52:53], v[54:55]
	v_mov_b32_e32 v45, v9
	v_mov_b32_e32 v44, v8
	s_and_saveexec_b64 s[50:51], s[40:41]
; %bb.8474:                             ;   in Loop: Header=BB4_7828 Depth=3
	v_bfe_u32 v9, v8, 20, 1
	v_add_co_u32_e64 v9, s[40:41], v8, v9
	v_add_co_u32_e64 v44, s[40:41], -1, v9
; %bb.8475:                             ;   in Loop: Header=BB4_7828 Depth=3
	s_or_b64 exec, exec, s[50:51]
	v_add_u32_e32 v9, 0xffffff81, v39
	v_mov_b32_e32 v22, 0xffffff82
	v_cndmask_b32_e32 v9, v9, v22, vcc
	v_lshrrev_b32_e32 v22, 23, v8
	v_add3_u32 v52, v51, v9, v22
	v_add_u32_e32 v51, 6, v52
	v_and_b32_e32 v9, 0xfffff, v44
	v_add_u32_e32 v8, v9, v8
	v_mov_b32_e32 v9, v3
	v_cmp_ne_u32_e32 vcc, 0, v51
                                        ; implicit-def: $vgpr39
	s_and_saveexec_b64 s[40:41], vcc
	s_xor_b64 s[40:41], exec, s[40:41]
; %bb.8476:                             ;   in Loop: Header=BB4_7828 Depth=3
	v_cmp_lt_u64_e32 vcc, s[74:75], v[8:9]
	v_add_u32_e32 v22, 7, v52
	v_cndmask_b32_e32 v39, v51, v22, vcc
	v_cndmask_b32_e64 v22, 0, 1, vcc
	v_lshrrev_b64 v[8:9], v22, v[8:9]
; %bb.8477:                             ;   in Loop: Header=BB4_7828 Depth=3
	s_andn2_saveexec_b64 s[40:41], s[40:41]
; %bb.8478:                             ;   in Loop: Header=BB4_7828 Depth=3
	v_bfe_u32 v39, v8, 23, 1
; %bb.8479:                             ;   in Loop: Header=BB4_7828 Depth=3
	s_or_b64 exec, exec, s[40:41]
	v_lshrrev_b64 v[8:9], 20, v[8:9]
	v_cmp_gt_i32_e32 vcc, 16, v39
	v_cndmask_b32_e32 v9, 0, v9, vcc
	v_cndmask_b32_e32 v8, 7, v8, vcc
	v_cmp_eq_u64_e64 s[40:41], 0, v[8:9]
	v_min_i32_e32 v9, 15, v39
	v_lshlrev_b32_e32 v9, 3, v9
	v_cmp_eq_u32_e32 vcc, 0, v39
	v_and_b32_e32 v9, 0xf8, v9
	v_and_or_b32 v8, v8, 7, v9
	s_and_b64 s[40:41], vcc, s[40:41]
	v_cndmask_b32_e64 v8, v8, 0, s[40:41]
	v_or_b32_e32 v39, v8, v49
.LBB4_8480:                             ;   in Loop: Header=BB4_7828 Depth=3
	s_or_b64 exec, exec, s[48:49]
                                        ; implicit-def: $vgpr49
.LBB4_8481:                             ;   in Loop: Header=BB4_7828 Depth=3
	s_andn2_saveexec_b64 s[40:41], s[38:39]
; %bb.8482:                             ;   in Loop: Header=BB4_7828 Depth=3
	v_or_b32_e32 v39, 0x7e, v49
; %bb.8483:                             ;   in Loop: Header=BB4_7828 Depth=3
	s_or_b64 exec, exec, s[40:41]
                                        ; implicit-def: $vgpr8
.LBB4_8484:                             ;   in Loop: Header=BB4_7828 Depth=3
	s_andn2_saveexec_b64 s[40:41], s[42:43]
; %bb.8485:                             ;   in Loop: Header=BB4_7828 Depth=3
	v_or_b32_sdwa v39, v8, s68 dst_sel:DWORD dst_unused:UNUSED_PAD src0_sel:BYTE_3 src1_sel:DWORD
; %bb.8486:                             ;   in Loop: Header=BB4_7828 Depth=3
	s_or_b64 exec, exec, s[40:41]
	v_cmp_lt_u32_e32 vcc, s57, v2
	v_mov_b32_e32 v9, 0
	s_and_saveexec_b64 s[40:41], vcc
	s_cbranch_execz .LBB4_8492
; %bb.8487:                             ;   in Loop: Header=BB4_7828 Depth=3
	v_lshrrev_b32_e32 v8, 24, v2
	v_cmp_ne_u32_sdwa vcc, v2, s70 src0_sel:BYTE_3 src1_sel:DWORD
	v_bfrev_b32_e32 v9, 1
	s_and_saveexec_b64 s[42:43], vcc
	s_cbranch_execz .LBB4_8491
; %bb.8488:                             ;   in Loop: Header=BB4_7828 Depth=3
	v_bfe_u32 v49, v2, 24, 7
	v_cmp_ne_u32_e32 vcc, s68, v49
	v_mov_b32_e32 v9, 0x7f800001
	s_and_saveexec_b64 s[38:39], vcc
	s_cbranch_execz .LBB4_8490
; %bb.8489:                             ;   in Loop: Header=BB4_7828 Depth=3
	v_and_b32_e32 v22, 7, v8
	v_ffbh_u32_e32 v9, v22
	v_min_u32_e32 v32, 32, v9
	v_subrev_u32_e32 v9, 28, v32
	v_lshlrev_b64 v[8:9], v9, v[8:9]
	v_cmp_gt_u32_e32 vcc, 8, v49
	v_and_b32_e32 v8, 7, v8
	v_lshrrev_b32_e32 v23, 3, v49
	v_sub_u32_e32 v9, 29, v32
	v_cndmask_b32_e32 v8, v22, v8, vcc
	v_mov_b32_e32 v22, 24
	v_cndmask_b32_e32 v9, v23, v9, vcc
	v_lshlrev_b32_sdwa v2, v22, v2 dst_sel:DWORD dst_unused:UNUSED_PAD src0_sel:DWORD src1_sel:BYTE_3
	v_lshlrev_b32_e32 v8, 20, v8
	v_and_b32_e32 v2, 0x80000000, v2
	v_lshl_add_u32 v9, v9, 23, v5
	v_or3_b32 v9, v2, v9, v8
.LBB4_8490:                             ;   in Loop: Header=BB4_7828 Depth=3
	s_or_b64 exec, exec, s[38:39]
.LBB4_8491:                             ;   in Loop: Header=BB4_7828 Depth=3
	s_or_b64 exec, exec, s[42:43]
.LBB4_8492:                             ;   in Loop: Header=BB4_7828 Depth=3
	s_or_b64 exec, exec, s[40:41]
	v_bfe_u32 v8, v10, 24, 3
	v_ffbh_u32_e32 v32, v8
	v_min_u32_e32 v32, 32, v32
	v_lshrrev_b32_e32 v2, 24, v10
	v_subrev_u32_e32 v33, 28, v32
	v_lshlrev_b64 v[51:52], v33, v[2:3]
	v_bfe_u32 v22, v10, 24, 7
	v_bfe_u32 v23, v2, 3, 4
	v_sub_u32_e32 v32, 29, v32
	v_and_b32_e32 v33, 7, v51
	v_cmp_gt_u32_e32 vcc, 8, v22
	v_cndmask_b32_e32 v23, v23, v32, vcc
	v_cndmask_b32_e32 v8, v8, v33, vcc
	v_lshlrev_b32_e32 v8, 20, v8
	v_and_b32_e32 v32, 0x80000000, v10
	v_lshl_add_u32 v23, v23, 23, v5
	v_or3_b32 v8, v32, v23, v8
	v_cmp_ne_u32_e32 vcc, s68, v22
	v_mov_b32_e32 v22, 0x7f800001
	v_cndmask_b32_e32 v8, v22, v8, vcc
	v_cmp_ne_u32_e32 vcc, s70, v2
	v_bfrev_b32_e32 v2, 1
	v_cndmask_b32_e32 v2, v2, v8, vcc
	v_cmp_lt_u32_e32 vcc, s57, v10
	v_cndmask_b32_e32 v2, 0, v2, vcc
	v_add_f32_e32 v8, v2, v9
	v_and_b32_e32 v2, 0x7f800000, v8
	v_cmp_ne_u64_e32 vcc, s[62:63], v[2:3]
                                        ; implicit-def: $vgpr49
	s_and_saveexec_b64 s[40:41], vcc
	s_xor_b64 s[42:43], exec, s[40:41]
	s_cbranch_execz .LBB4_8506
; %bb.8493:                             ;   in Loop: Header=BB4_7828 Depth=3
	v_and_b32_e32 v2, 0x7fffffff, v8
	v_cmp_gt_u64_e32 vcc, s[72:73], v[2:3]
	v_and_b32_sdwa v51, v8, s70 dst_sel:DWORD dst_unused:UNUSED_PAD src0_sel:BYTE_3 src1_sel:DWORD
                                        ; implicit-def: $vgpr49
	s_and_saveexec_b64 s[40:41], vcc
	s_xor_b64 s[38:39], exec, s[40:41]
	s_cbranch_execz .LBB4_8503
; %bb.8494:                             ;   in Loop: Header=BB4_7828 Depth=3
	v_mov_b32_e32 v49, 0
	v_cmp_ne_u32_e32 vcc, 0, v8
	s_and_saveexec_b64 s[48:49], vcc
	s_cbranch_execz .LBB4_8502
; %bb.8495:                             ;   in Loop: Header=BB4_7828 Depth=3
	v_bfe_u32 v49, v8, 23, 8
	v_and_b32_e32 v2, 0x7fffff, v8
	v_cmp_gt_u32_e64 s[40:41], s71, v49
	v_sub_u32_e32 v8, 0x79, v49
	v_cmp_eq_u32_e32 vcc, 0, v49
	v_cndmask_b32_e64 v8, 0, v8, s[40:41]
	v_mov_b32_e32 v22, 0x78
	v_cndmask_b32_e32 v52, v8, v22, vcc
	v_or_b32_e32 v9, 0x800000, v2
	v_add_u32_e32 v8, 20, v52
	v_cndmask_b32_e32 v2, v9, v2, vcc
	v_lshlrev_b64 v[8:9], v8, -1
	v_add_u32_e32 v22, 19, v52
	v_lshlrev_b64 v[53:54], v22, 1
	v_bfi_b32 v9, v9, 0, 0
	v_bfi_b32 v8, v8, 0, v2
	v_cmp_eq_u64_e64 s[40:41], v[8:9], v[53:54]
	v_lshrrev_b64 v[8:9], v52, v[2:3]
	v_mov_b32_e32 v45, v9
	v_mov_b32_e32 v44, v8
	s_and_saveexec_b64 s[50:51], s[40:41]
; %bb.8496:                             ;   in Loop: Header=BB4_7828 Depth=3
	v_bfe_u32 v2, v8, 20, 1
	v_add_co_u32_e64 v2, s[40:41], v8, v2
	v_add_co_u32_e64 v44, s[40:41], -1, v2
; %bb.8497:                             ;   in Loop: Header=BB4_7828 Depth=3
	s_or_b64 exec, exec, s[50:51]
	v_add_u32_e32 v2, 0xffffff81, v49
	v_mov_b32_e32 v9, 0xffffff82
	v_cndmask_b32_e32 v2, v2, v9, vcc
	v_lshrrev_b32_e32 v9, 23, v8
	v_add3_u32 v53, v52, v2, v9
	v_add_u32_e32 v52, 6, v53
	v_and_b32_e32 v2, 0xfffff, v44
	v_add_u32_e32 v2, v2, v8
	v_cmp_ne_u32_e32 vcc, 0, v52
                                        ; implicit-def: $vgpr8_vgpr9
                                        ; implicit-def: $vgpr49
	s_and_saveexec_b64 s[40:41], vcc
	s_xor_b64 s[40:41], exec, s[40:41]
; %bb.8498:                             ;   in Loop: Header=BB4_7828 Depth=3
	v_cmp_lt_u64_e32 vcc, s[74:75], v[2:3]
	v_add_u32_e32 v8, 7, v53
	v_cndmask_b32_e32 v49, v52, v8, vcc
	v_cndmask_b32_e64 v8, 0, 1, vcc
	v_lshrrev_b64 v[8:9], v8, v[2:3]
; %bb.8499:                             ;   in Loop: Header=BB4_7828 Depth=3
	s_andn2_saveexec_b64 s[40:41], s[40:41]
; %bb.8500:                             ;   in Loop: Header=BB4_7828 Depth=3
	v_mov_b32_e32 v9, v3
	v_mov_b32_e32 v8, v2
	v_bfe_u32 v49, v2, 23, 1
; %bb.8501:                             ;   in Loop: Header=BB4_7828 Depth=3
	s_or_b64 exec, exec, s[40:41]
	v_lshrrev_b64 v[8:9], 20, v[8:9]
	v_cmp_gt_i32_e32 vcc, 16, v49
	v_cndmask_b32_e32 v9, 0, v9, vcc
	v_cndmask_b32_e32 v8, 7, v8, vcc
	v_min_i32_e32 v2, 15, v49
	v_cmp_eq_u64_e64 s[40:41], 0, v[8:9]
	v_lshlrev_b32_e32 v2, 3, v2
	v_cmp_eq_u32_e32 vcc, 0, v49
	v_and_b32_e32 v2, 0xf8, v2
	v_and_or_b32 v2, v8, 7, v2
	s_and_b64 s[40:41], vcc, s[40:41]
	v_cndmask_b32_e64 v2, v2, 0, s[40:41]
	v_or_b32_e32 v49, v2, v51
.LBB4_8502:                             ;   in Loop: Header=BB4_7828 Depth=3
	s_or_b64 exec, exec, s[48:49]
                                        ; implicit-def: $vgpr51
.LBB4_8503:                             ;   in Loop: Header=BB4_7828 Depth=3
	s_andn2_saveexec_b64 s[40:41], s[38:39]
; %bb.8504:                             ;   in Loop: Header=BB4_7828 Depth=3
	v_or_b32_e32 v49, 0x7e, v51
; %bb.8505:                             ;   in Loop: Header=BB4_7828 Depth=3
	s_or_b64 exec, exec, s[40:41]
                                        ; implicit-def: $vgpr8
.LBB4_8506:                             ;   in Loop: Header=BB4_7828 Depth=3
	s_andn2_saveexec_b64 s[40:41], s[42:43]
; %bb.8507:                             ;   in Loop: Header=BB4_7828 Depth=3
	v_or_b32_sdwa v49, v8, s68 dst_sel:DWORD dst_unused:UNUSED_PAD src0_sel:BYTE_3 src1_sel:DWORD
; %bb.8508:                             ;   in Loop: Header=BB4_7828 Depth=3
	s_or_b64 exec, exec, s[40:41]
	v_lshlrev_b32_e32 v2, 24, v37
	v_lshlrev_b32_e32 v8, 16, v29
	v_lshl_or_b32 v25, v25, 8, v17
	v_or3_b32 v2, v8, v2, v25
	v_cmp_ne_u32_e32 vcc, 0, v17
	v_mov_b32_e32 v29, 0
	s_and_saveexec_b64 s[40:41], vcc
	s_cbranch_execz .LBB4_8514
; %bb.8509:                             ;   in Loop: Header=BB4_7828 Depth=3
	v_cmp_ne_u32_e32 vcc, s70, v17
	v_bfrev_b32_e32 v29, 1
	s_and_saveexec_b64 s[42:43], vcc
	s_cbranch_execz .LBB4_8513
; %bb.8510:                             ;   in Loop: Header=BB4_7828 Depth=3
	v_and_b32_e32 v8, 0x7f, v17
	v_cmp_ne_u32_e32 vcc, s68, v8
	v_mov_b32_e32 v29, 0x7f800001
	s_and_saveexec_b64 s[38:39], vcc
	s_cbranch_execz .LBB4_8512
; %bb.8511:                             ;   in Loop: Header=BB4_7828 Depth=3
	v_and_b32_e32 v9, 7, v17
	v_lshrrev_b32_e32 v17, 3, v8
	v_cmp_gt_u32_e32 vcc, 8, v8
	v_ffbh_u32_e32 v8, v9
	v_min_u32_e32 v8, 32, v8
	v_subrev_u32_e32 v9, 28, v8
	v_sub_u32_e32 v8, 29, v8
	v_cndmask_b32_e32 v17, v17, v8, vcc
	v_cndmask_b32_e32 v8, 0, v9, vcc
	v_lshlrev_b64 v[8:9], v8, v[2:3]
	v_lshlrev_b32_e32 v9, 24, v2
	v_lshlrev_b32_e32 v8, 20, v8
	v_and_b32_e32 v8, 0x700000, v8
	v_and_b32_e32 v9, 0x80000000, v9
	v_lshl_add_u32 v17, v17, 23, v5
	v_or3_b32 v29, v9, v17, v8
.LBB4_8512:                             ;   in Loop: Header=BB4_7828 Depth=3
	s_or_b64 exec, exec, s[38:39]
.LBB4_8513:                             ;   in Loop: Header=BB4_7828 Depth=3
	s_or_b64 exec, exec, s[42:43]
.LBB4_8514:                             ;   in Loop: Header=BB4_7828 Depth=3
	s_or_b64 exec, exec, s[40:41]
	v_cmp_gt_i16_sdwa s[42:43], v11, s68 src0_sel:BYTE_0 src1_sel:DWORD
	s_mov_b64 s[40:41], 0
	s_and_saveexec_b64 vcc, s[42:43]
	s_xor_b64 s[42:43], exec, vcc
	s_cbranch_execz .LBB4_8518
; %bb.8515:                             ;   in Loop: Header=BB4_7828 Depth=3
	v_cmp_eq_u16_sdwa s[38:39], v11, s70 src0_sel:BYTE_0 src1_sel:DWORD
	s_mov_b64 s[40:41], -1
	s_and_saveexec_b64 vcc, s[38:39]
; %bb.8516:                             ;   in Loop: Header=BB4_7828 Depth=3
	s_xor_b64 s[40:41], exec, -1
; %bb.8517:                             ;   in Loop: Header=BB4_7828 Depth=3
	s_or_b64 exec, exec, vcc
	s_and_b64 s[40:41], s[40:41], exec
.LBB4_8518:                             ;   in Loop: Header=BB4_7828 Depth=3
	s_or_saveexec_b64 s[42:43], s[42:43]
	v_bfrev_b32_e32 v17, 1
	s_xor_b64 exec, exec, s[42:43]
; %bb.8519:                             ;   in Loop: Header=BB4_7828 Depth=3
	v_cmp_ne_u16_sdwa vcc, v11, v3 src0_sel:BYTE_0 src1_sel:DWORD
	s_andn2_b64 s[40:41], s[40:41], exec
	s_and_b64 vcc, vcc, exec
	v_mov_b32_e32 v17, 0
	s_or_b64 s[40:41], s[40:41], vcc
; %bb.8520:                             ;   in Loop: Header=BB4_7828 Depth=3
	s_or_b64 exec, exec, s[42:43]
	v_mov_b32_e32 v8, v11
	v_mov_b32_e32 v9, v3
	s_and_saveexec_b64 s[42:43], s[40:41]
	s_cbranch_execz .LBB4_8522
; %bb.8521:                             ;   in Loop: Header=BB4_7828 Depth=3
	v_and_b32_e32 v17, 7, v11
	v_ffbh_u32_e32 v17, v17
	v_and_b32_e32 v22, 0x7f, v11
	v_min_u32_e32 v17, 32, v17
	v_bfe_u32 v23, v11, 3, 4
	v_subrev_u32_e32 v32, 28, v17
	v_sub_u32_e32 v17, 29, v17
	v_cmp_gt_u32_e32 vcc, 8, v22
	v_cndmask_b32_e32 v17, v23, v17, vcc
	v_cndmask_b32_e32 v23, 0, v32, vcc
	v_lshlrev_b64 v[51:52], v23, v[8:9]
	v_lshlrev_b32_e32 v23, 24, v8
	v_lshlrev_b32_e32 v9, 20, v51
	v_and_b32_e32 v9, 0x700000, v9
	v_and_b32_e32 v23, 0x80000000, v23
	v_lshl_add_u32 v17, v17, 23, v5
	v_or3_b32 v9, v23, v17, v9
	v_cmp_ne_u32_e32 vcc, s68, v22
	v_mov_b32_e32 v17, 0x7f800001
	v_cndmask_b32_e32 v17, v17, v9, vcc
.LBB4_8522:                             ;   in Loop: Header=BB4_7828 Depth=3
	s_or_b64 exec, exec, s[42:43]
	v_add_f32_e32 v29, v29, v17
	v_and_b32_e32 v51, 0x7f800000, v29
	v_mov_b32_e32 v52, v3
	v_cmp_ne_u64_e32 vcc, s[62:63], v[51:52]
                                        ; implicit-def: $vgpr17
	s_and_saveexec_b64 s[40:41], vcc
	s_xor_b64 s[42:43], exec, s[40:41]
	s_cbranch_execz .LBB4_8536
; %bb.8523:                             ;   in Loop: Header=BB4_7828 Depth=3
	v_and_b32_e32 v51, 0x7fffffff, v29
	v_mov_b32_e32 v52, v3
	v_cmp_gt_u64_e32 vcc, s[72:73], v[51:52]
	v_and_b32_sdwa v9, v29, s70 dst_sel:DWORD dst_unused:UNUSED_PAD src0_sel:BYTE_3 src1_sel:DWORD
                                        ; implicit-def: $vgpr17
	s_and_saveexec_b64 s[40:41], vcc
	s_xor_b64 s[38:39], exec, s[40:41]
	s_cbranch_execz .LBB4_8533
; %bb.8524:                             ;   in Loop: Header=BB4_7828 Depth=3
	v_mov_b32_e32 v17, 0
	v_cmp_ne_u32_e32 vcc, 0, v29
	s_and_saveexec_b64 s[48:49], vcc
	s_cbranch_execz .LBB4_8532
; %bb.8525:                             ;   in Loop: Header=BB4_7828 Depth=3
	v_bfe_u32 v17, v29, 23, 8
	v_cmp_gt_u32_e64 s[40:41], s71, v17
	v_sub_u32_e32 v23, 0x79, v17
	v_and_b32_e32 v22, 0x7fffff, v29
	v_cmp_eq_u32_e32 vcc, 0, v17
	v_cndmask_b32_e64 v23, 0, v23, s[40:41]
	v_mov_b32_e32 v29, 0x78
	v_or_b32_e32 v32, 0x800000, v22
	v_cndmask_b32_e32 v29, v23, v29, vcc
	v_cndmask_b32_e32 v51, v32, v22, vcc
	v_add_u32_e32 v22, 20, v29
	v_mov_b32_e32 v52, v3
	v_lshlrev_b64 v[53:54], v22, -1
	v_add_u32_e32 v22, 19, v29
	v_lshlrev_b64 v[40:41], v22, 1
	v_lshrrev_b64 v[44:45], v29, v[51:52]
	v_bfi_b32 v54, v54, 0, 0
	v_bfi_b32 v53, v53, 0, v51
	v_cmp_eq_u64_e64 s[40:41], v[53:54], v[40:41]
	v_mov_b32_e32 v46, v45
	v_mov_b32_e32 v45, v44
	s_and_saveexec_b64 s[50:51], s[40:41]
; %bb.8526:                             ;   in Loop: Header=BB4_7828 Depth=3
	v_bfe_u32 v22, v44, 20, 1
	v_add_co_u32_e64 v22, s[40:41], v44, v22
	v_add_co_u32_e64 v45, s[40:41], -1, v22
; %bb.8527:                             ;   in Loop: Header=BB4_7828 Depth=3
	s_or_b64 exec, exec, s[50:51]
	v_add_u32_e32 v17, 0xffffff81, v17
	v_mov_b32_e32 v22, 0xffffff82
	v_cndmask_b32_e32 v17, v17, v22, vcc
	v_lshrrev_b32_e32 v22, 23, v44
	v_add3_u32 v37, v29, v17, v22
	v_add_u32_e32 v29, 6, v37
	v_and_b32_e32 v17, 0xfffff, v45
	v_add_u32_e32 v44, v17, v44
	v_mov_b32_e32 v45, v3
	v_cmp_ne_u32_e32 vcc, 0, v29
                                        ; implicit-def: $vgpr17
	s_and_saveexec_b64 s[40:41], vcc
	s_xor_b64 s[40:41], exec, s[40:41]
; %bb.8528:                             ;   in Loop: Header=BB4_7828 Depth=3
	v_cmp_lt_u64_e32 vcc, s[74:75], v[44:45]
	v_add_u32_e32 v17, 7, v37
	v_cndmask_b32_e64 v22, 0, 1, vcc
	v_cndmask_b32_e32 v17, v29, v17, vcc
	v_lshrrev_b64 v[44:45], v22, v[44:45]
; %bb.8529:                             ;   in Loop: Header=BB4_7828 Depth=3
	s_andn2_saveexec_b64 s[40:41], s[40:41]
; %bb.8530:                             ;   in Loop: Header=BB4_7828 Depth=3
	v_bfe_u32 v17, v44, 23, 1
; %bb.8531:                             ;   in Loop: Header=BB4_7828 Depth=3
	s_or_b64 exec, exec, s[40:41]
	v_lshrrev_b64 v[51:52], 20, v[44:45]
	v_cmp_gt_i32_e32 vcc, 16, v17
	v_cndmask_b32_e32 v52, 0, v52, vcc
	v_cndmask_b32_e32 v51, 7, v51, vcc
	v_cmp_eq_u32_e32 vcc, 0, v17
	v_min_i32_e32 v17, 15, v17
	v_cmp_eq_u64_e64 s[40:41], 0, v[51:52]
	v_lshlrev_b32_e32 v17, 3, v17
	v_and_b32_e32 v17, 0xf8, v17
	v_and_or_b32 v17, v51, 7, v17
	s_and_b64 s[40:41], vcc, s[40:41]
	v_cndmask_b32_e64 v17, v17, 0, s[40:41]
	v_or_b32_e32 v17, v17, v9
.LBB4_8532:                             ;   in Loop: Header=BB4_7828 Depth=3
	s_or_b64 exec, exec, s[48:49]
                                        ; implicit-def: $vgpr9
.LBB4_8533:                             ;   in Loop: Header=BB4_7828 Depth=3
	s_andn2_saveexec_b64 s[40:41], s[38:39]
; %bb.8534:                             ;   in Loop: Header=BB4_7828 Depth=3
	v_or_b32_e32 v17, 0x7e, v9
; %bb.8535:                             ;   in Loop: Header=BB4_7828 Depth=3
	s_or_b64 exec, exec, s[40:41]
                                        ; implicit-def: $vgpr29
.LBB4_8536:                             ;   in Loop: Header=BB4_7828 Depth=3
	s_andn2_saveexec_b64 s[40:41], s[42:43]
; %bb.8537:                             ;   in Loop: Header=BB4_7828 Depth=3
	v_or_b32_sdwa v17, v29, s68 dst_sel:DWORD dst_unused:UNUSED_PAD src0_sel:BYTE_3 src1_sel:DWORD
; %bb.8538:                             ;   in Loop: Header=BB4_7828 Depth=3
	s_or_b64 exec, exec, s[40:41]
	v_lshrrev_b16_e32 v9, 8, v25
	v_cmp_ne_u16_e32 vcc, 0, v9
	v_mov_b32_e32 v29, 0
	s_and_saveexec_b64 s[40:41], vcc
	s_cbranch_execz .LBB4_8544
; %bb.8539:                             ;   in Loop: Header=BB4_7828 Depth=3
	v_cmp_ne_u16_e32 vcc, s70, v9
	v_bfrev_b32_e32 v29, 1
	s_and_saveexec_b64 s[42:43], vcc
	s_cbranch_execz .LBB4_8543
; %bb.8540:                             ;   in Loop: Header=BB4_7828 Depth=3
	v_and_b32_e32 v37, 0x7f, v9
	v_cmp_ne_u32_e32 vcc, s68, v37
	v_mov_b32_e32 v29, 0x7f800001
	s_and_saveexec_b64 s[38:39], vcc
	s_cbranch_execz .LBB4_8542
; %bb.8541:                             ;   in Loop: Header=BB4_7828 Depth=3
	v_and_b32_e32 v22, 7, v9
	v_ffbh_u32_e32 v29, v22
	v_min_u32_e32 v29, 32, v29
	v_subrev_u32_e32 v32, 28, v29
	v_lshlrev_b64 v[51:52], v32, v[9:10]
	v_lshrrev_b32_e32 v23, 3, v37
	v_cmp_gt_u32_e32 vcc, 8, v37
	v_sub_u32_e32 v9, 29, v29
	v_and_b32_e32 v29, 7, v51
	v_cndmask_b32_e32 v9, v23, v9, vcc
	v_cndmask_b32_e32 v22, v22, v29, vcc
	v_lshlrev_b32_e32 v23, 16, v25
	v_lshlrev_b32_e32 v22, 20, v22
	v_and_b32_e32 v23, 0x80000000, v23
	v_lshl_add_u32 v9, v9, 23, v5
	v_or3_b32 v29, v23, v9, v22
.LBB4_8542:                             ;   in Loop: Header=BB4_7828 Depth=3
	s_or_b64 exec, exec, s[38:39]
.LBB4_8543:                             ;   in Loop: Header=BB4_7828 Depth=3
	s_or_b64 exec, exec, s[42:43]
.LBB4_8544:                             ;   in Loop: Header=BB4_7828 Depth=3
	s_or_b64 exec, exec, s[40:41]
	v_lshrrev_b16_e32 v8, 8, v8
	v_cmp_lt_i16_e32 vcc, s68, v8
	s_mov_b64 s[40:41], 0
	s_and_saveexec_b64 s[42:43], vcc
	s_xor_b64 s[42:43], exec, s[42:43]
	s_cbranch_execz .LBB4_8635
; %bb.8545:                             ;   in Loop: Header=BB4_7828 Depth=3
	v_cmp_eq_u16_e32 vcc, s70, v8
	s_mov_b64 s[40:41], -1
	s_and_saveexec_b64 s[38:39], vcc
; %bb.8546:                             ;   in Loop: Header=BB4_7828 Depth=3
	s_xor_b64 s[40:41], exec, -1
; %bb.8547:                             ;   in Loop: Header=BB4_7828 Depth=3
	s_or_b64 exec, exec, s[38:39]
	s_and_b64 s[40:41], s[40:41], exec
	s_or_saveexec_b64 s[42:43], s[42:43]
	v_bfrev_b32_e32 v9, 1
	s_xor_b64 exec, exec, s[42:43]
	s_cbranch_execnz .LBB4_8636
.LBB4_8548:                             ;   in Loop: Header=BB4_7828 Depth=3
	s_or_b64 exec, exec, s[42:43]
	s_and_saveexec_b64 s[42:43], s[40:41]
	s_cbranch_execz .LBB4_8550
.LBB4_8549:                             ;   in Loop: Header=BB4_7828 Depth=3
	v_and_b32_e32 v22, 7, v8
	v_ffbh_u32_e32 v32, v22
	v_min_u32_e32 v32, 32, v32
	v_mov_b32_e32 v9, v3
	v_subrev_u32_e32 v33, 28, v32
	v_lshlrev_b64 v[51:52], v33, v[8:9]
	v_and_b32_e32 v23, 0x7f, v8
	v_bfe_u32 v25, v8, 3, 4
	v_sub_u32_e32 v9, 29, v32
	v_and_b32_e32 v32, 7, v51
	v_cmp_gt_u32_e32 vcc, 8, v23
	v_cndmask_b32_e32 v9, v25, v9, vcc
	v_cndmask_b32_e32 v22, v22, v32, vcc
	v_lshlrev_b32_e32 v8, 24, v8
	v_lshlrev_b32_e32 v22, 20, v22
	v_and_b32_e32 v8, 0x80000000, v8
	v_lshl_add_u32 v9, v9, 23, v5
	v_or3_b32 v8, v8, v9, v22
	v_cmp_ne_u32_e32 vcc, s68, v23
	v_mov_b32_e32 v9, 0x7f800001
	v_cndmask_b32_e32 v9, v9, v8, vcc
.LBB4_8550:                             ;   in Loop: Header=BB4_7828 Depth=3
	s_or_b64 exec, exec, s[42:43]
	v_add_f32_e32 v8, v29, v9
	v_and_b32_e32 v51, 0x7f800000, v8
	v_mov_b32_e32 v52, v3
	v_cmp_ne_u64_e32 vcc, s[62:63], v[51:52]
                                        ; implicit-def: $vgpr25
	s_and_saveexec_b64 s[40:41], vcc
	s_xor_b64 s[42:43], exec, s[40:41]
	s_cbranch_execz .LBB4_8564
; %bb.8551:                             ;   in Loop: Header=BB4_7828 Depth=3
	v_and_b32_e32 v51, 0x7fffffff, v8
	v_mov_b32_e32 v52, v3
	v_cmp_gt_u64_e32 vcc, s[72:73], v[51:52]
	v_and_b32_sdwa v29, v8, s70 dst_sel:DWORD dst_unused:UNUSED_PAD src0_sel:BYTE_3 src1_sel:DWORD
                                        ; implicit-def: $vgpr25
	s_and_saveexec_b64 s[40:41], vcc
	s_xor_b64 s[38:39], exec, s[40:41]
	s_cbranch_execz .LBB4_8561
; %bb.8552:                             ;   in Loop: Header=BB4_7828 Depth=3
	v_mov_b32_e32 v25, 0
	v_cmp_ne_u32_e32 vcc, 0, v8
	s_and_saveexec_b64 s[48:49], vcc
	s_cbranch_execz .LBB4_8560
; %bb.8553:                             ;   in Loop: Header=BB4_7828 Depth=3
	v_bfe_u32 v25, v8, 23, 8
	v_and_b32_e32 v9, 0x7fffff, v8
	v_cmp_gt_u32_e64 s[40:41], s71, v25
	v_sub_u32_e32 v8, 0x79, v25
	v_cmp_eq_u32_e32 vcc, 0, v25
	v_cndmask_b32_e64 v8, 0, v8, s[40:41]
	v_mov_b32_e32 v23, 0x78
	v_or_b32_e32 v22, 0x800000, v9
	v_cndmask_b32_e32 v37, v8, v23, vcc
	v_cndmask_b32_e32 v8, v22, v9, vcc
	v_add_u32_e32 v22, 20, v37
	v_lshlrev_b64 v[51:52], v22, -1
	v_mov_b32_e32 v9, v3
	v_add_u32_e32 v22, 19, v37
	v_bfi_b32 v51, v51, 0, v8
	v_lshlrev_b64 v[53:54], v22, 1
	v_lshrrev_b64 v[8:9], v37, v[8:9]
	v_bfi_b32 v52, v52, 0, 0
	v_cmp_eq_u64_e64 s[40:41], v[51:52], v[53:54]
	v_mov_b32_e32 v45, v9
	v_mov_b32_e32 v44, v8
	s_and_saveexec_b64 s[50:51], s[40:41]
; %bb.8554:                             ;   in Loop: Header=BB4_7828 Depth=3
	v_bfe_u32 v9, v8, 20, 1
	v_add_co_u32_e64 v9, s[40:41], v8, v9
	v_add_co_u32_e64 v44, s[40:41], -1, v9
; %bb.8555:                             ;   in Loop: Header=BB4_7828 Depth=3
	s_or_b64 exec, exec, s[50:51]
	v_add_u32_e32 v9, 0xffffff81, v25
	v_mov_b32_e32 v22, 0xffffff82
	v_cndmask_b32_e32 v9, v9, v22, vcc
	v_lshrrev_b32_e32 v22, 23, v8
	v_add3_u32 v51, v37, v9, v22
	v_add_u32_e32 v37, 6, v51
	v_and_b32_e32 v9, 0xfffff, v44
	v_add_u32_e32 v8, v9, v8
	v_mov_b32_e32 v9, v3
	v_cmp_ne_u32_e32 vcc, 0, v37
                                        ; implicit-def: $vgpr25
	s_and_saveexec_b64 s[40:41], vcc
	s_xor_b64 s[40:41], exec, s[40:41]
; %bb.8556:                             ;   in Loop: Header=BB4_7828 Depth=3
	v_cmp_lt_u64_e32 vcc, s[74:75], v[8:9]
	v_add_u32_e32 v22, 7, v51
	v_cndmask_b32_e32 v25, v37, v22, vcc
	v_cndmask_b32_e64 v22, 0, 1, vcc
	v_lshrrev_b64 v[8:9], v22, v[8:9]
; %bb.8557:                             ;   in Loop: Header=BB4_7828 Depth=3
	s_andn2_saveexec_b64 s[40:41], s[40:41]
; %bb.8558:                             ;   in Loop: Header=BB4_7828 Depth=3
	v_bfe_u32 v25, v8, 23, 1
; %bb.8559:                             ;   in Loop: Header=BB4_7828 Depth=3
	s_or_b64 exec, exec, s[40:41]
	v_lshrrev_b64 v[8:9], 20, v[8:9]
	v_cmp_gt_i32_e32 vcc, 16, v25
	v_cndmask_b32_e32 v9, 0, v9, vcc
	v_cndmask_b32_e32 v8, 7, v8, vcc
	v_cmp_eq_u64_e64 s[40:41], 0, v[8:9]
	v_min_i32_e32 v9, 15, v25
	v_lshlrev_b32_e32 v9, 3, v9
	v_cmp_eq_u32_e32 vcc, 0, v25
	v_and_b32_e32 v9, 0xf8, v9
	v_and_or_b32 v8, v8, 7, v9
	s_and_b64 s[40:41], vcc, s[40:41]
	v_cndmask_b32_e64 v8, v8, 0, s[40:41]
	v_or_b32_e32 v25, v8, v29
.LBB4_8560:                             ;   in Loop: Header=BB4_7828 Depth=3
	s_or_b64 exec, exec, s[48:49]
                                        ; implicit-def: $vgpr29
.LBB4_8561:                             ;   in Loop: Header=BB4_7828 Depth=3
	s_andn2_saveexec_b64 s[40:41], s[38:39]
; %bb.8562:                             ;   in Loop: Header=BB4_7828 Depth=3
	v_or_b32_e32 v25, 0x7e, v29
; %bb.8563:                             ;   in Loop: Header=BB4_7828 Depth=3
	s_or_b64 exec, exec, s[40:41]
                                        ; implicit-def: $vgpr8
.LBB4_8564:                             ;   in Loop: Header=BB4_7828 Depth=3
	s_andn2_saveexec_b64 s[40:41], s[42:43]
; %bb.8565:                             ;   in Loop: Header=BB4_7828 Depth=3
	v_or_b32_sdwa v25, v8, s68 dst_sel:DWORD dst_unused:UNUSED_PAD src0_sel:BYTE_3 src1_sel:DWORD
; %bb.8566:                             ;   in Loop: Header=BB4_7828 Depth=3
	s_or_b64 exec, exec, s[40:41]
	v_lshrrev_b32_e32 v8, 16, v2
	v_cmp_ne_u16_sdwa s[42:43], v8, v3 src0_sel:BYTE_0 src1_sel:DWORD
	v_mov_b32_e32 v9, 0
	s_and_saveexec_b64 s[40:41], s[42:43]
	s_cbranch_execz .LBB4_8572
; %bb.8567:                             ;   in Loop: Header=BB4_7828 Depth=3
	v_cmp_ne_u16_sdwa vcc, v8, s70 src0_sel:BYTE_0 src1_sel:DWORD
	v_bfrev_b32_e32 v9, 1
	s_and_saveexec_b64 s[42:43], vcc
	s_cbranch_execz .LBB4_8571
; %bb.8568:                             ;   in Loop: Header=BB4_7828 Depth=3
	v_bfe_u32 v29, v2, 16, 7
	v_cmp_ne_u32_e32 vcc, s68, v29
	v_mov_b32_e32 v9, 0x7f800001
	s_and_saveexec_b64 s[38:39], vcc
	s_cbranch_execz .LBB4_8570
; %bb.8569:                             ;   in Loop: Header=BB4_7828 Depth=3
	v_and_b32_e32 v9, 7, v8
	v_ffbh_u32_e32 v23, v9
	v_min_u32_e32 v23, 32, v23
	v_lshrrev_b32_e32 v22, 3, v29
	v_cmp_gt_u32_e32 vcc, 8, v29
	v_subrev_u32_e32 v29, 28, v23
	v_lshlrev_b64 v[51:52], v29, v[8:9]
	v_sub_u32_e32 v23, 29, v23
	v_and_b32_e32 v29, 7, v51
	v_cndmask_b32_e32 v22, v22, v23, vcc
	v_cndmask_b32_e32 v9, v9, v29, vcc
	v_lshlrev_b32_e32 v8, 24, v8
	v_lshlrev_b32_e32 v9, 20, v9
	v_and_b32_e32 v8, 0x80000000, v8
	v_lshl_add_u32 v22, v22, 23, v5
	v_or3_b32 v9, v8, v22, v9
.LBB4_8570:                             ;   in Loop: Header=BB4_7828 Depth=3
	s_or_b64 exec, exec, s[38:39]
.LBB4_8571:                             ;   in Loop: Header=BB4_7828 Depth=3
	s_or_b64 exec, exec, s[42:43]
.LBB4_8572:                             ;   in Loop: Header=BB4_7828 Depth=3
	s_or_b64 exec, exec, s[40:41]
	v_lshrrev_b32_e32 v8, 16, v11
	v_cmp_gt_i16_sdwa s[42:43], v8, s68 src0_sel:BYTE_0 src1_sel:DWORD
	s_mov_b64 s[40:41], 0
	s_and_saveexec_b64 vcc, s[42:43]
	s_xor_b64 s[42:43], exec, vcc
	s_cbranch_execz .LBB4_8637
; %bb.8573:                             ;   in Loop: Header=BB4_7828 Depth=3
	v_cmp_eq_u16_sdwa s[38:39], v8, s70 src0_sel:BYTE_0 src1_sel:DWORD
	s_mov_b64 s[40:41], -1
	s_and_saveexec_b64 vcc, s[38:39]
; %bb.8574:                             ;   in Loop: Header=BB4_7828 Depth=3
	s_xor_b64 s[40:41], exec, -1
; %bb.8575:                             ;   in Loop: Header=BB4_7828 Depth=3
	s_or_b64 exec, exec, vcc
	s_and_b64 s[40:41], s[40:41], exec
	s_or_saveexec_b64 s[42:43], s[42:43]
	v_bfrev_b32_e32 v29, 1
	s_xor_b64 exec, exec, s[42:43]
	s_cbranch_execnz .LBB4_8638
.LBB4_8576:                             ;   in Loop: Header=BB4_7828 Depth=3
	s_or_b64 exec, exec, s[42:43]
	s_and_saveexec_b64 s[42:43], s[40:41]
	s_cbranch_execz .LBB4_8578
.LBB4_8577:                             ;   in Loop: Header=BB4_7828 Depth=3
	v_and_b32_e32 v22, 7, v8
	v_ffbh_u32_e32 v32, v22
	v_min_u32_e32 v32, 32, v32
	v_subrev_u32_e32 v33, 28, v32
	v_lshlrev_b64 v[51:52], v33, v[8:9]
	v_and_b32_e32 v23, 0x7f, v8
	v_bfe_u32 v29, v8, 3, 4
	v_sub_u32_e32 v32, 29, v32
	v_and_b32_e32 v33, 7, v51
	v_cmp_gt_u32_e32 vcc, 8, v23
	v_cndmask_b32_e32 v29, v29, v32, vcc
	v_cndmask_b32_e32 v22, v22, v33, vcc
	v_lshlrev_b32_e32 v8, 24, v8
	v_lshlrev_b32_e32 v22, 20, v22
	v_and_b32_e32 v8, 0x80000000, v8
	v_lshl_add_u32 v29, v29, 23, v5
	v_or3_b32 v8, v8, v29, v22
	v_cmp_ne_u32_e32 vcc, s68, v23
	v_mov_b32_e32 v22, 0x7f800001
	v_cndmask_b32_e32 v29, v22, v8, vcc
.LBB4_8578:                             ;   in Loop: Header=BB4_7828 Depth=3
	s_or_b64 exec, exec, s[42:43]
	v_add_f32_e32 v8, v9, v29
	v_and_b32_e32 v51, 0x7f800000, v8
	v_mov_b32_e32 v52, v3
	v_cmp_ne_u64_e32 vcc, s[62:63], v[51:52]
                                        ; implicit-def: $vgpr29
	s_and_saveexec_b64 s[40:41], vcc
	s_xor_b64 s[42:43], exec, s[40:41]
	s_cbranch_execz .LBB4_8592
; %bb.8579:                             ;   in Loop: Header=BB4_7828 Depth=3
	v_and_b32_e32 v51, 0x7fffffff, v8
	v_mov_b32_e32 v52, v3
	v_cmp_gt_u64_e32 vcc, s[72:73], v[51:52]
	v_and_b32_sdwa v37, v8, s70 dst_sel:DWORD dst_unused:UNUSED_PAD src0_sel:BYTE_3 src1_sel:DWORD
                                        ; implicit-def: $vgpr29
	s_and_saveexec_b64 s[40:41], vcc
	s_xor_b64 s[38:39], exec, s[40:41]
	s_cbranch_execz .LBB4_8589
; %bb.8580:                             ;   in Loop: Header=BB4_7828 Depth=3
	v_mov_b32_e32 v29, 0
	v_cmp_ne_u32_e32 vcc, 0, v8
	s_and_saveexec_b64 s[48:49], vcc
	s_cbranch_execz .LBB4_8588
; %bb.8581:                             ;   in Loop: Header=BB4_7828 Depth=3
	v_bfe_u32 v29, v8, 23, 8
	v_and_b32_e32 v9, 0x7fffff, v8
	v_cmp_gt_u32_e64 s[40:41], s71, v29
	v_sub_u32_e32 v8, 0x79, v29
	v_cmp_eq_u32_e32 vcc, 0, v29
	v_cndmask_b32_e64 v8, 0, v8, s[40:41]
	v_mov_b32_e32 v23, 0x78
	v_or_b32_e32 v22, 0x800000, v9
	v_cndmask_b32_e32 v51, v8, v23, vcc
	v_cndmask_b32_e32 v8, v22, v9, vcc
	v_add_u32_e32 v22, 20, v51
	v_lshlrev_b64 v[52:53], v22, -1
	v_mov_b32_e32 v9, v3
	v_add_u32_e32 v22, 19, v51
	v_bfi_b32 v52, v52, 0, v8
	v_lshlrev_b64 v[54:55], v22, 1
	v_lshrrev_b64 v[8:9], v51, v[8:9]
	v_bfi_b32 v53, v53, 0, 0
	v_cmp_eq_u64_e64 s[40:41], v[52:53], v[54:55]
	v_mov_b32_e32 v45, v9
	v_mov_b32_e32 v44, v8
	s_and_saveexec_b64 s[50:51], s[40:41]
; %bb.8582:                             ;   in Loop: Header=BB4_7828 Depth=3
	v_bfe_u32 v9, v8, 20, 1
	v_add_co_u32_e64 v9, s[40:41], v8, v9
	v_add_co_u32_e64 v44, s[40:41], -1, v9
; %bb.8583:                             ;   in Loop: Header=BB4_7828 Depth=3
	s_or_b64 exec, exec, s[50:51]
	v_add_u32_e32 v9, 0xffffff81, v29
	v_mov_b32_e32 v22, 0xffffff82
	v_cndmask_b32_e32 v9, v9, v22, vcc
	v_lshrrev_b32_e32 v22, 23, v8
	v_add3_u32 v52, v51, v9, v22
	v_add_u32_e32 v51, 6, v52
	v_and_b32_e32 v9, 0xfffff, v44
	v_add_u32_e32 v8, v9, v8
	v_mov_b32_e32 v9, v3
	v_cmp_ne_u32_e32 vcc, 0, v51
                                        ; implicit-def: $vgpr29
	s_and_saveexec_b64 s[40:41], vcc
	s_xor_b64 s[40:41], exec, s[40:41]
; %bb.8584:                             ;   in Loop: Header=BB4_7828 Depth=3
	v_cmp_lt_u64_e32 vcc, s[74:75], v[8:9]
	v_add_u32_e32 v22, 7, v52
	v_cndmask_b32_e32 v29, v51, v22, vcc
	v_cndmask_b32_e64 v22, 0, 1, vcc
	v_lshrrev_b64 v[8:9], v22, v[8:9]
; %bb.8585:                             ;   in Loop: Header=BB4_7828 Depth=3
	s_andn2_saveexec_b64 s[40:41], s[40:41]
; %bb.8586:                             ;   in Loop: Header=BB4_7828 Depth=3
	v_bfe_u32 v29, v8, 23, 1
; %bb.8587:                             ;   in Loop: Header=BB4_7828 Depth=3
	s_or_b64 exec, exec, s[40:41]
	v_lshrrev_b64 v[8:9], 20, v[8:9]
	v_cmp_gt_i32_e32 vcc, 16, v29
	v_cndmask_b32_e32 v9, 0, v9, vcc
	v_cndmask_b32_e32 v8, 7, v8, vcc
	v_cmp_eq_u64_e64 s[40:41], 0, v[8:9]
	v_min_i32_e32 v9, 15, v29
	v_lshlrev_b32_e32 v9, 3, v9
	v_cmp_eq_u32_e32 vcc, 0, v29
	v_and_b32_e32 v9, 0xf8, v9
	v_and_or_b32 v8, v8, 7, v9
	s_and_b64 s[40:41], vcc, s[40:41]
	v_cndmask_b32_e64 v8, v8, 0, s[40:41]
	v_or_b32_e32 v29, v8, v37
.LBB4_8588:                             ;   in Loop: Header=BB4_7828 Depth=3
	s_or_b64 exec, exec, s[48:49]
                                        ; implicit-def: $vgpr37
.LBB4_8589:                             ;   in Loop: Header=BB4_7828 Depth=3
	s_andn2_saveexec_b64 s[40:41], s[38:39]
; %bb.8590:                             ;   in Loop: Header=BB4_7828 Depth=3
	v_or_b32_e32 v29, 0x7e, v37
; %bb.8591:                             ;   in Loop: Header=BB4_7828 Depth=3
	s_or_b64 exec, exec, s[40:41]
                                        ; implicit-def: $vgpr8
.LBB4_8592:                             ;   in Loop: Header=BB4_7828 Depth=3
	s_andn2_saveexec_b64 s[40:41], s[42:43]
; %bb.8593:                             ;   in Loop: Header=BB4_7828 Depth=3
	v_or_b32_sdwa v29, v8, s68 dst_sel:DWORD dst_unused:UNUSED_PAD src0_sel:BYTE_3 src1_sel:DWORD
; %bb.8594:                             ;   in Loop: Header=BB4_7828 Depth=3
	s_or_b64 exec, exec, s[40:41]
	v_cmp_lt_u32_e32 vcc, s57, v2
	v_mov_b32_e32 v9, 0
	s_and_saveexec_b64 s[40:41], vcc
	s_cbranch_execz .LBB4_8600
; %bb.8595:                             ;   in Loop: Header=BB4_7828 Depth=3
	v_lshrrev_b32_e32 v8, 24, v2
	v_cmp_ne_u32_sdwa vcc, v2, s70 src0_sel:BYTE_3 src1_sel:DWORD
	v_bfrev_b32_e32 v9, 1
	s_and_saveexec_b64 s[42:43], vcc
	s_cbranch_execz .LBB4_8599
; %bb.8596:                             ;   in Loop: Header=BB4_7828 Depth=3
	v_bfe_u32 v37, v2, 24, 7
	v_cmp_ne_u32_e32 vcc, s68, v37
	v_mov_b32_e32 v9, 0x7f800001
	s_and_saveexec_b64 s[38:39], vcc
	s_cbranch_execz .LBB4_8598
; %bb.8597:                             ;   in Loop: Header=BB4_7828 Depth=3
	v_and_b32_e32 v22, 7, v8
	v_ffbh_u32_e32 v9, v22
	v_min_u32_e32 v32, 32, v9
	v_subrev_u32_e32 v9, 28, v32
	v_lshlrev_b64 v[8:9], v9, v[8:9]
	v_cmp_gt_u32_e32 vcc, 8, v37
	v_and_b32_e32 v8, 7, v8
	v_lshrrev_b32_e32 v23, 3, v37
	v_sub_u32_e32 v9, 29, v32
	v_cndmask_b32_e32 v8, v22, v8, vcc
	v_mov_b32_e32 v22, 24
	v_cndmask_b32_e32 v9, v23, v9, vcc
	v_lshlrev_b32_sdwa v2, v22, v2 dst_sel:DWORD dst_unused:UNUSED_PAD src0_sel:DWORD src1_sel:BYTE_3
	v_lshlrev_b32_e32 v8, 20, v8
	v_and_b32_e32 v2, 0x80000000, v2
	v_lshl_add_u32 v9, v9, 23, v5
	v_or3_b32 v9, v2, v9, v8
.LBB4_8598:                             ;   in Loop: Header=BB4_7828 Depth=3
	s_or_b64 exec, exec, s[38:39]
.LBB4_8599:                             ;   in Loop: Header=BB4_7828 Depth=3
	s_or_b64 exec, exec, s[42:43]
.LBB4_8600:                             ;   in Loop: Header=BB4_7828 Depth=3
	s_or_b64 exec, exec, s[40:41]
	v_bfe_u32 v8, v11, 24, 3
	v_ffbh_u32_e32 v32, v8
	v_min_u32_e32 v32, 32, v32
	v_lshrrev_b32_e32 v2, 24, v11
	v_subrev_u32_e32 v33, 28, v32
	v_lshlrev_b64 v[51:52], v33, v[2:3]
	v_bfe_u32 v22, v11, 24, 7
	v_bfe_u32 v23, v2, 3, 4
	v_sub_u32_e32 v32, 29, v32
	v_and_b32_e32 v33, 7, v51
	v_cmp_gt_u32_e32 vcc, 8, v22
	v_cndmask_b32_e32 v23, v23, v32, vcc
	v_cndmask_b32_e32 v8, v8, v33, vcc
	v_lshlrev_b32_e32 v8, 20, v8
	v_and_b32_e32 v32, 0x80000000, v11
	v_lshl_add_u32 v23, v23, 23, v5
	v_or3_b32 v8, v32, v23, v8
	v_cmp_ne_u32_e32 vcc, s68, v22
	v_mov_b32_e32 v22, 0x7f800001
	v_cndmask_b32_e32 v8, v22, v8, vcc
	v_cmp_ne_u32_e32 vcc, s70, v2
	v_bfrev_b32_e32 v2, 1
	v_cndmask_b32_e32 v2, v2, v8, vcc
	v_cmp_lt_u64_e32 vcc, s[56:57], v[10:11]
	v_cndmask_b32_e32 v2, 0, v2, vcc
	v_add_f32_e32 v8, v2, v9
	v_and_b32_e32 v2, 0x7f800000, v8
	v_cmp_ne_u64_e32 vcc, s[62:63], v[2:3]
                                        ; implicit-def: $vgpr2
	s_and_saveexec_b64 s[40:41], vcc
	s_xor_b64 s[42:43], exec, s[40:41]
	s_cbranch_execz .LBB4_8614
; %bb.8601:                             ;   in Loop: Header=BB4_7828 Depth=3
	v_and_b32_e32 v2, 0x7fffffff, v8
	v_cmp_gt_u64_e32 vcc, s[72:73], v[2:3]
	v_and_b32_sdwa v11, v8, s70 dst_sel:DWORD dst_unused:UNUSED_PAD src0_sel:BYTE_3 src1_sel:DWORD
                                        ; implicit-def: $vgpr2
	s_and_saveexec_b64 s[40:41], vcc
	s_xor_b64 s[38:39], exec, s[40:41]
	s_cbranch_execz .LBB4_8611
; %bb.8602:                             ;   in Loop: Header=BB4_7828 Depth=3
	v_mov_b32_e32 v2, 0
	v_cmp_ne_u32_e32 vcc, 0, v8
	s_and_saveexec_b64 s[48:49], vcc
	s_cbranch_execz .LBB4_8610
; %bb.8603:                             ;   in Loop: Header=BB4_7828 Depth=3
	v_bfe_u32 v37, v8, 23, 8
	v_and_b32_e32 v2, 0x7fffff, v8
	v_cmp_gt_u32_e64 s[40:41], s71, v37
	v_sub_u32_e32 v8, 0x79, v37
	v_cmp_eq_u32_e32 vcc, 0, v37
	v_cndmask_b32_e64 v8, 0, v8, s[40:41]
	v_mov_b32_e32 v10, 0x78
	v_cndmask_b32_e32 v51, v8, v10, vcc
	v_or_b32_e32 v9, 0x800000, v2
	v_add_u32_e32 v8, 20, v51
	v_cndmask_b32_e32 v2, v9, v2, vcc
	v_lshlrev_b64 v[8:9], v8, -1
	v_add_u32_e32 v10, 19, v51
	v_lshlrev_b64 v[52:53], v10, 1
	v_bfi_b32 v9, v9, 0, 0
	v_bfi_b32 v8, v8, 0, v2
	v_cmp_eq_u64_e64 s[40:41], v[8:9], v[52:53]
	v_lshrrev_b64 v[8:9], v51, v[2:3]
	v_mov_b32_e32 v10, v9
	v_mov_b32_e32 v9, v8
	s_and_saveexec_b64 s[50:51], s[40:41]
; %bb.8604:                             ;   in Loop: Header=BB4_7828 Depth=3
	v_bfe_u32 v2, v8, 20, 1
	v_add_co_u32_e64 v2, s[40:41], v8, v2
	v_add_co_u32_e64 v9, s[40:41], -1, v2
; %bb.8605:                             ;   in Loop: Header=BB4_7828 Depth=3
	s_or_b64 exec, exec, s[50:51]
	v_add_u32_e32 v2, 0xffffff81, v37
	v_mov_b32_e32 v10, 0xffffff82
	v_cndmask_b32_e32 v2, v2, v10, vcc
	v_lshrrev_b32_e32 v10, 23, v8
	v_add3_u32 v51, v51, v2, v10
	v_add_u32_e32 v37, 6, v51
	v_and_b32_e32 v2, 0xfffff, v9
	v_add_u32_e32 v2, v2, v8
	v_cmp_ne_u32_e32 vcc, 0, v37
                                        ; implicit-def: $vgpr8_vgpr9
                                        ; implicit-def: $vgpr10
	s_and_saveexec_b64 s[40:41], vcc
	s_xor_b64 s[40:41], exec, s[40:41]
; %bb.8606:                             ;   in Loop: Header=BB4_7828 Depth=3
	v_cmp_lt_u64_e32 vcc, s[74:75], v[2:3]
	v_add_u32_e32 v8, 7, v51
	v_cndmask_b32_e32 v10, v37, v8, vcc
	v_cndmask_b32_e64 v8, 0, 1, vcc
	v_lshrrev_b64 v[8:9], v8, v[2:3]
; %bb.8607:                             ;   in Loop: Header=BB4_7828 Depth=3
	s_andn2_saveexec_b64 s[40:41], s[40:41]
; %bb.8608:                             ;   in Loop: Header=BB4_7828 Depth=3
	v_mov_b32_e32 v9, v3
	v_mov_b32_e32 v8, v2
	v_bfe_u32 v10, v2, 23, 1
; %bb.8609:                             ;   in Loop: Header=BB4_7828 Depth=3
	s_or_b64 exec, exec, s[40:41]
	v_lshrrev_b64 v[8:9], 20, v[8:9]
	v_cmp_gt_i32_e32 vcc, 16, v10
	v_cndmask_b32_e32 v9, 0, v9, vcc
	v_cndmask_b32_e32 v8, 7, v8, vcc
	v_min_i32_e32 v2, 15, v10
	v_cmp_eq_u64_e64 s[40:41], 0, v[8:9]
	v_lshlrev_b32_e32 v2, 3, v2
	v_cmp_eq_u32_e32 vcc, 0, v10
	v_and_b32_e32 v2, 0xf8, v2
	v_and_or_b32 v2, v8, 7, v2
	s_and_b64 s[40:41], vcc, s[40:41]
	v_cndmask_b32_e64 v2, v2, 0, s[40:41]
	v_or_b32_e32 v2, v2, v11
.LBB4_8610:                             ;   in Loop: Header=BB4_7828 Depth=3
	s_or_b64 exec, exec, s[48:49]
                                        ; implicit-def: $vgpr11
.LBB4_8611:                             ;   in Loop: Header=BB4_7828 Depth=3
	s_andn2_saveexec_b64 s[40:41], s[38:39]
; %bb.8612:                             ;   in Loop: Header=BB4_7828 Depth=3
	v_or_b32_e32 v2, 0x7e, v11
; %bb.8613:                             ;   in Loop: Header=BB4_7828 Depth=3
	s_or_b64 exec, exec, s[40:41]
                                        ; implicit-def: $vgpr8
.LBB4_8614:                             ;   in Loop: Header=BB4_7828 Depth=3
	s_andn2_saveexec_b64 s[40:41], s[42:43]
; %bb.8615:                             ;   in Loop: Header=BB4_7828 Depth=3
	v_or_b32_sdwa v2, v8, s68 dst_sel:DWORD dst_unused:UNUSED_PAD src0_sel:BYTE_3 src1_sel:DWORD
; %bb.8616:                             ;   in Loop: Header=BB4_7828 Depth=3
	s_or_b64 exec, exec, s[40:41]
	v_lshl_or_b32 v8, v48, 8, v34
	v_lshlrev_b32_e32 v9, 16, v50
	v_lshlrev_b32_e32 v10, 24, v30
	v_or3_b32 v9, v8, v9, v10
	v_lshl_or_b32 v4, v21, 8, v4
	v_lshlrev_b32_e32 v8, 16, v28
	v_lshlrev_b32_e32 v10, 24, v38
	v_or3_b32 v8, v4, v8, v10
	v_lshl_or_b32 v4, v36, 8, v24
	v_lshlrev_b32_e32 v10, 16, v39
	v_lshlrev_b32_e32 v11, 24, v49
	v_or3_b32 v10, v4, v10, v11
	v_lshlrev_b32_e32 v2, 24, v2
	v_lshlrev_b32_e32 v4, 16, v29
	v_lshl_or_b32 v11, v25, 8, v17
	v_or3_b32 v11, v11, v4, v2
	s_mov_b64 s[48:49], 0
	s_mov_b64 s[38:39], -1
.LBB4_8617:                             ;   Parent Loop BB4_47 Depth=1
                                        ;     Parent Loop BB4_6132 Depth=2
                                        ;       Parent Loop BB4_7828 Depth=3
                                        ; =>      This Inner Loop Header: Depth=4
	s_cmp_eq_u32 s48, 1
	s_cselect_b64 s[40:41], -1, 0
	v_cndmask_b32_e64 v24, v20, v27, s[40:41]
	v_cndmask_b32_e64 v25, v26, v31, s[40:41]
	v_add_co_u32_e32 v2, vcc, 0x400, v24
	s_cmp_eq_u32 s48, 0
	v_addc_co_u32_e32 v4, vcc, 0, v25, vcc
	s_cselect_b64 vcc, -1, 0
	s_and_b64 s[42:43], exec, s[38:39]
	s_mov_b64 s[48:49], 1
	v_cndmask_b32_e64 v27, v27, v2, s[40:41]
	s_mov_b64 s[38:39], 0
	v_cndmask_b32_e64 v31, v31, v4, s[40:41]
	v_cndmask_b32_e32 v26, v26, v4, vcc
	v_cndmask_b32_e32 v20, v20, v2, vcc
	s_mov_b64 vcc, s[42:43]
	global_store_dwordx4 v[24:25], v[8:11], off glc slc
	s_cbranch_vccnz .LBB4_8617
; %bb.8618:                             ;   in Loop: Header=BB4_7828 Depth=3
	buffer_load_dword v2, off, s[0:3], s33 offset:188 ; 4-byte Folded Reload
	buffer_load_dword v4, off, s[0:3], s33 offset:192 ; 4-byte Folded Reload
	s_waitcnt vmcnt(1)
	v_add_co_u32_e32 v12, vcc, v12, v2
	s_waitcnt vmcnt(0)
	v_addc_co_u32_e32 v13, vcc, v13, v4, vcc
	v_add_co_u32_e32 v14, vcc, v14, v2
	buffer_load_dword v2, off, s[0:3], s33 offset:180 ; 4-byte Folded Reload
	v_addc_co_u32_e32 v15, vcc, v15, v4, vcc
	buffer_load_dword v4, off, s[0:3], s33 offset:184 ; 4-byte Folded Reload
	s_waitcnt vmcnt(1)
	v_add_co_u32_e32 v20, vcc, v20, v2
	s_waitcnt vmcnt(0)
	v_addc_co_u32_e32 v26, vcc, v26, v4, vcc
	v_add_co_u32_e32 v27, vcc, v27, v2
	buffer_load_dword v2, off, s[0:3], s33 offset:92 ; 4-byte Folded Reload
	v_addc_co_u32_e32 v31, vcc, v31, v4, vcc
	s_waitcnt vmcnt(0)
	v_sub_u32_e32 v18, v18, v2
	buffer_load_dword v2, off, s[0:3], s33 offset:88 ; 4-byte Folded Reload
	v_cmp_gt_i32_e32 vcc, 16, v18
	s_or_b64 s[36:37], vcc, s[36:37]
	s_waitcnt vmcnt(0)
	v_sub_u32_e32 v7, v7, v2
	s_andn2_b64 exec, exec, s[36:37]
	s_cbranch_execnz .LBB4_7828
	s_branch .LBB4_8639
.LBB4_8619:                             ;   in Loop: Header=BB4_7828 Depth=3
	s_or_saveexec_b64 s[42:43], s[42:43]
	v_bfrev_b32_e32 v4, 1
	s_xor_b64 exec, exec, s[42:43]
	s_cbranch_execz .LBB4_8198
.LBB4_8620:                             ;   in Loop: Header=BB4_7828 Depth=3
	v_cmp_ne_u16_sdwa vcc, v8, v3 src0_sel:BYTE_0 src1_sel:DWORD
	s_andn2_b64 s[40:41], s[40:41], exec
	s_and_b64 vcc, vcc, exec
	v_mov_b32_e32 v4, 0
	s_or_b64 s[40:41], s[40:41], vcc
	s_or_b64 exec, exec, s[42:43]
	s_and_saveexec_b64 s[42:43], s[40:41]
	s_cbranch_execnz .LBB4_8199
	s_branch .LBB4_8200
.LBB4_8621:                             ;   in Loop: Header=BB4_7828 Depth=3
	s_or_saveexec_b64 s[42:43], s[42:43]
	v_bfrev_b32_e32 v21, 1
	s_xor_b64 exec, exec, s[42:43]
	s_cbranch_execz .LBB4_8226
.LBB4_8622:                             ;   in Loop: Header=BB4_7828 Depth=3
	v_cmp_ne_u16_e32 vcc, 0, v44
	s_andn2_b64 s[40:41], s[40:41], exec
	s_and_b64 vcc, vcc, exec
	v_mov_b32_e32 v21, 0
	s_or_b64 s[40:41], s[40:41], vcc
	s_or_b64 exec, exec, s[42:43]
	s_and_saveexec_b64 s[42:43], s[40:41]
	s_cbranch_execnz .LBB4_8227
	s_branch .LBB4_8228
.LBB4_8623:                             ;   in Loop: Header=BB4_7828 Depth=3
	s_or_saveexec_b64 s[42:43], s[42:43]
	v_bfrev_b32_e32 v38, 1
	s_xor_b64 exec, exec, s[42:43]
	s_cbranch_execz .LBB4_8254
.LBB4_8624:                             ;   in Loop: Header=BB4_7828 Depth=3
	v_cmp_ne_u16_sdwa vcc, v30, v3 src0_sel:BYTE_0 src1_sel:DWORD
	s_andn2_b64 s[40:41], s[40:41], exec
	s_and_b64 vcc, vcc, exec
	v_mov_b32_e32 v38, 0
	s_or_b64 s[40:41], s[40:41], vcc
	s_or_b64 exec, exec, s[42:43]
	s_and_saveexec_b64 s[42:43], s[40:41]
	s_cbranch_execnz .LBB4_8255
	s_branch .LBB4_8256
.LBB4_8625:                             ;   in Loop: Header=BB4_7828 Depth=3
	s_or_saveexec_b64 s[42:43], s[42:43]
	v_bfrev_b32_e32 v30, 1
	s_xor_b64 exec, exec, s[42:43]
	s_cbranch_execz .LBB4_8334
.LBB4_8626:                             ;   in Loop: Header=BB4_7828 Depth=3
	v_cmp_ne_u16_e32 vcc, 0, v44
	s_andn2_b64 s[40:41], s[40:41], exec
	s_and_b64 vcc, vcc, exec
	v_mov_b32_e32 v30, 0
	s_or_b64 s[40:41], s[40:41], vcc
	s_or_b64 exec, exec, s[42:43]
	s_and_saveexec_b64 s[42:43], s[40:41]
	s_cbranch_execnz .LBB4_8335
	s_branch .LBB4_8336
.LBB4_8627:                             ;   in Loop: Header=BB4_7828 Depth=3
	s_or_saveexec_b64 s[42:43], s[42:43]
	v_bfrev_b32_e32 v51, 1
	s_xor_b64 exec, exec, s[42:43]
	s_cbranch_execz .LBB4_8362
.LBB4_8628:                             ;   in Loop: Header=BB4_7828 Depth=3
	v_cmp_ne_u16_sdwa vcc, v30, v3 src0_sel:BYTE_0 src1_sel:DWORD
	s_andn2_b64 s[40:41], s[40:41], exec
	s_and_b64 vcc, vcc, exec
	v_mov_b32_e32 v51, 0
	s_or_b64 s[40:41], s[40:41], vcc
	s_or_b64 exec, exec, s[42:43]
	s_and_saveexec_b64 s[42:43], s[40:41]
	s_cbranch_execnz .LBB4_8363
	s_branch .LBB4_8364
.LBB4_8629:                             ;   in Loop: Header=BB4_7828 Depth=3
	s_or_saveexec_b64 s[42:43], s[42:43]
	v_bfrev_b32_e32 v9, 1
	s_xor_b64 exec, exec, s[42:43]
	s_cbranch_execz .LBB4_8412
.LBB4_8630:                             ;   in Loop: Header=BB4_7828 Depth=3
	v_cmp_ne_u16_sdwa vcc, v10, v3 src0_sel:BYTE_0 src1_sel:DWORD
	s_andn2_b64 s[40:41], s[40:41], exec
	s_and_b64 vcc, vcc, exec
	v_mov_b32_e32 v9, 0
	s_or_b64 s[40:41], s[40:41], vcc
	s_or_b64 exec, exec, s[42:43]
	s_and_saveexec_b64 s[42:43], s[40:41]
	s_cbranch_execnz .LBB4_8413
	s_branch .LBB4_8414
.LBB4_8631:                             ;   in Loop: Header=BB4_7828 Depth=3
	s_or_saveexec_b64 s[42:43], s[42:43]
	v_bfrev_b32_e32 v9, 1
	s_xor_b64 exec, exec, s[42:43]
	s_cbranch_execz .LBB4_8440
.LBB4_8632:                             ;   in Loop: Header=BB4_7828 Depth=3
	v_cmp_ne_u16_e32 vcc, 0, v8
	s_andn2_b64 s[40:41], s[40:41], exec
	s_and_b64 vcc, vcc, exec
	v_mov_b32_e32 v9, 0
	s_or_b64 s[40:41], s[40:41], vcc
	s_or_b64 exec, exec, s[42:43]
	s_and_saveexec_b64 s[42:43], s[40:41]
	s_cbranch_execnz .LBB4_8441
	s_branch .LBB4_8442
.LBB4_8633:                             ;   in Loop: Header=BB4_7828 Depth=3
	s_or_saveexec_b64 s[42:43], s[42:43]
	v_bfrev_b32_e32 v39, 1
	s_xor_b64 exec, exec, s[42:43]
	s_cbranch_execz .LBB4_8468
.LBB4_8634:                             ;   in Loop: Header=BB4_7828 Depth=3
	v_cmp_ne_u16_sdwa vcc, v8, v3 src0_sel:BYTE_0 src1_sel:DWORD
	s_andn2_b64 s[40:41], s[40:41], exec
	s_and_b64 vcc, vcc, exec
	v_mov_b32_e32 v39, 0
	s_or_b64 s[40:41], s[40:41], vcc
	s_or_b64 exec, exec, s[42:43]
	s_and_saveexec_b64 s[42:43], s[40:41]
	s_cbranch_execnz .LBB4_8469
	s_branch .LBB4_8470
.LBB4_8635:                             ;   in Loop: Header=BB4_7828 Depth=3
	s_or_saveexec_b64 s[42:43], s[42:43]
	v_bfrev_b32_e32 v9, 1
	s_xor_b64 exec, exec, s[42:43]
	s_cbranch_execz .LBB4_8548
.LBB4_8636:                             ;   in Loop: Header=BB4_7828 Depth=3
	v_cmp_ne_u16_e32 vcc, 0, v8
	s_andn2_b64 s[40:41], s[40:41], exec
	s_and_b64 vcc, vcc, exec
	v_mov_b32_e32 v9, 0
	s_or_b64 s[40:41], s[40:41], vcc
	s_or_b64 exec, exec, s[42:43]
	s_and_saveexec_b64 s[42:43], s[40:41]
	s_cbranch_execnz .LBB4_8549
	s_branch .LBB4_8550
.LBB4_8637:                             ;   in Loop: Header=BB4_7828 Depth=3
	s_or_saveexec_b64 s[42:43], s[42:43]
	v_bfrev_b32_e32 v29, 1
	s_xor_b64 exec, exec, s[42:43]
	s_cbranch_execz .LBB4_8576
.LBB4_8638:                             ;   in Loop: Header=BB4_7828 Depth=3
	v_cmp_ne_u16_sdwa vcc, v8, v3 src0_sel:BYTE_0 src1_sel:DWORD
	s_andn2_b64 s[40:41], s[40:41], exec
	s_and_b64 vcc, vcc, exec
	v_mov_b32_e32 v29, 0
	s_or_b64 s[40:41], s[40:41], vcc
	s_or_b64 exec, exec, s[42:43]
	s_and_saveexec_b64 s[42:43], s[40:41]
	s_cbranch_execnz .LBB4_8577
	s_branch .LBB4_8578
.LBB4_8639:                             ;   in Loop: Header=BB4_6132 Depth=2
	s_or_b64 exec, exec, s[36:37]
.LBB4_8640:                             ;   in Loop: Header=BB4_6132 Depth=2
	s_or_b64 exec, exec, s[34:35]
	buffer_load_dword v2, off, s[0:3], s33 offset:228 ; 4-byte Folded Reload
	v_cmp_lt_i32_e32 vcc, 0, v7
	s_waitcnt vmcnt(0)
	v_and_b32_e32 v2, 15, v2
	v_sub_u32_e32 v4, v6, v2
	v_cndmask_b32_e64 v6, v6, v2, s[28:29]
	buffer_load_dword v2, off, s[0:3], s33 offset:88 ; 4-byte Folded Reload
	v_cndmask_b32_e64 v4, 0, v4, s[28:29]
	v_add3_u32 v1, v1, v16, v4
	s_waitcnt vmcnt(0)
	v_cndmask_b32_e32 v2, 0, v2, vcc
	v_sub_u32_e32 v2, v2, v7
	v_cmp_ne_u32_e32 vcc, 0, v6
	v_lshl_add_u32 v7, v2, 6, v0
	s_and_b64 s[28:29], vcc, exec
.LBB4_8641:                             ;   in Loop: Header=BB4_6132 Depth=2
	s_or_b64 exec, exec, s[30:31]
	s_and_saveexec_b64 s[42:43], s[28:29]
	s_cbranch_execz .LBB4_9648
.LBB4_8642:                             ;   in Loop: Header=BB4_6132 Depth=2
	s_waitcnt vmcnt(0)
	v_ashrrev_i32_e32 v0, 31, v7
	v_ashrrev_i32_e32 v4, 31, v6
	v_lshrrev_b32_e32 v0, 26, v0
	v_lshrrev_b32_e32 v4, 22, v4
	v_add_u32_e32 v2, v7, v0
	v_add_u32_e32 v4, v6, v4
	v_ashrrev_i32_e32 v0, 6, v2
	v_ashrrev_i32_e32 v18, 10, v4
	v_sub_u32_e32 v16, v18, v0
	v_cmp_lt_i32_e32 vcc, 0, v16
	s_and_saveexec_b64 s[40:41], vcc
	s_cbranch_execz .LBB4_9579
; %bb.8643:                             ;   in Loop: Header=BB4_6132 Depth=2
	buffer_load_dword v8, off, s[0:3], s33 offset:248 ; 4-byte Folded Reload
	buffer_load_dword v9, off, s[0:3], s33 offset:252 ; 4-byte Folded Reload
	buffer_load_dword v10, off, s[0:3], s33 offset:264 ; 4-byte Folded Reload
	buffer_load_dword v11, off, s[0:3], s33 offset:268 ; 4-byte Folded Reload
	s_trap 2
	ds_read_b64 v[14:15], v0
	buffer_load_dword v12, off, s[0:3], s33 offset:236 ; 4-byte Folded Reload
	buffer_load_dword v13, off, s[0:3], s33 offset:240 ; 4-byte Folded Reload
	v_and_b32_e32 v2, 0xffffffc0, v2
	v_sub_u32_e32 v2, v7, v2
	v_lshlrev_b32_e32 v4, 10, v0
	v_add3_u32 v2, v1, v2, v4
	v_ashrrev_i32_e32 v4, 31, v2
	s_mov_b64 s[30:31], 0
	s_waitcnt vmcnt(5)
	v_add_co_u32_e32 v8, vcc, v2, v8
	s_waitcnt vmcnt(4)
	v_addc_co_u32_e32 v9, vcc, v4, v9, vcc
	s_waitcnt vmcnt(3)
	v_add_co_u32_e32 v10, vcc, v2, v10
	s_waitcnt vmcnt(2)
	v_addc_co_u32_e32 v11, vcc, v4, v11, vcc
	;; [unrolled: 4-line block ×3, first 2 shown]
	s_waitcnt lgkmcnt(0)
	v_add_co_u32_e32 v14, vcc, v14, v2
	v_addc_co_u32_e32 v15, vcc, v15, v4, vcc
	s_branch .LBB4_8645
.LBB4_8644:                             ;   in Loop: Header=BB4_8645 Depth=3
	s_or_b64 exec, exec, s[28:29]
	flat_store_byte v[8:9], v20 glc slc
	flat_store_byte v[8:9], v30 offset:64 glc slc
	flat_store_byte v[8:9], v48 offset:128 glc slc
	;; [unrolled: 1-line block ×15, first 2 shown]
	flat_store_byte v[10:11], v20 glc slc
	flat_store_byte v[10:11], v30 offset:64 glc slc
	flat_store_byte v[10:11], v48 offset:128 glc slc
	;; [unrolled: 1-line block ×15, first 2 shown]
	buffer_load_dword v4, off, s[0:3], s33 offset:92 ; 4-byte Folded Reload
	s_nop 0
	buffer_load_dword v2, off, s[0:3], s33 offset:88 ; 4-byte Folded Reload
	s_waitcnt vmcnt(0)
	v_add_co_u32_e32 v12, vcc, v12, v4
	v_addc_co_u32_e32 v13, vcc, 0, v13, vcc
	v_add_co_u32_e32 v14, vcc, v14, v4
	v_addc_co_u32_e32 v15, vcc, 0, v15, vcc
	;; [unrolled: 2-line block ×3, first 2 shown]
	v_sub_u32_e32 v16, v16, v2
	v_cmp_gt_i32_e32 vcc, 1, v16
	s_or_b64 s[30:31], vcc, s[30:31]
	v_add_co_u32_e32 v10, vcc, v10, v4
	v_addc_co_u32_e32 v11, vcc, 0, v11, vcc
	s_andn2_b64 exec, exec, s[30:31]
	s_cbranch_execz .LBB4_9578
.LBB4_8645:                             ;   Parent Loop BB4_47 Depth=1
                                        ;     Parent Loop BB4_6132 Depth=2
                                        ; =>    This Inner Loop Header: Depth=3
	s_trap 2
	ds_read_b64 v[42:43], v0
	s_waitcnt lgkmcnt(0)
	v_cmp_eq_u32_sdwa s[44:45], v42, v3 src0_sel:BYTE_0 src1_sel:DWORD
	v_readfirstlane_b32 s28, v42
	v_readfirstlane_b32 s29, v43
	s_and_b64 vcc, exec, s[44:45]
	s_cbranch_vccnz .LBB4_8649
; %bb.8646:                             ;   in Loop: Header=BB4_8645 Depth=3
	v_cmp_eq_u32_sdwa vcc, v42, s70 src0_sel:BYTE_0 src1_sel:DWORD
	s_brev_b32 s44, 1
	s_and_b64 vcc, exec, vcc
	s_cbranch_vccnz .LBB4_8650
; %bb.8647:                             ;   in Loop: Header=BB4_8645 Depth=3
	s_and_b32 s45, s28, 0x7f
	s_cmpk_eq_i32 s45, 0x7f
	s_mov_b32 s44, 0x7f800001
	s_cbranch_scc1 .LBB4_8650
; %bb.8648:                             ;   in Loop: Header=BB4_8645 Depth=3
	s_and_b32 s44, s28, 7
	s_flbit_i32_b32 s44, s44
	s_min_u32 s44, s44, 32
	s_lshr_b32 vcc_lo, s45, 3
	s_sub_i32 vcc_hi, s44, 28
	s_sub_i32 s44, 29, s44
	s_cmp_lt_u32 s45, 8
	s_cselect_b32 vcc_lo, s44, vcc_lo
	s_cselect_b32 s44, vcc_hi, 0
	s_lshl_b64 s[44:45], s[28:29], s44
	s_lshl_b32 s29, s44, 20
	s_lshl_b32 s28, s28, 24
	s_lshl_b32 s44, vcc_lo, 23
	s_and_b32 s28, s28, 0x80000000
	s_add_i32 s44, s44, 0x3c000000
	s_and_b32 s29, s29, 0x700000
	s_or_b32 s28, s28, s44
	s_or_b32 s44, s28, s29
	s_branch .LBB4_8650
.LBB4_8649:                             ;   in Loop: Header=BB4_8645 Depth=3
	s_mov_b32 s44, 0
.LBB4_8650:                             ;   in Loop: Header=BB4_8645 Depth=3
	flat_load_ubyte v4, v[12:13] glc slc
	v_mov_b32_e32 v17, 0
	s_waitcnt vmcnt(0) lgkmcnt(0)
	v_cmp_ne_u16_e32 vcc, 0, v4
	s_and_saveexec_b64 s[28:29], vcc
	s_cbranch_execz .LBB4_8656
; %bb.8651:                             ;   in Loop: Header=BB4_8645 Depth=3
	v_cmp_ne_u16_e32 vcc, s70, v4
	v_bfrev_b32_e32 v17, 1
	s_and_saveexec_b64 s[34:35], vcc
	s_cbranch_execz .LBB4_8655
; %bb.8652:                             ;   in Loop: Header=BB4_8645 Depth=3
	v_and_b32_e32 v2, 0xffff, v4
	v_and_b32_e32 v20, 0x7f, v2
	v_cmp_ne_u32_e32 vcc, s68, v20
	v_mov_b32_e32 v17, 0x7f800001
	s_and_saveexec_b64 s[36:37], vcc
	s_cbranch_execz .LBB4_8654
; %bb.8653:                             ;   in Loop: Header=BB4_8645 Depth=3
	v_and_b32_e32 v17, 7, v2
	v_lshrrev_b32_e32 v22, 3, v20
	v_cmp_gt_u32_e32 vcc, 8, v20
	v_ffbh_u32_e32 v20, v17
	v_min_u32_e32 v23, 32, v20
	v_subrev_u32_e32 v20, 28, v23
	v_lshlrev_b64 v[20:21], v20, v[2:3]
	v_sub_u32_e32 v2, 29, v23
	v_and_b32_e32 v20, 7, v20
	v_cndmask_b32_e32 v2, v22, v2, vcc
	v_cndmask_b32_e32 v17, v17, v20, vcc
	v_lshlrev_b32_e32 v4, 24, v4
	v_lshlrev_b32_e32 v17, 20, v17
	v_and_b32_e32 v4, 0x80000000, v4
	v_lshl_add_u32 v2, v2, 23, v5
	v_or3_b32 v17, v4, v2, v17
.LBB4_8654:                             ;   in Loop: Header=BB4_8645 Depth=3
	s_or_b64 exec, exec, s[36:37]
.LBB4_8655:                             ;   in Loop: Header=BB4_8645 Depth=3
	s_or_b64 exec, exec, s[34:35]
.LBB4_8656:                             ;   in Loop: Header=BB4_8645 Depth=3
	s_or_b64 exec, exec, s[28:29]
	v_mul_f32_e32 v17, s44, v17
	v_and_b32_e32 v2, 0x7f800000, v17
	v_cmp_ne_u64_e32 vcc, s[62:63], v[2:3]
                                        ; implicit-def: $vgpr20
	s_and_saveexec_b64 s[28:29], vcc
	s_xor_b64 s[34:35], exec, s[28:29]
	s_cbranch_execz .LBB4_8674
; %bb.8657:                             ;   in Loop: Header=BB4_8645 Depth=3
	v_and_b32_e32 v2, 0x7fffffff, v17
	v_cmp_gt_u64_e32 vcc, s[72:73], v[2:3]
	v_and_b32_sdwa v4, v17, s70 dst_sel:DWORD dst_unused:UNUSED_PAD src0_sel:BYTE_3 src1_sel:DWORD
                                        ; implicit-def: $vgpr20
	s_and_saveexec_b64 s[28:29], vcc
	s_xor_b64 s[36:37], exec, s[28:29]
	s_cbranch_execz .LBB4_8671
; %bb.8658:                             ;   in Loop: Header=BB4_8645 Depth=3
	v_cmp_ne_u32_e32 vcc, 0, v17
	v_mov_b32_e32 v20, 0
	s_and_saveexec_b64 s[38:39], vcc
	s_cbranch_execz .LBB4_8670
; %bb.8659:                             ;   in Loop: Header=BB4_8645 Depth=3
	v_and_b32_e32 v2, 0x7fffff, v17
	v_bfe_u32 v17, v17, 23, 8
	v_cmp_gt_u32_e64 s[28:29], s71, v17
	v_sub_u32_e32 v20, 0x79, v17
	v_cmp_eq_u32_e32 vcc, 0, v17
	v_cndmask_b32_e64 v20, 0, v20, s[28:29]
	v_mov_b32_e32 v22, 0x78
	v_or_b32_e32 v21, 0x800000, v2
	v_cndmask_b32_e32 v20, v20, v22, vcc
	v_cndmask_b32_e32 v2, v21, v2, vcc
	v_add_u32_e32 v21, 20, v20
	v_lshlrev_b64 v[24:25], v21, -1
	v_add_u32_e32 v21, 19, v20
	v_lshlrev_b64 v[26:27], v21, 1
	v_lshrrev_b64 v[42:43], v20, v[2:3]
	v_bfi_b32 v25, v25, 0, 0
	v_bfi_b32 v24, v24, 0, v2
	v_cmp_eq_u64_e64 s[28:29], v[24:25], v[26:27]
	v_mov_b32_e32 v44, v43
	v_mov_b32_e32 v43, v42
	s_and_saveexec_b64 s[48:49], s[28:29]
; %bb.8660:                             ;   in Loop: Header=BB4_8645 Depth=3
	v_bfe_u32 v2, v42, 20, 1
	v_add_co_u32_e64 v2, s[28:29], v42, v2
	v_add_co_u32_e64 v43, s[28:29], -1, v2
; %bb.8661:                             ;   in Loop: Header=BB4_8645 Depth=3
	s_or_b64 exec, exec, s[48:49]
	v_add_u32_e32 v2, 0xffffff81, v17
	v_mov_b32_e32 v17, 0xffffff82
	v_cndmask_b32_e32 v2, v2, v17, vcc
	v_lshrrev_b32_e32 v17, 23, v42
	v_add3_u32 v21, v20, v2, v17
	v_add_u32_e32 v20, 6, v21
	v_and_b32_e32 v2, 0xfffff, v43
	v_add_u32_e32 v2, v2, v42
	v_cmp_ne_u32_e32 vcc, 0, v20
                                        ; implicit-def: $vgpr42_vgpr43
                                        ; implicit-def: $vgpr17
	s_and_saveexec_b64 s[28:29], vcc
	s_xor_b64 s[28:29], exec, s[28:29]
; %bb.8662:                             ;   in Loop: Header=BB4_8645 Depth=3
	v_cmp_lt_u64_e32 vcc, s[74:75], v[2:3]
	v_add_u32_e32 v17, 7, v21
	v_cndmask_b32_e32 v17, v20, v17, vcc
	v_cndmask_b32_e64 v20, 0, 1, vcc
	v_lshrrev_b64 v[42:43], v20, v[2:3]
; %bb.8663:                             ;   in Loop: Header=BB4_8645 Depth=3
	s_andn2_saveexec_b64 s[28:29], s[28:29]
; %bb.8664:                             ;   in Loop: Header=BB4_8645 Depth=3
	v_mov_b32_e32 v43, v3
	v_mov_b32_e32 v42, v2
	v_bfe_u32 v17, v2, 23, 1
; %bb.8665:                             ;   in Loop: Header=BB4_8645 Depth=3
	s_or_b64 exec, exec, s[28:29]
	v_lshrrev_b64 v[20:21], 20, v[42:43]
	v_cmp_gt_i32_e32 vcc, 16, v17
	v_cndmask_b32_e32 v43, 0, v21, vcc
	v_cndmask_b32_e32 v42, 7, v20, vcc
	v_cmp_ne_u64_e32 vcc, 0, v[42:43]
	v_cmp_ne_u32_e64 s[28:29], 0, v17
	s_or_b64 s[28:29], s[28:29], vcc
                                        ; implicit-def: $vgpr20
	s_and_saveexec_b64 vcc, s[28:29]
	s_xor_b64 s[28:29], exec, vcc
; %bb.8666:                             ;   in Loop: Header=BB4_8645 Depth=3
	v_min_i32_e32 v2, 15, v17
	v_lshl_or_b32 v2, v2, 3, v4
	v_and_or_b32 v20, v42, 7, v2
                                        ; implicit-def: $vgpr4
; %bb.8667:                             ;   in Loop: Header=BB4_8645 Depth=3
	s_andn2_saveexec_b64 s[28:29], s[28:29]
; %bb.8668:                             ;   in Loop: Header=BB4_8645 Depth=3
	v_mov_b32_e32 v20, v4
; %bb.8669:                             ;   in Loop: Header=BB4_8645 Depth=3
	s_or_b64 exec, exec, s[28:29]
.LBB4_8670:                             ;   in Loop: Header=BB4_8645 Depth=3
	s_or_b64 exec, exec, s[38:39]
                                        ; implicit-def: $vgpr4
.LBB4_8671:                             ;   in Loop: Header=BB4_8645 Depth=3
	s_andn2_saveexec_b64 s[28:29], s[36:37]
; %bb.8672:                             ;   in Loop: Header=BB4_8645 Depth=3
	v_or_b32_e32 v20, 0x7e, v4
; %bb.8673:                             ;   in Loop: Header=BB4_8645 Depth=3
	s_or_b64 exec, exec, s[28:29]
                                        ; implicit-def: $vgpr17
.LBB4_8674:                             ;   in Loop: Header=BB4_8645 Depth=3
	s_andn2_saveexec_b64 s[28:29], s[34:35]
; %bb.8675:                             ;   in Loop: Header=BB4_8645 Depth=3
	v_or_b32_sdwa v20, v17, s68 dst_sel:DWORD dst_unused:UNUSED_PAD src0_sel:BYTE_3 src1_sel:DWORD
; %bb.8676:                             ;   in Loop: Header=BB4_8645 Depth=3
	s_or_b64 exec, exec, s[28:29]
	flat_load_ubyte v4, v[12:13] offset:64 glc slc
	v_mov_b32_e32 v17, 0
	s_waitcnt vmcnt(0) lgkmcnt(0)
	v_cmp_ne_u16_e32 vcc, 0, v4
	s_and_saveexec_b64 s[28:29], vcc
	s_cbranch_execz .LBB4_8682
; %bb.8677:                             ;   in Loop: Header=BB4_8645 Depth=3
	v_cmp_ne_u16_e32 vcc, s70, v4
	v_bfrev_b32_e32 v17, 1
	s_and_saveexec_b64 s[34:35], vcc
	s_cbranch_execz .LBB4_8681
; %bb.8678:                             ;   in Loop: Header=BB4_8645 Depth=3
	v_and_b32_e32 v2, 0xffff, v4
	v_and_b32_e32 v21, 0x7f, v2
	v_cmp_ne_u32_e32 vcc, s68, v21
	v_mov_b32_e32 v17, 0x7f800001
	s_and_saveexec_b64 s[36:37], vcc
	s_cbranch_execz .LBB4_8680
; %bb.8679:                             ;   in Loop: Header=BB4_8645 Depth=3
	v_and_b32_e32 v17, 7, v2
	v_lshrrev_b32_e32 v22, 3, v21
	v_cmp_gt_u32_e32 vcc, 8, v21
	v_ffbh_u32_e32 v21, v17
	v_min_u32_e32 v21, 32, v21
	v_subrev_u32_e32 v23, 28, v21
	v_lshlrev_b64 v[24:25], v23, v[2:3]
	v_sub_u32_e32 v2, 29, v21
	v_and_b32_e32 v21, 7, v24
	v_cndmask_b32_e32 v2, v22, v2, vcc
	v_cndmask_b32_e32 v17, v17, v21, vcc
	v_lshlrev_b32_e32 v4, 24, v4
	v_lshlrev_b32_e32 v17, 20, v17
	v_and_b32_e32 v4, 0x80000000, v4
	v_lshl_add_u32 v2, v2, 23, v5
	v_or3_b32 v17, v4, v2, v17
.LBB4_8680:                             ;   in Loop: Header=BB4_8645 Depth=3
	s_or_b64 exec, exec, s[36:37]
.LBB4_8681:                             ;   in Loop: Header=BB4_8645 Depth=3
	s_or_b64 exec, exec, s[34:35]
.LBB4_8682:                             ;   in Loop: Header=BB4_8645 Depth=3
	s_or_b64 exec, exec, s[28:29]
	v_mul_f32_e32 v17, s44, v17
	v_and_b32_e32 v2, 0x7f800000, v17
	v_cmp_ne_u64_e32 vcc, s[62:63], v[2:3]
                                        ; implicit-def: $vgpr30
	s_and_saveexec_b64 s[28:29], vcc
	s_xor_b64 s[34:35], exec, s[28:29]
	s_cbranch_execz .LBB4_8700
; %bb.8683:                             ;   in Loop: Header=BB4_8645 Depth=3
	v_and_b32_e32 v2, 0x7fffffff, v17
	v_cmp_gt_u64_e32 vcc, s[72:73], v[2:3]
	v_and_b32_sdwa v4, v17, s70 dst_sel:DWORD dst_unused:UNUSED_PAD src0_sel:BYTE_3 src1_sel:DWORD
                                        ; implicit-def: $vgpr30
	s_and_saveexec_b64 s[28:29], vcc
	s_xor_b64 s[36:37], exec, s[28:29]
	s_cbranch_execz .LBB4_8697
; %bb.8684:                             ;   in Loop: Header=BB4_8645 Depth=3
	v_cmp_ne_u32_e32 vcc, 0, v17
	v_mov_b32_e32 v30, 0
	s_and_saveexec_b64 s[38:39], vcc
	s_cbranch_execz .LBB4_8696
; %bb.8685:                             ;   in Loop: Header=BB4_8645 Depth=3
	v_and_b32_e32 v2, 0x7fffff, v17
	v_bfe_u32 v17, v17, 23, 8
	v_cmp_gt_u32_e64 s[28:29], s71, v17
	v_sub_u32_e32 v21, 0x79, v17
	v_cmp_eq_u32_e32 vcc, 0, v17
	v_cndmask_b32_e64 v21, 0, v21, s[28:29]
	v_mov_b32_e32 v23, 0x78
	v_or_b32_e32 v22, 0x800000, v2
	v_cndmask_b32_e32 v21, v21, v23, vcc
	v_cndmask_b32_e32 v2, v22, v2, vcc
	v_add_u32_e32 v22, 20, v21
	v_lshlrev_b64 v[24:25], v22, -1
	v_add_u32_e32 v22, 19, v21
	v_lshlrev_b64 v[26:27], v22, 1
	v_lshrrev_b64 v[42:43], v21, v[2:3]
	v_bfi_b32 v25, v25, 0, 0
	v_bfi_b32 v24, v24, 0, v2
	v_cmp_eq_u64_e64 s[28:29], v[24:25], v[26:27]
	v_mov_b32_e32 v44, v43
	v_mov_b32_e32 v43, v42
	s_and_saveexec_b64 s[48:49], s[28:29]
; %bb.8686:                             ;   in Loop: Header=BB4_8645 Depth=3
	v_bfe_u32 v2, v42, 20, 1
	v_add_co_u32_e64 v2, s[28:29], v42, v2
	v_add_co_u32_e64 v43, s[28:29], -1, v2
; %bb.8687:                             ;   in Loop: Header=BB4_8645 Depth=3
	s_or_b64 exec, exec, s[48:49]
	v_add_u32_e32 v2, 0xffffff81, v17
	v_mov_b32_e32 v17, 0xffffff82
	v_cndmask_b32_e32 v2, v2, v17, vcc
	v_lshrrev_b32_e32 v17, 23, v42
	v_add3_u32 v24, v21, v2, v17
	v_add_u32_e32 v21, 6, v24
	v_and_b32_e32 v2, 0xfffff, v43
	v_add_u32_e32 v2, v2, v42
	v_cmp_ne_u32_e32 vcc, 0, v21
                                        ; implicit-def: $vgpr42_vgpr43
                                        ; implicit-def: $vgpr17
	s_and_saveexec_b64 s[28:29], vcc
	s_xor_b64 s[28:29], exec, s[28:29]
; %bb.8688:                             ;   in Loop: Header=BB4_8645 Depth=3
	v_cmp_lt_u64_e32 vcc, s[74:75], v[2:3]
	v_add_u32_e32 v17, 7, v24
	v_cndmask_b32_e32 v17, v21, v17, vcc
	v_cndmask_b32_e64 v21, 0, 1, vcc
	v_lshrrev_b64 v[42:43], v21, v[2:3]
; %bb.8689:                             ;   in Loop: Header=BB4_8645 Depth=3
	s_andn2_saveexec_b64 s[28:29], s[28:29]
; %bb.8690:                             ;   in Loop: Header=BB4_8645 Depth=3
	v_mov_b32_e32 v43, v3
	v_mov_b32_e32 v42, v2
	v_bfe_u32 v17, v2, 23, 1
; %bb.8691:                             ;   in Loop: Header=BB4_8645 Depth=3
	s_or_b64 exec, exec, s[28:29]
	v_lshrrev_b64 v[24:25], 20, v[42:43]
	v_cmp_gt_i32_e32 vcc, 16, v17
	v_cndmask_b32_e32 v43, 0, v25, vcc
	v_cndmask_b32_e32 v42, 7, v24, vcc
	v_cmp_ne_u64_e32 vcc, 0, v[42:43]
	v_cmp_ne_u32_e64 s[28:29], 0, v17
	s_or_b64 s[28:29], s[28:29], vcc
                                        ; implicit-def: $vgpr30
	s_and_saveexec_b64 vcc, s[28:29]
	s_xor_b64 s[28:29], exec, vcc
; %bb.8692:                             ;   in Loop: Header=BB4_8645 Depth=3
	v_min_i32_e32 v2, 15, v17
	v_lshl_or_b32 v2, v2, 3, v4
	v_and_or_b32 v30, v42, 7, v2
                                        ; implicit-def: $vgpr4
; %bb.8693:                             ;   in Loop: Header=BB4_8645 Depth=3
	s_andn2_saveexec_b64 s[28:29], s[28:29]
; %bb.8694:                             ;   in Loop: Header=BB4_8645 Depth=3
	v_mov_b32_e32 v30, v4
; %bb.8695:                             ;   in Loop: Header=BB4_8645 Depth=3
	s_or_b64 exec, exec, s[28:29]
.LBB4_8696:                             ;   in Loop: Header=BB4_8645 Depth=3
	s_or_b64 exec, exec, s[38:39]
                                        ; implicit-def: $vgpr4
.LBB4_8697:                             ;   in Loop: Header=BB4_8645 Depth=3
	s_andn2_saveexec_b64 s[28:29], s[36:37]
; %bb.8698:                             ;   in Loop: Header=BB4_8645 Depth=3
	v_or_b32_e32 v30, 0x7e, v4
; %bb.8699:                             ;   in Loop: Header=BB4_8645 Depth=3
	s_or_b64 exec, exec, s[28:29]
                                        ; implicit-def: $vgpr17
.LBB4_8700:                             ;   in Loop: Header=BB4_8645 Depth=3
	s_andn2_saveexec_b64 s[28:29], s[34:35]
; %bb.8701:                             ;   in Loop: Header=BB4_8645 Depth=3
	v_or_b32_sdwa v30, v17, s68 dst_sel:DWORD dst_unused:UNUSED_PAD src0_sel:BYTE_3 src1_sel:DWORD
; %bb.8702:                             ;   in Loop: Header=BB4_8645 Depth=3
	s_or_b64 exec, exec, s[28:29]
	flat_load_ubyte v4, v[12:13] offset:128 glc slc
	v_mov_b32_e32 v17, 0
	s_waitcnt vmcnt(0) lgkmcnt(0)
	v_cmp_ne_u16_e32 vcc, 0, v4
	s_and_saveexec_b64 s[28:29], vcc
	s_cbranch_execz .LBB4_8708
; %bb.8703:                             ;   in Loop: Header=BB4_8645 Depth=3
	v_cmp_ne_u16_e32 vcc, s70, v4
	v_bfrev_b32_e32 v17, 1
	s_and_saveexec_b64 s[34:35], vcc
	s_cbranch_execz .LBB4_8707
; %bb.8704:                             ;   in Loop: Header=BB4_8645 Depth=3
	v_and_b32_e32 v2, 0xffff, v4
	v_and_b32_e32 v21, 0x7f, v2
	v_cmp_ne_u32_e32 vcc, s68, v21
	v_mov_b32_e32 v17, 0x7f800001
	s_and_saveexec_b64 s[36:37], vcc
	s_cbranch_execz .LBB4_8706
; %bb.8705:                             ;   in Loop: Header=BB4_8645 Depth=3
	v_and_b32_e32 v17, 7, v2
	v_lshrrev_b32_e32 v22, 3, v21
	v_cmp_gt_u32_e32 vcc, 8, v21
	v_ffbh_u32_e32 v21, v17
	v_min_u32_e32 v21, 32, v21
	v_subrev_u32_e32 v23, 28, v21
	v_lshlrev_b64 v[24:25], v23, v[2:3]
	v_sub_u32_e32 v2, 29, v21
	v_and_b32_e32 v21, 7, v24
	v_cndmask_b32_e32 v2, v22, v2, vcc
	v_cndmask_b32_e32 v17, v17, v21, vcc
	v_lshlrev_b32_e32 v4, 24, v4
	v_lshlrev_b32_e32 v17, 20, v17
	v_and_b32_e32 v4, 0x80000000, v4
	v_lshl_add_u32 v2, v2, 23, v5
	v_or3_b32 v17, v4, v2, v17
.LBB4_8706:                             ;   in Loop: Header=BB4_8645 Depth=3
	s_or_b64 exec, exec, s[36:37]
.LBB4_8707:                             ;   in Loop: Header=BB4_8645 Depth=3
	s_or_b64 exec, exec, s[34:35]
.LBB4_8708:                             ;   in Loop: Header=BB4_8645 Depth=3
	s_or_b64 exec, exec, s[28:29]
	v_mul_f32_e32 v17, s44, v17
	v_and_b32_e32 v2, 0x7f800000, v17
	v_cmp_ne_u64_e32 vcc, s[62:63], v[2:3]
                                        ; implicit-def: $vgpr48
	s_and_saveexec_b64 s[28:29], vcc
	s_xor_b64 s[34:35], exec, s[28:29]
	s_cbranch_execz .LBB4_8726
; %bb.8709:                             ;   in Loop: Header=BB4_8645 Depth=3
	v_and_b32_e32 v2, 0x7fffffff, v17
	v_cmp_gt_u64_e32 vcc, s[72:73], v[2:3]
	v_and_b32_sdwa v4, v17, s70 dst_sel:DWORD dst_unused:UNUSED_PAD src0_sel:BYTE_3 src1_sel:DWORD
                                        ; implicit-def: $vgpr48
	s_and_saveexec_b64 s[28:29], vcc
	s_xor_b64 s[36:37], exec, s[28:29]
	s_cbranch_execz .LBB4_8723
; %bb.8710:                             ;   in Loop: Header=BB4_8645 Depth=3
	v_cmp_ne_u32_e32 vcc, 0, v17
	v_mov_b32_e32 v48, 0
	s_and_saveexec_b64 s[38:39], vcc
	s_cbranch_execz .LBB4_8722
; %bb.8711:                             ;   in Loop: Header=BB4_8645 Depth=3
	v_and_b32_e32 v2, 0x7fffff, v17
	v_bfe_u32 v17, v17, 23, 8
	v_cmp_gt_u32_e64 s[28:29], s71, v17
	v_sub_u32_e32 v21, 0x79, v17
	v_cmp_eq_u32_e32 vcc, 0, v17
	v_cndmask_b32_e64 v21, 0, v21, s[28:29]
	v_mov_b32_e32 v23, 0x78
	v_or_b32_e32 v22, 0x800000, v2
	v_cndmask_b32_e32 v21, v21, v23, vcc
	v_cndmask_b32_e32 v2, v22, v2, vcc
	v_add_u32_e32 v22, 20, v21
	v_lshlrev_b64 v[24:25], v22, -1
	v_add_u32_e32 v22, 19, v21
	v_lshlrev_b64 v[26:27], v22, 1
	v_lshrrev_b64 v[42:43], v21, v[2:3]
	v_bfi_b32 v25, v25, 0, 0
	v_bfi_b32 v24, v24, 0, v2
	v_cmp_eq_u64_e64 s[28:29], v[24:25], v[26:27]
	v_mov_b32_e32 v44, v43
	v_mov_b32_e32 v43, v42
	s_and_saveexec_b64 s[48:49], s[28:29]
; %bb.8712:                             ;   in Loop: Header=BB4_8645 Depth=3
	v_bfe_u32 v2, v42, 20, 1
	v_add_co_u32_e64 v2, s[28:29], v42, v2
	v_add_co_u32_e64 v43, s[28:29], -1, v2
; %bb.8713:                             ;   in Loop: Header=BB4_8645 Depth=3
	s_or_b64 exec, exec, s[48:49]
	v_add_u32_e32 v2, 0xffffff81, v17
	v_mov_b32_e32 v17, 0xffffff82
	v_cndmask_b32_e32 v2, v2, v17, vcc
	v_lshrrev_b32_e32 v17, 23, v42
	v_add3_u32 v24, v21, v2, v17
	v_add_u32_e32 v21, 6, v24
	v_and_b32_e32 v2, 0xfffff, v43
	v_add_u32_e32 v2, v2, v42
	v_cmp_ne_u32_e32 vcc, 0, v21
                                        ; implicit-def: $vgpr42_vgpr43
                                        ; implicit-def: $vgpr17
	s_and_saveexec_b64 s[28:29], vcc
	s_xor_b64 s[28:29], exec, s[28:29]
; %bb.8714:                             ;   in Loop: Header=BB4_8645 Depth=3
	v_cmp_lt_u64_e32 vcc, s[74:75], v[2:3]
	v_add_u32_e32 v17, 7, v24
	v_cndmask_b32_e32 v17, v21, v17, vcc
	v_cndmask_b32_e64 v21, 0, 1, vcc
	v_lshrrev_b64 v[42:43], v21, v[2:3]
; %bb.8715:                             ;   in Loop: Header=BB4_8645 Depth=3
	s_andn2_saveexec_b64 s[28:29], s[28:29]
; %bb.8716:                             ;   in Loop: Header=BB4_8645 Depth=3
	v_mov_b32_e32 v43, v3
	v_mov_b32_e32 v42, v2
	v_bfe_u32 v17, v2, 23, 1
; %bb.8717:                             ;   in Loop: Header=BB4_8645 Depth=3
	s_or_b64 exec, exec, s[28:29]
	v_lshrrev_b64 v[24:25], 20, v[42:43]
	v_cmp_gt_i32_e32 vcc, 16, v17
	v_cndmask_b32_e32 v43, 0, v25, vcc
	v_cndmask_b32_e32 v42, 7, v24, vcc
	v_cmp_ne_u64_e32 vcc, 0, v[42:43]
	v_cmp_ne_u32_e64 s[28:29], 0, v17
	s_or_b64 s[28:29], s[28:29], vcc
                                        ; implicit-def: $vgpr48
	s_and_saveexec_b64 vcc, s[28:29]
	s_xor_b64 s[28:29], exec, vcc
; %bb.8718:                             ;   in Loop: Header=BB4_8645 Depth=3
	v_min_i32_e32 v2, 15, v17
	v_lshl_or_b32 v2, v2, 3, v4
	v_and_or_b32 v48, v42, 7, v2
                                        ; implicit-def: $vgpr4
; %bb.8719:                             ;   in Loop: Header=BB4_8645 Depth=3
	s_andn2_saveexec_b64 s[28:29], s[28:29]
; %bb.8720:                             ;   in Loop: Header=BB4_8645 Depth=3
	v_mov_b32_e32 v48, v4
; %bb.8721:                             ;   in Loop: Header=BB4_8645 Depth=3
	s_or_b64 exec, exec, s[28:29]
.LBB4_8722:                             ;   in Loop: Header=BB4_8645 Depth=3
	s_or_b64 exec, exec, s[38:39]
                                        ; implicit-def: $vgpr4
.LBB4_8723:                             ;   in Loop: Header=BB4_8645 Depth=3
	s_andn2_saveexec_b64 s[28:29], s[36:37]
; %bb.8724:                             ;   in Loop: Header=BB4_8645 Depth=3
	v_or_b32_e32 v48, 0x7e, v4
; %bb.8725:                             ;   in Loop: Header=BB4_8645 Depth=3
	s_or_b64 exec, exec, s[28:29]
                                        ; implicit-def: $vgpr17
.LBB4_8726:                             ;   in Loop: Header=BB4_8645 Depth=3
	s_andn2_saveexec_b64 s[28:29], s[34:35]
; %bb.8727:                             ;   in Loop: Header=BB4_8645 Depth=3
	v_or_b32_sdwa v48, v17, s68 dst_sel:DWORD dst_unused:UNUSED_PAD src0_sel:BYTE_3 src1_sel:DWORD
; %bb.8728:                             ;   in Loop: Header=BB4_8645 Depth=3
	s_or_b64 exec, exec, s[28:29]
	flat_load_ubyte v4, v[12:13] offset:192 glc slc
	v_mov_b32_e32 v17, 0
	s_waitcnt vmcnt(0) lgkmcnt(0)
	v_cmp_ne_u16_e32 vcc, 0, v4
	s_and_saveexec_b64 s[28:29], vcc
	s_cbranch_execz .LBB4_8734
; %bb.8729:                             ;   in Loop: Header=BB4_8645 Depth=3
	v_cmp_ne_u16_e32 vcc, s70, v4
	v_bfrev_b32_e32 v17, 1
	s_and_saveexec_b64 s[34:35], vcc
	s_cbranch_execz .LBB4_8733
; %bb.8730:                             ;   in Loop: Header=BB4_8645 Depth=3
	v_and_b32_e32 v2, 0xffff, v4
	v_and_b32_e32 v21, 0x7f, v2
	v_cmp_ne_u32_e32 vcc, s68, v21
	v_mov_b32_e32 v17, 0x7f800001
	s_and_saveexec_b64 s[36:37], vcc
	s_cbranch_execz .LBB4_8732
; %bb.8731:                             ;   in Loop: Header=BB4_8645 Depth=3
	v_and_b32_e32 v17, 7, v2
	v_lshrrev_b32_e32 v22, 3, v21
	v_cmp_gt_u32_e32 vcc, 8, v21
	v_ffbh_u32_e32 v21, v17
	v_min_u32_e32 v21, 32, v21
	v_subrev_u32_e32 v23, 28, v21
	v_lshlrev_b64 v[24:25], v23, v[2:3]
	v_sub_u32_e32 v2, 29, v21
	v_and_b32_e32 v21, 7, v24
	v_cndmask_b32_e32 v2, v22, v2, vcc
	v_cndmask_b32_e32 v17, v17, v21, vcc
	v_lshlrev_b32_e32 v4, 24, v4
	v_lshlrev_b32_e32 v17, 20, v17
	v_and_b32_e32 v4, 0x80000000, v4
	v_lshl_add_u32 v2, v2, 23, v5
	v_or3_b32 v17, v4, v2, v17
.LBB4_8732:                             ;   in Loop: Header=BB4_8645 Depth=3
	s_or_b64 exec, exec, s[36:37]
.LBB4_8733:                             ;   in Loop: Header=BB4_8645 Depth=3
	s_or_b64 exec, exec, s[34:35]
.LBB4_8734:                             ;   in Loop: Header=BB4_8645 Depth=3
	s_or_b64 exec, exec, s[28:29]
	v_mul_f32_e32 v17, s44, v17
	v_and_b32_e32 v2, 0x7f800000, v17
	v_cmp_ne_u64_e32 vcc, s[62:63], v[2:3]
                                        ; implicit-def: $vgpr38
	s_and_saveexec_b64 s[28:29], vcc
	s_xor_b64 s[34:35], exec, s[28:29]
	s_cbranch_execz .LBB4_8752
; %bb.8735:                             ;   in Loop: Header=BB4_8645 Depth=3
	v_and_b32_e32 v2, 0x7fffffff, v17
	v_cmp_gt_u64_e32 vcc, s[72:73], v[2:3]
	v_and_b32_sdwa v4, v17, s70 dst_sel:DWORD dst_unused:UNUSED_PAD src0_sel:BYTE_3 src1_sel:DWORD
                                        ; implicit-def: $vgpr38
	s_and_saveexec_b64 s[28:29], vcc
	s_xor_b64 s[36:37], exec, s[28:29]
	s_cbranch_execz .LBB4_8749
; %bb.8736:                             ;   in Loop: Header=BB4_8645 Depth=3
	v_cmp_ne_u32_e32 vcc, 0, v17
	v_mov_b32_e32 v38, 0
	s_and_saveexec_b64 s[38:39], vcc
	s_cbranch_execz .LBB4_8748
; %bb.8737:                             ;   in Loop: Header=BB4_8645 Depth=3
	v_and_b32_e32 v2, 0x7fffff, v17
	v_bfe_u32 v17, v17, 23, 8
	v_cmp_gt_u32_e64 s[28:29], s71, v17
	v_sub_u32_e32 v21, 0x79, v17
	v_cmp_eq_u32_e32 vcc, 0, v17
	v_cndmask_b32_e64 v21, 0, v21, s[28:29]
	v_mov_b32_e32 v23, 0x78
	v_or_b32_e32 v22, 0x800000, v2
	v_cndmask_b32_e32 v21, v21, v23, vcc
	v_cndmask_b32_e32 v2, v22, v2, vcc
	v_add_u32_e32 v22, 20, v21
	v_lshlrev_b64 v[24:25], v22, -1
	v_add_u32_e32 v22, 19, v21
	v_lshlrev_b64 v[26:27], v22, 1
	v_lshrrev_b64 v[42:43], v21, v[2:3]
	v_bfi_b32 v25, v25, 0, 0
	v_bfi_b32 v24, v24, 0, v2
	v_cmp_eq_u64_e64 s[28:29], v[24:25], v[26:27]
	v_mov_b32_e32 v44, v43
	v_mov_b32_e32 v43, v42
	s_and_saveexec_b64 s[48:49], s[28:29]
; %bb.8738:                             ;   in Loop: Header=BB4_8645 Depth=3
	v_bfe_u32 v2, v42, 20, 1
	v_add_co_u32_e64 v2, s[28:29], v42, v2
	v_add_co_u32_e64 v43, s[28:29], -1, v2
; %bb.8739:                             ;   in Loop: Header=BB4_8645 Depth=3
	s_or_b64 exec, exec, s[48:49]
	v_add_u32_e32 v2, 0xffffff81, v17
	v_mov_b32_e32 v17, 0xffffff82
	v_cndmask_b32_e32 v2, v2, v17, vcc
	v_lshrrev_b32_e32 v17, 23, v42
	v_add3_u32 v24, v21, v2, v17
	v_add_u32_e32 v21, 6, v24
	v_and_b32_e32 v2, 0xfffff, v43
	v_add_u32_e32 v2, v2, v42
	v_cmp_ne_u32_e32 vcc, 0, v21
                                        ; implicit-def: $vgpr42_vgpr43
                                        ; implicit-def: $vgpr17
	s_and_saveexec_b64 s[28:29], vcc
	s_xor_b64 s[28:29], exec, s[28:29]
; %bb.8740:                             ;   in Loop: Header=BB4_8645 Depth=3
	v_cmp_lt_u64_e32 vcc, s[74:75], v[2:3]
	v_add_u32_e32 v17, 7, v24
	v_cndmask_b32_e32 v17, v21, v17, vcc
	v_cndmask_b32_e64 v21, 0, 1, vcc
	v_lshrrev_b64 v[42:43], v21, v[2:3]
; %bb.8741:                             ;   in Loop: Header=BB4_8645 Depth=3
	s_andn2_saveexec_b64 s[28:29], s[28:29]
; %bb.8742:                             ;   in Loop: Header=BB4_8645 Depth=3
	v_mov_b32_e32 v43, v3
	v_mov_b32_e32 v42, v2
	v_bfe_u32 v17, v2, 23, 1
; %bb.8743:                             ;   in Loop: Header=BB4_8645 Depth=3
	s_or_b64 exec, exec, s[28:29]
	v_lshrrev_b64 v[24:25], 20, v[42:43]
	v_cmp_gt_i32_e32 vcc, 16, v17
	v_cndmask_b32_e32 v43, 0, v25, vcc
	v_cndmask_b32_e32 v42, 7, v24, vcc
	v_cmp_ne_u64_e32 vcc, 0, v[42:43]
	v_cmp_ne_u32_e64 s[28:29], 0, v17
	s_or_b64 s[28:29], s[28:29], vcc
                                        ; implicit-def: $vgpr38
	s_and_saveexec_b64 vcc, s[28:29]
	s_xor_b64 s[28:29], exec, vcc
; %bb.8744:                             ;   in Loop: Header=BB4_8645 Depth=3
	v_min_i32_e32 v2, 15, v17
	v_lshl_or_b32 v2, v2, 3, v4
	v_and_or_b32 v38, v42, 7, v2
                                        ; implicit-def: $vgpr4
; %bb.8745:                             ;   in Loop: Header=BB4_8645 Depth=3
	s_andn2_saveexec_b64 s[28:29], s[28:29]
; %bb.8746:                             ;   in Loop: Header=BB4_8645 Depth=3
	v_mov_b32_e32 v38, v4
; %bb.8747:                             ;   in Loop: Header=BB4_8645 Depth=3
	s_or_b64 exec, exec, s[28:29]
.LBB4_8748:                             ;   in Loop: Header=BB4_8645 Depth=3
	s_or_b64 exec, exec, s[38:39]
                                        ; implicit-def: $vgpr4
.LBB4_8749:                             ;   in Loop: Header=BB4_8645 Depth=3
	s_andn2_saveexec_b64 s[28:29], s[36:37]
; %bb.8750:                             ;   in Loop: Header=BB4_8645 Depth=3
	v_or_b32_e32 v38, 0x7e, v4
; %bb.8751:                             ;   in Loop: Header=BB4_8645 Depth=3
	s_or_b64 exec, exec, s[28:29]
                                        ; implicit-def: $vgpr17
.LBB4_8752:                             ;   in Loop: Header=BB4_8645 Depth=3
	s_andn2_saveexec_b64 s[28:29], s[34:35]
; %bb.8753:                             ;   in Loop: Header=BB4_8645 Depth=3
	v_or_b32_sdwa v38, v17, s68 dst_sel:DWORD dst_unused:UNUSED_PAD src0_sel:BYTE_3 src1_sel:DWORD
; %bb.8754:                             ;   in Loop: Header=BB4_8645 Depth=3
	s_or_b64 exec, exec, s[28:29]
	flat_load_ubyte v4, v[12:13] offset:256 glc slc
	v_mov_b32_e32 v17, 0
	s_waitcnt vmcnt(0) lgkmcnt(0)
	v_cmp_ne_u16_e32 vcc, 0, v4
	s_and_saveexec_b64 s[28:29], vcc
	s_cbranch_execz .LBB4_8760
; %bb.8755:                             ;   in Loop: Header=BB4_8645 Depth=3
	v_cmp_ne_u16_e32 vcc, s70, v4
	v_bfrev_b32_e32 v17, 1
	s_and_saveexec_b64 s[34:35], vcc
	s_cbranch_execz .LBB4_8759
; %bb.8756:                             ;   in Loop: Header=BB4_8645 Depth=3
	v_and_b32_e32 v2, 0xffff, v4
	v_and_b32_e32 v21, 0x7f, v2
	v_cmp_ne_u32_e32 vcc, s68, v21
	v_mov_b32_e32 v17, 0x7f800001
	s_and_saveexec_b64 s[36:37], vcc
	s_cbranch_execz .LBB4_8758
; %bb.8757:                             ;   in Loop: Header=BB4_8645 Depth=3
	v_and_b32_e32 v17, 7, v2
	v_lshrrev_b32_e32 v22, 3, v21
	v_cmp_gt_u32_e32 vcc, 8, v21
	v_ffbh_u32_e32 v21, v17
	v_min_u32_e32 v21, 32, v21
	v_subrev_u32_e32 v23, 28, v21
	v_lshlrev_b64 v[24:25], v23, v[2:3]
	v_sub_u32_e32 v2, 29, v21
	v_and_b32_e32 v21, 7, v24
	v_cndmask_b32_e32 v2, v22, v2, vcc
	v_cndmask_b32_e32 v17, v17, v21, vcc
	v_lshlrev_b32_e32 v4, 24, v4
	v_lshlrev_b32_e32 v17, 20, v17
	v_and_b32_e32 v4, 0x80000000, v4
	v_lshl_add_u32 v2, v2, 23, v5
	v_or3_b32 v17, v4, v2, v17
.LBB4_8758:                             ;   in Loop: Header=BB4_8645 Depth=3
	s_or_b64 exec, exec, s[36:37]
.LBB4_8759:                             ;   in Loop: Header=BB4_8645 Depth=3
	s_or_b64 exec, exec, s[34:35]
.LBB4_8760:                             ;   in Loop: Header=BB4_8645 Depth=3
	s_or_b64 exec, exec, s[28:29]
	v_mul_f32_e32 v17, s44, v17
	v_and_b32_e32 v2, 0x7f800000, v17
	v_cmp_ne_u64_e32 vcc, s[62:63], v[2:3]
                                        ; implicit-def: $vgpr37
	s_and_saveexec_b64 s[28:29], vcc
	s_xor_b64 s[34:35], exec, s[28:29]
	s_cbranch_execz .LBB4_8778
; %bb.8761:                             ;   in Loop: Header=BB4_8645 Depth=3
	v_and_b32_e32 v2, 0x7fffffff, v17
	v_cmp_gt_u64_e32 vcc, s[72:73], v[2:3]
	v_and_b32_sdwa v4, v17, s70 dst_sel:DWORD dst_unused:UNUSED_PAD src0_sel:BYTE_3 src1_sel:DWORD
                                        ; implicit-def: $vgpr37
	s_and_saveexec_b64 s[28:29], vcc
	s_xor_b64 s[36:37], exec, s[28:29]
	s_cbranch_execz .LBB4_8775
; %bb.8762:                             ;   in Loop: Header=BB4_8645 Depth=3
	v_cmp_ne_u32_e32 vcc, 0, v17
	v_mov_b32_e32 v37, 0
	s_and_saveexec_b64 s[38:39], vcc
	s_cbranch_execz .LBB4_8774
; %bb.8763:                             ;   in Loop: Header=BB4_8645 Depth=3
	v_and_b32_e32 v2, 0x7fffff, v17
	v_bfe_u32 v17, v17, 23, 8
	v_cmp_gt_u32_e64 s[28:29], s71, v17
	v_sub_u32_e32 v21, 0x79, v17
	v_cmp_eq_u32_e32 vcc, 0, v17
	v_cndmask_b32_e64 v21, 0, v21, s[28:29]
	v_mov_b32_e32 v23, 0x78
	v_or_b32_e32 v22, 0x800000, v2
	v_cndmask_b32_e32 v21, v21, v23, vcc
	v_cndmask_b32_e32 v2, v22, v2, vcc
	v_add_u32_e32 v22, 20, v21
	v_lshlrev_b64 v[24:25], v22, -1
	v_add_u32_e32 v22, 19, v21
	v_lshlrev_b64 v[26:27], v22, 1
	v_lshrrev_b64 v[42:43], v21, v[2:3]
	v_bfi_b32 v25, v25, 0, 0
	v_bfi_b32 v24, v24, 0, v2
	v_cmp_eq_u64_e64 s[28:29], v[24:25], v[26:27]
	v_mov_b32_e32 v44, v43
	v_mov_b32_e32 v43, v42
	s_and_saveexec_b64 s[48:49], s[28:29]
; %bb.8764:                             ;   in Loop: Header=BB4_8645 Depth=3
	v_bfe_u32 v2, v42, 20, 1
	v_add_co_u32_e64 v2, s[28:29], v42, v2
	v_add_co_u32_e64 v43, s[28:29], -1, v2
; %bb.8765:                             ;   in Loop: Header=BB4_8645 Depth=3
	s_or_b64 exec, exec, s[48:49]
	v_add_u32_e32 v2, 0xffffff81, v17
	v_mov_b32_e32 v17, 0xffffff82
	v_cndmask_b32_e32 v2, v2, v17, vcc
	v_lshrrev_b32_e32 v17, 23, v42
	v_add3_u32 v24, v21, v2, v17
	v_add_u32_e32 v21, 6, v24
	v_and_b32_e32 v2, 0xfffff, v43
	v_add_u32_e32 v2, v2, v42
	v_cmp_ne_u32_e32 vcc, 0, v21
                                        ; implicit-def: $vgpr42_vgpr43
                                        ; implicit-def: $vgpr17
	s_and_saveexec_b64 s[28:29], vcc
	s_xor_b64 s[28:29], exec, s[28:29]
; %bb.8766:                             ;   in Loop: Header=BB4_8645 Depth=3
	v_cmp_lt_u64_e32 vcc, s[74:75], v[2:3]
	v_add_u32_e32 v17, 7, v24
	v_cndmask_b32_e32 v17, v21, v17, vcc
	v_cndmask_b32_e64 v21, 0, 1, vcc
	v_lshrrev_b64 v[42:43], v21, v[2:3]
; %bb.8767:                             ;   in Loop: Header=BB4_8645 Depth=3
	s_andn2_saveexec_b64 s[28:29], s[28:29]
; %bb.8768:                             ;   in Loop: Header=BB4_8645 Depth=3
	v_mov_b32_e32 v43, v3
	v_mov_b32_e32 v42, v2
	v_bfe_u32 v17, v2, 23, 1
; %bb.8769:                             ;   in Loop: Header=BB4_8645 Depth=3
	s_or_b64 exec, exec, s[28:29]
	v_lshrrev_b64 v[24:25], 20, v[42:43]
	v_cmp_gt_i32_e32 vcc, 16, v17
	v_cndmask_b32_e32 v43, 0, v25, vcc
	v_cndmask_b32_e32 v42, 7, v24, vcc
	v_cmp_ne_u64_e32 vcc, 0, v[42:43]
	v_cmp_ne_u32_e64 s[28:29], 0, v17
	s_or_b64 s[28:29], s[28:29], vcc
                                        ; implicit-def: $vgpr37
	s_and_saveexec_b64 vcc, s[28:29]
	s_xor_b64 s[28:29], exec, vcc
; %bb.8770:                             ;   in Loop: Header=BB4_8645 Depth=3
	v_min_i32_e32 v2, 15, v17
	v_lshl_or_b32 v2, v2, 3, v4
	v_and_or_b32 v37, v42, 7, v2
                                        ; implicit-def: $vgpr4
; %bb.8771:                             ;   in Loop: Header=BB4_8645 Depth=3
	s_andn2_saveexec_b64 s[28:29], s[28:29]
; %bb.8772:                             ;   in Loop: Header=BB4_8645 Depth=3
	v_mov_b32_e32 v37, v4
; %bb.8773:                             ;   in Loop: Header=BB4_8645 Depth=3
	s_or_b64 exec, exec, s[28:29]
.LBB4_8774:                             ;   in Loop: Header=BB4_8645 Depth=3
	s_or_b64 exec, exec, s[38:39]
                                        ; implicit-def: $vgpr4
.LBB4_8775:                             ;   in Loop: Header=BB4_8645 Depth=3
	s_andn2_saveexec_b64 s[28:29], s[36:37]
; %bb.8776:                             ;   in Loop: Header=BB4_8645 Depth=3
	v_or_b32_e32 v37, 0x7e, v4
; %bb.8777:                             ;   in Loop: Header=BB4_8645 Depth=3
	s_or_b64 exec, exec, s[28:29]
                                        ; implicit-def: $vgpr17
.LBB4_8778:                             ;   in Loop: Header=BB4_8645 Depth=3
	s_andn2_saveexec_b64 s[28:29], s[34:35]
; %bb.8779:                             ;   in Loop: Header=BB4_8645 Depth=3
	v_or_b32_sdwa v37, v17, s68 dst_sel:DWORD dst_unused:UNUSED_PAD src0_sel:BYTE_3 src1_sel:DWORD
; %bb.8780:                             ;   in Loop: Header=BB4_8645 Depth=3
	s_or_b64 exec, exec, s[28:29]
	flat_load_ubyte v4, v[12:13] offset:320 glc slc
	v_mov_b32_e32 v17, 0
	s_waitcnt vmcnt(0) lgkmcnt(0)
	v_cmp_ne_u16_e32 vcc, 0, v4
	s_and_saveexec_b64 s[28:29], vcc
	s_cbranch_execz .LBB4_8786
; %bb.8781:                             ;   in Loop: Header=BB4_8645 Depth=3
	v_cmp_ne_u16_e32 vcc, s70, v4
	v_bfrev_b32_e32 v17, 1
	s_and_saveexec_b64 s[34:35], vcc
	s_cbranch_execz .LBB4_8785
; %bb.8782:                             ;   in Loop: Header=BB4_8645 Depth=3
	v_and_b32_e32 v2, 0xffff, v4
	v_and_b32_e32 v21, 0x7f, v2
	v_cmp_ne_u32_e32 vcc, s68, v21
	v_mov_b32_e32 v17, 0x7f800001
	s_and_saveexec_b64 s[36:37], vcc
	s_cbranch_execz .LBB4_8784
; %bb.8783:                             ;   in Loop: Header=BB4_8645 Depth=3
	v_and_b32_e32 v17, 7, v2
	v_lshrrev_b32_e32 v22, 3, v21
	v_cmp_gt_u32_e32 vcc, 8, v21
	v_ffbh_u32_e32 v21, v17
	v_min_u32_e32 v21, 32, v21
	v_subrev_u32_e32 v23, 28, v21
	v_lshlrev_b64 v[24:25], v23, v[2:3]
	v_sub_u32_e32 v2, 29, v21
	v_and_b32_e32 v21, 7, v24
	v_cndmask_b32_e32 v2, v22, v2, vcc
	v_cndmask_b32_e32 v17, v17, v21, vcc
	v_lshlrev_b32_e32 v4, 24, v4
	v_lshlrev_b32_e32 v17, 20, v17
	v_and_b32_e32 v4, 0x80000000, v4
	v_lshl_add_u32 v2, v2, 23, v5
	v_or3_b32 v17, v4, v2, v17
.LBB4_8784:                             ;   in Loop: Header=BB4_8645 Depth=3
	s_or_b64 exec, exec, s[36:37]
.LBB4_8785:                             ;   in Loop: Header=BB4_8645 Depth=3
	s_or_b64 exec, exec, s[34:35]
.LBB4_8786:                             ;   in Loop: Header=BB4_8645 Depth=3
	s_or_b64 exec, exec, s[28:29]
	v_mul_f32_e32 v17, s44, v17
	v_and_b32_e32 v2, 0x7f800000, v17
	v_cmp_ne_u64_e32 vcc, s[62:63], v[2:3]
                                        ; implicit-def: $vgpr36
	s_and_saveexec_b64 s[28:29], vcc
	s_xor_b64 s[34:35], exec, s[28:29]
	s_cbranch_execz .LBB4_8804
; %bb.8787:                             ;   in Loop: Header=BB4_8645 Depth=3
	v_and_b32_e32 v2, 0x7fffffff, v17
	v_cmp_gt_u64_e32 vcc, s[72:73], v[2:3]
	v_and_b32_sdwa v4, v17, s70 dst_sel:DWORD dst_unused:UNUSED_PAD src0_sel:BYTE_3 src1_sel:DWORD
                                        ; implicit-def: $vgpr36
	s_and_saveexec_b64 s[28:29], vcc
	s_xor_b64 s[36:37], exec, s[28:29]
	s_cbranch_execz .LBB4_8801
; %bb.8788:                             ;   in Loop: Header=BB4_8645 Depth=3
	v_cmp_ne_u32_e32 vcc, 0, v17
	v_mov_b32_e32 v36, 0
	s_and_saveexec_b64 s[38:39], vcc
	s_cbranch_execz .LBB4_8800
; %bb.8789:                             ;   in Loop: Header=BB4_8645 Depth=3
	v_and_b32_e32 v2, 0x7fffff, v17
	v_bfe_u32 v17, v17, 23, 8
	v_cmp_gt_u32_e64 s[28:29], s71, v17
	v_sub_u32_e32 v21, 0x79, v17
	v_cmp_eq_u32_e32 vcc, 0, v17
	v_cndmask_b32_e64 v21, 0, v21, s[28:29]
	v_mov_b32_e32 v23, 0x78
	v_or_b32_e32 v22, 0x800000, v2
	v_cndmask_b32_e32 v21, v21, v23, vcc
	v_cndmask_b32_e32 v2, v22, v2, vcc
	v_add_u32_e32 v22, 20, v21
	v_lshlrev_b64 v[24:25], v22, -1
	v_add_u32_e32 v22, 19, v21
	v_lshlrev_b64 v[26:27], v22, 1
	v_lshrrev_b64 v[42:43], v21, v[2:3]
	v_bfi_b32 v25, v25, 0, 0
	v_bfi_b32 v24, v24, 0, v2
	v_cmp_eq_u64_e64 s[28:29], v[24:25], v[26:27]
	v_mov_b32_e32 v44, v43
	v_mov_b32_e32 v43, v42
	s_and_saveexec_b64 s[48:49], s[28:29]
; %bb.8790:                             ;   in Loop: Header=BB4_8645 Depth=3
	v_bfe_u32 v2, v42, 20, 1
	v_add_co_u32_e64 v2, s[28:29], v42, v2
	v_add_co_u32_e64 v43, s[28:29], -1, v2
; %bb.8791:                             ;   in Loop: Header=BB4_8645 Depth=3
	s_or_b64 exec, exec, s[48:49]
	v_add_u32_e32 v2, 0xffffff81, v17
	v_mov_b32_e32 v17, 0xffffff82
	v_cndmask_b32_e32 v2, v2, v17, vcc
	v_lshrrev_b32_e32 v17, 23, v42
	v_add3_u32 v24, v21, v2, v17
	v_add_u32_e32 v21, 6, v24
	v_and_b32_e32 v2, 0xfffff, v43
	v_add_u32_e32 v2, v2, v42
	v_cmp_ne_u32_e32 vcc, 0, v21
                                        ; implicit-def: $vgpr42_vgpr43
                                        ; implicit-def: $vgpr17
	s_and_saveexec_b64 s[28:29], vcc
	s_xor_b64 s[28:29], exec, s[28:29]
; %bb.8792:                             ;   in Loop: Header=BB4_8645 Depth=3
	v_cmp_lt_u64_e32 vcc, s[74:75], v[2:3]
	v_add_u32_e32 v17, 7, v24
	v_cndmask_b32_e32 v17, v21, v17, vcc
	v_cndmask_b32_e64 v21, 0, 1, vcc
	v_lshrrev_b64 v[42:43], v21, v[2:3]
; %bb.8793:                             ;   in Loop: Header=BB4_8645 Depth=3
	s_andn2_saveexec_b64 s[28:29], s[28:29]
; %bb.8794:                             ;   in Loop: Header=BB4_8645 Depth=3
	v_mov_b32_e32 v43, v3
	v_mov_b32_e32 v42, v2
	v_bfe_u32 v17, v2, 23, 1
; %bb.8795:                             ;   in Loop: Header=BB4_8645 Depth=3
	s_or_b64 exec, exec, s[28:29]
	v_lshrrev_b64 v[24:25], 20, v[42:43]
	v_cmp_gt_i32_e32 vcc, 16, v17
	v_cndmask_b32_e32 v43, 0, v25, vcc
	v_cndmask_b32_e32 v42, 7, v24, vcc
	v_cmp_ne_u64_e32 vcc, 0, v[42:43]
	v_cmp_ne_u32_e64 s[28:29], 0, v17
	s_or_b64 s[28:29], s[28:29], vcc
                                        ; implicit-def: $vgpr36
	s_and_saveexec_b64 vcc, s[28:29]
	s_xor_b64 s[28:29], exec, vcc
; %bb.8796:                             ;   in Loop: Header=BB4_8645 Depth=3
	v_min_i32_e32 v2, 15, v17
	v_lshl_or_b32 v2, v2, 3, v4
	v_and_or_b32 v36, v42, 7, v2
                                        ; implicit-def: $vgpr4
; %bb.8797:                             ;   in Loop: Header=BB4_8645 Depth=3
	s_andn2_saveexec_b64 s[28:29], s[28:29]
; %bb.8798:                             ;   in Loop: Header=BB4_8645 Depth=3
	v_mov_b32_e32 v36, v4
; %bb.8799:                             ;   in Loop: Header=BB4_8645 Depth=3
	s_or_b64 exec, exec, s[28:29]
.LBB4_8800:                             ;   in Loop: Header=BB4_8645 Depth=3
	s_or_b64 exec, exec, s[38:39]
                                        ; implicit-def: $vgpr4
.LBB4_8801:                             ;   in Loop: Header=BB4_8645 Depth=3
	s_andn2_saveexec_b64 s[28:29], s[36:37]
; %bb.8802:                             ;   in Loop: Header=BB4_8645 Depth=3
	v_or_b32_e32 v36, 0x7e, v4
; %bb.8803:                             ;   in Loop: Header=BB4_8645 Depth=3
	s_or_b64 exec, exec, s[28:29]
                                        ; implicit-def: $vgpr17
.LBB4_8804:                             ;   in Loop: Header=BB4_8645 Depth=3
	s_andn2_saveexec_b64 s[28:29], s[34:35]
; %bb.8805:                             ;   in Loop: Header=BB4_8645 Depth=3
	v_or_b32_sdwa v36, v17, s68 dst_sel:DWORD dst_unused:UNUSED_PAD src0_sel:BYTE_3 src1_sel:DWORD
; %bb.8806:                             ;   in Loop: Header=BB4_8645 Depth=3
	s_or_b64 exec, exec, s[28:29]
	flat_load_ubyte v4, v[12:13] offset:384 glc slc
	v_mov_b32_e32 v17, 0
	s_waitcnt vmcnt(0) lgkmcnt(0)
	v_cmp_ne_u16_e32 vcc, 0, v4
	s_and_saveexec_b64 s[28:29], vcc
	s_cbranch_execz .LBB4_8812
; %bb.8807:                             ;   in Loop: Header=BB4_8645 Depth=3
	v_cmp_ne_u16_e32 vcc, s70, v4
	v_bfrev_b32_e32 v17, 1
	s_and_saveexec_b64 s[34:35], vcc
	s_cbranch_execz .LBB4_8811
; %bb.8808:                             ;   in Loop: Header=BB4_8645 Depth=3
	v_and_b32_e32 v2, 0xffff, v4
	v_and_b32_e32 v21, 0x7f, v2
	v_cmp_ne_u32_e32 vcc, s68, v21
	v_mov_b32_e32 v17, 0x7f800001
	s_and_saveexec_b64 s[36:37], vcc
	s_cbranch_execz .LBB4_8810
; %bb.8809:                             ;   in Loop: Header=BB4_8645 Depth=3
	v_and_b32_e32 v17, 7, v2
	v_lshrrev_b32_e32 v22, 3, v21
	v_cmp_gt_u32_e32 vcc, 8, v21
	v_ffbh_u32_e32 v21, v17
	v_min_u32_e32 v21, 32, v21
	v_subrev_u32_e32 v23, 28, v21
	v_lshlrev_b64 v[24:25], v23, v[2:3]
	v_sub_u32_e32 v2, 29, v21
	v_and_b32_e32 v21, 7, v24
	v_cndmask_b32_e32 v2, v22, v2, vcc
	v_cndmask_b32_e32 v17, v17, v21, vcc
	v_lshlrev_b32_e32 v4, 24, v4
	v_lshlrev_b32_e32 v17, 20, v17
	v_and_b32_e32 v4, 0x80000000, v4
	v_lshl_add_u32 v2, v2, 23, v5
	v_or3_b32 v17, v4, v2, v17
.LBB4_8810:                             ;   in Loop: Header=BB4_8645 Depth=3
	s_or_b64 exec, exec, s[36:37]
.LBB4_8811:                             ;   in Loop: Header=BB4_8645 Depth=3
	s_or_b64 exec, exec, s[34:35]
.LBB4_8812:                             ;   in Loop: Header=BB4_8645 Depth=3
	s_or_b64 exec, exec, s[28:29]
	v_mul_f32_e32 v17, s44, v17
	v_and_b32_e32 v2, 0x7f800000, v17
	v_cmp_ne_u64_e32 vcc, s[62:63], v[2:3]
                                        ; implicit-def: $vgpr35
	s_and_saveexec_b64 s[28:29], vcc
	s_xor_b64 s[34:35], exec, s[28:29]
	s_cbranch_execz .LBB4_8830
; %bb.8813:                             ;   in Loop: Header=BB4_8645 Depth=3
	v_and_b32_e32 v2, 0x7fffffff, v17
	v_cmp_gt_u64_e32 vcc, s[72:73], v[2:3]
	v_and_b32_sdwa v4, v17, s70 dst_sel:DWORD dst_unused:UNUSED_PAD src0_sel:BYTE_3 src1_sel:DWORD
                                        ; implicit-def: $vgpr35
	s_and_saveexec_b64 s[28:29], vcc
	s_xor_b64 s[36:37], exec, s[28:29]
	s_cbranch_execz .LBB4_8827
; %bb.8814:                             ;   in Loop: Header=BB4_8645 Depth=3
	v_cmp_ne_u32_e32 vcc, 0, v17
	v_mov_b32_e32 v35, 0
	s_and_saveexec_b64 s[38:39], vcc
	s_cbranch_execz .LBB4_8826
; %bb.8815:                             ;   in Loop: Header=BB4_8645 Depth=3
	v_and_b32_e32 v2, 0x7fffff, v17
	v_bfe_u32 v17, v17, 23, 8
	v_cmp_gt_u32_e64 s[28:29], s71, v17
	v_sub_u32_e32 v21, 0x79, v17
	v_cmp_eq_u32_e32 vcc, 0, v17
	v_cndmask_b32_e64 v21, 0, v21, s[28:29]
	v_mov_b32_e32 v23, 0x78
	v_or_b32_e32 v22, 0x800000, v2
	v_cndmask_b32_e32 v21, v21, v23, vcc
	v_cndmask_b32_e32 v2, v22, v2, vcc
	v_add_u32_e32 v22, 20, v21
	v_lshlrev_b64 v[24:25], v22, -1
	v_add_u32_e32 v22, 19, v21
	v_lshlrev_b64 v[26:27], v22, 1
	v_lshrrev_b64 v[42:43], v21, v[2:3]
	v_bfi_b32 v25, v25, 0, 0
	v_bfi_b32 v24, v24, 0, v2
	v_cmp_eq_u64_e64 s[28:29], v[24:25], v[26:27]
	v_mov_b32_e32 v44, v43
	v_mov_b32_e32 v43, v42
	s_and_saveexec_b64 s[48:49], s[28:29]
; %bb.8816:                             ;   in Loop: Header=BB4_8645 Depth=3
	v_bfe_u32 v2, v42, 20, 1
	v_add_co_u32_e64 v2, s[28:29], v42, v2
	v_add_co_u32_e64 v43, s[28:29], -1, v2
; %bb.8817:                             ;   in Loop: Header=BB4_8645 Depth=3
	s_or_b64 exec, exec, s[48:49]
	v_add_u32_e32 v2, 0xffffff81, v17
	v_mov_b32_e32 v17, 0xffffff82
	v_cndmask_b32_e32 v2, v2, v17, vcc
	v_lshrrev_b32_e32 v17, 23, v42
	v_add3_u32 v24, v21, v2, v17
	v_add_u32_e32 v21, 6, v24
	v_and_b32_e32 v2, 0xfffff, v43
	v_add_u32_e32 v2, v2, v42
	v_cmp_ne_u32_e32 vcc, 0, v21
                                        ; implicit-def: $vgpr42_vgpr43
                                        ; implicit-def: $vgpr17
	s_and_saveexec_b64 s[28:29], vcc
	s_xor_b64 s[28:29], exec, s[28:29]
; %bb.8818:                             ;   in Loop: Header=BB4_8645 Depth=3
	v_cmp_lt_u64_e32 vcc, s[74:75], v[2:3]
	v_add_u32_e32 v17, 7, v24
	v_cndmask_b32_e32 v17, v21, v17, vcc
	v_cndmask_b32_e64 v21, 0, 1, vcc
	v_lshrrev_b64 v[42:43], v21, v[2:3]
; %bb.8819:                             ;   in Loop: Header=BB4_8645 Depth=3
	s_andn2_saveexec_b64 s[28:29], s[28:29]
; %bb.8820:                             ;   in Loop: Header=BB4_8645 Depth=3
	v_mov_b32_e32 v43, v3
	v_mov_b32_e32 v42, v2
	v_bfe_u32 v17, v2, 23, 1
; %bb.8821:                             ;   in Loop: Header=BB4_8645 Depth=3
	s_or_b64 exec, exec, s[28:29]
	v_lshrrev_b64 v[24:25], 20, v[42:43]
	v_cmp_gt_i32_e32 vcc, 16, v17
	v_cndmask_b32_e32 v43, 0, v25, vcc
	v_cndmask_b32_e32 v42, 7, v24, vcc
	v_cmp_ne_u64_e32 vcc, 0, v[42:43]
	v_cmp_ne_u32_e64 s[28:29], 0, v17
	s_or_b64 s[28:29], s[28:29], vcc
                                        ; implicit-def: $vgpr35
	s_and_saveexec_b64 vcc, s[28:29]
	s_xor_b64 s[28:29], exec, vcc
; %bb.8822:                             ;   in Loop: Header=BB4_8645 Depth=3
	v_min_i32_e32 v2, 15, v17
	v_lshl_or_b32 v2, v2, 3, v4
	v_and_or_b32 v35, v42, 7, v2
                                        ; implicit-def: $vgpr4
; %bb.8823:                             ;   in Loop: Header=BB4_8645 Depth=3
	s_andn2_saveexec_b64 s[28:29], s[28:29]
; %bb.8824:                             ;   in Loop: Header=BB4_8645 Depth=3
	v_mov_b32_e32 v35, v4
; %bb.8825:                             ;   in Loop: Header=BB4_8645 Depth=3
	s_or_b64 exec, exec, s[28:29]
.LBB4_8826:                             ;   in Loop: Header=BB4_8645 Depth=3
	s_or_b64 exec, exec, s[38:39]
                                        ; implicit-def: $vgpr4
.LBB4_8827:                             ;   in Loop: Header=BB4_8645 Depth=3
	s_andn2_saveexec_b64 s[28:29], s[36:37]
; %bb.8828:                             ;   in Loop: Header=BB4_8645 Depth=3
	v_or_b32_e32 v35, 0x7e, v4
; %bb.8829:                             ;   in Loop: Header=BB4_8645 Depth=3
	s_or_b64 exec, exec, s[28:29]
                                        ; implicit-def: $vgpr17
.LBB4_8830:                             ;   in Loop: Header=BB4_8645 Depth=3
	s_andn2_saveexec_b64 s[28:29], s[34:35]
; %bb.8831:                             ;   in Loop: Header=BB4_8645 Depth=3
	v_or_b32_sdwa v35, v17, s68 dst_sel:DWORD dst_unused:UNUSED_PAD src0_sel:BYTE_3 src1_sel:DWORD
; %bb.8832:                             ;   in Loop: Header=BB4_8645 Depth=3
	s_or_b64 exec, exec, s[28:29]
	flat_load_ubyte v4, v[12:13] offset:448 glc slc
	v_mov_b32_e32 v17, 0
	s_waitcnt vmcnt(0) lgkmcnt(0)
	v_cmp_ne_u16_e32 vcc, 0, v4
	s_and_saveexec_b64 s[28:29], vcc
	s_cbranch_execz .LBB4_8838
; %bb.8833:                             ;   in Loop: Header=BB4_8645 Depth=3
	v_cmp_ne_u16_e32 vcc, s70, v4
	v_bfrev_b32_e32 v17, 1
	s_and_saveexec_b64 s[34:35], vcc
	s_cbranch_execz .LBB4_8837
; %bb.8834:                             ;   in Loop: Header=BB4_8645 Depth=3
	v_and_b32_e32 v2, 0xffff, v4
	v_and_b32_e32 v21, 0x7f, v2
	v_cmp_ne_u32_e32 vcc, s68, v21
	v_mov_b32_e32 v17, 0x7f800001
	s_and_saveexec_b64 s[36:37], vcc
	s_cbranch_execz .LBB4_8836
; %bb.8835:                             ;   in Loop: Header=BB4_8645 Depth=3
	v_and_b32_e32 v17, 7, v2
	v_lshrrev_b32_e32 v22, 3, v21
	v_cmp_gt_u32_e32 vcc, 8, v21
	v_ffbh_u32_e32 v21, v17
	v_min_u32_e32 v21, 32, v21
	v_subrev_u32_e32 v23, 28, v21
	v_lshlrev_b64 v[24:25], v23, v[2:3]
	v_sub_u32_e32 v2, 29, v21
	v_and_b32_e32 v21, 7, v24
	v_cndmask_b32_e32 v2, v22, v2, vcc
	v_cndmask_b32_e32 v17, v17, v21, vcc
	v_lshlrev_b32_e32 v4, 24, v4
	v_lshlrev_b32_e32 v17, 20, v17
	v_and_b32_e32 v4, 0x80000000, v4
	v_lshl_add_u32 v2, v2, 23, v5
	v_or3_b32 v17, v4, v2, v17
.LBB4_8836:                             ;   in Loop: Header=BB4_8645 Depth=3
	s_or_b64 exec, exec, s[36:37]
.LBB4_8837:                             ;   in Loop: Header=BB4_8645 Depth=3
	s_or_b64 exec, exec, s[34:35]
.LBB4_8838:                             ;   in Loop: Header=BB4_8645 Depth=3
	s_or_b64 exec, exec, s[28:29]
	v_mul_f32_e32 v17, s44, v17
	v_and_b32_e32 v2, 0x7f800000, v17
	v_cmp_ne_u64_e32 vcc, s[62:63], v[2:3]
                                        ; implicit-def: $vgpr34
	s_and_saveexec_b64 s[28:29], vcc
	s_xor_b64 s[34:35], exec, s[28:29]
	s_cbranch_execz .LBB4_8856
; %bb.8839:                             ;   in Loop: Header=BB4_8645 Depth=3
	v_and_b32_e32 v2, 0x7fffffff, v17
	v_cmp_gt_u64_e32 vcc, s[72:73], v[2:3]
	v_and_b32_sdwa v4, v17, s70 dst_sel:DWORD dst_unused:UNUSED_PAD src0_sel:BYTE_3 src1_sel:DWORD
                                        ; implicit-def: $vgpr34
	s_and_saveexec_b64 s[28:29], vcc
	s_xor_b64 s[36:37], exec, s[28:29]
	s_cbranch_execz .LBB4_8853
; %bb.8840:                             ;   in Loop: Header=BB4_8645 Depth=3
	v_cmp_ne_u32_e32 vcc, 0, v17
	v_mov_b32_e32 v34, 0
	s_and_saveexec_b64 s[38:39], vcc
	s_cbranch_execz .LBB4_8852
; %bb.8841:                             ;   in Loop: Header=BB4_8645 Depth=3
	v_and_b32_e32 v2, 0x7fffff, v17
	v_bfe_u32 v17, v17, 23, 8
	v_cmp_gt_u32_e64 s[28:29], s71, v17
	v_sub_u32_e32 v21, 0x79, v17
	v_cmp_eq_u32_e32 vcc, 0, v17
	v_cndmask_b32_e64 v21, 0, v21, s[28:29]
	v_mov_b32_e32 v23, 0x78
	v_or_b32_e32 v22, 0x800000, v2
	v_cndmask_b32_e32 v21, v21, v23, vcc
	v_cndmask_b32_e32 v2, v22, v2, vcc
	v_add_u32_e32 v22, 20, v21
	v_lshlrev_b64 v[24:25], v22, -1
	v_add_u32_e32 v22, 19, v21
	v_lshlrev_b64 v[26:27], v22, 1
	v_lshrrev_b64 v[42:43], v21, v[2:3]
	v_bfi_b32 v25, v25, 0, 0
	v_bfi_b32 v24, v24, 0, v2
	v_cmp_eq_u64_e64 s[28:29], v[24:25], v[26:27]
	v_mov_b32_e32 v44, v43
	v_mov_b32_e32 v43, v42
	s_and_saveexec_b64 s[48:49], s[28:29]
; %bb.8842:                             ;   in Loop: Header=BB4_8645 Depth=3
	v_bfe_u32 v2, v42, 20, 1
	v_add_co_u32_e64 v2, s[28:29], v42, v2
	v_add_co_u32_e64 v43, s[28:29], -1, v2
; %bb.8843:                             ;   in Loop: Header=BB4_8645 Depth=3
	s_or_b64 exec, exec, s[48:49]
	v_add_u32_e32 v2, 0xffffff81, v17
	v_mov_b32_e32 v17, 0xffffff82
	v_cndmask_b32_e32 v2, v2, v17, vcc
	v_lshrrev_b32_e32 v17, 23, v42
	v_add3_u32 v24, v21, v2, v17
	v_add_u32_e32 v21, 6, v24
	v_and_b32_e32 v2, 0xfffff, v43
	v_add_u32_e32 v2, v2, v42
	v_cmp_ne_u32_e32 vcc, 0, v21
                                        ; implicit-def: $vgpr42_vgpr43
                                        ; implicit-def: $vgpr17
	s_and_saveexec_b64 s[28:29], vcc
	s_xor_b64 s[28:29], exec, s[28:29]
; %bb.8844:                             ;   in Loop: Header=BB4_8645 Depth=3
	v_cmp_lt_u64_e32 vcc, s[74:75], v[2:3]
	v_add_u32_e32 v17, 7, v24
	v_cndmask_b32_e32 v17, v21, v17, vcc
	v_cndmask_b32_e64 v21, 0, 1, vcc
	v_lshrrev_b64 v[42:43], v21, v[2:3]
; %bb.8845:                             ;   in Loop: Header=BB4_8645 Depth=3
	s_andn2_saveexec_b64 s[28:29], s[28:29]
; %bb.8846:                             ;   in Loop: Header=BB4_8645 Depth=3
	v_mov_b32_e32 v43, v3
	v_mov_b32_e32 v42, v2
	v_bfe_u32 v17, v2, 23, 1
; %bb.8847:                             ;   in Loop: Header=BB4_8645 Depth=3
	s_or_b64 exec, exec, s[28:29]
	v_lshrrev_b64 v[24:25], 20, v[42:43]
	v_cmp_gt_i32_e32 vcc, 16, v17
	v_cndmask_b32_e32 v43, 0, v25, vcc
	v_cndmask_b32_e32 v42, 7, v24, vcc
	v_cmp_ne_u64_e32 vcc, 0, v[42:43]
	v_cmp_ne_u32_e64 s[28:29], 0, v17
	s_or_b64 s[28:29], s[28:29], vcc
                                        ; implicit-def: $vgpr34
	s_and_saveexec_b64 vcc, s[28:29]
	s_xor_b64 s[28:29], exec, vcc
; %bb.8848:                             ;   in Loop: Header=BB4_8645 Depth=3
	v_min_i32_e32 v2, 15, v17
	v_lshl_or_b32 v2, v2, 3, v4
	v_and_or_b32 v34, v42, 7, v2
                                        ; implicit-def: $vgpr4
; %bb.8849:                             ;   in Loop: Header=BB4_8645 Depth=3
	s_andn2_saveexec_b64 s[28:29], s[28:29]
; %bb.8850:                             ;   in Loop: Header=BB4_8645 Depth=3
	v_mov_b32_e32 v34, v4
; %bb.8851:                             ;   in Loop: Header=BB4_8645 Depth=3
	s_or_b64 exec, exec, s[28:29]
.LBB4_8852:                             ;   in Loop: Header=BB4_8645 Depth=3
	s_or_b64 exec, exec, s[38:39]
                                        ; implicit-def: $vgpr4
.LBB4_8853:                             ;   in Loop: Header=BB4_8645 Depth=3
	s_andn2_saveexec_b64 s[28:29], s[36:37]
; %bb.8854:                             ;   in Loop: Header=BB4_8645 Depth=3
	v_or_b32_e32 v34, 0x7e, v4
; %bb.8855:                             ;   in Loop: Header=BB4_8645 Depth=3
	s_or_b64 exec, exec, s[28:29]
                                        ; implicit-def: $vgpr17
.LBB4_8856:                             ;   in Loop: Header=BB4_8645 Depth=3
	s_andn2_saveexec_b64 s[28:29], s[34:35]
; %bb.8857:                             ;   in Loop: Header=BB4_8645 Depth=3
	v_or_b32_sdwa v34, v17, s68 dst_sel:DWORD dst_unused:UNUSED_PAD src0_sel:BYTE_3 src1_sel:DWORD
; %bb.8858:                             ;   in Loop: Header=BB4_8645 Depth=3
	s_or_b64 exec, exec, s[28:29]
	flat_load_ubyte v4, v[12:13] offset:512 glc slc
	v_mov_b32_e32 v17, 0
	s_waitcnt vmcnt(0) lgkmcnt(0)
	v_cmp_ne_u16_e32 vcc, 0, v4
	s_and_saveexec_b64 s[28:29], vcc
	s_cbranch_execz .LBB4_8864
; %bb.8859:                             ;   in Loop: Header=BB4_8645 Depth=3
	v_cmp_ne_u16_e32 vcc, s70, v4
	v_bfrev_b32_e32 v17, 1
	s_and_saveexec_b64 s[34:35], vcc
	s_cbranch_execz .LBB4_8863
; %bb.8860:                             ;   in Loop: Header=BB4_8645 Depth=3
	v_and_b32_e32 v2, 0xffff, v4
	v_and_b32_e32 v21, 0x7f, v2
	v_cmp_ne_u32_e32 vcc, s68, v21
	v_mov_b32_e32 v17, 0x7f800001
	s_and_saveexec_b64 s[36:37], vcc
	s_cbranch_execz .LBB4_8862
; %bb.8861:                             ;   in Loop: Header=BB4_8645 Depth=3
	v_and_b32_e32 v17, 7, v2
	v_lshrrev_b32_e32 v22, 3, v21
	v_cmp_gt_u32_e32 vcc, 8, v21
	v_ffbh_u32_e32 v21, v17
	v_min_u32_e32 v21, 32, v21
	v_subrev_u32_e32 v23, 28, v21
	v_lshlrev_b64 v[24:25], v23, v[2:3]
	v_sub_u32_e32 v2, 29, v21
	v_and_b32_e32 v21, 7, v24
	v_cndmask_b32_e32 v2, v22, v2, vcc
	v_cndmask_b32_e32 v17, v17, v21, vcc
	v_lshlrev_b32_e32 v4, 24, v4
	v_lshlrev_b32_e32 v17, 20, v17
	v_and_b32_e32 v4, 0x80000000, v4
	v_lshl_add_u32 v2, v2, 23, v5
	v_or3_b32 v17, v4, v2, v17
.LBB4_8862:                             ;   in Loop: Header=BB4_8645 Depth=3
	s_or_b64 exec, exec, s[36:37]
.LBB4_8863:                             ;   in Loop: Header=BB4_8645 Depth=3
	s_or_b64 exec, exec, s[34:35]
.LBB4_8864:                             ;   in Loop: Header=BB4_8645 Depth=3
	s_or_b64 exec, exec, s[28:29]
	v_mul_f32_e32 v17, s44, v17
	v_and_b32_e32 v2, 0x7f800000, v17
	v_cmp_ne_u64_e32 vcc, s[62:63], v[2:3]
                                        ; implicit-def: $vgpr31
	s_and_saveexec_b64 s[28:29], vcc
	s_xor_b64 s[34:35], exec, s[28:29]
	s_cbranch_execz .LBB4_8882
; %bb.8865:                             ;   in Loop: Header=BB4_8645 Depth=3
	v_and_b32_e32 v2, 0x7fffffff, v17
	v_cmp_gt_u64_e32 vcc, s[72:73], v[2:3]
	v_and_b32_sdwa v4, v17, s70 dst_sel:DWORD dst_unused:UNUSED_PAD src0_sel:BYTE_3 src1_sel:DWORD
                                        ; implicit-def: $vgpr31
	s_and_saveexec_b64 s[28:29], vcc
	s_xor_b64 s[36:37], exec, s[28:29]
	s_cbranch_execz .LBB4_8879
; %bb.8866:                             ;   in Loop: Header=BB4_8645 Depth=3
	v_cmp_ne_u32_e32 vcc, 0, v17
	v_mov_b32_e32 v31, 0
	s_and_saveexec_b64 s[38:39], vcc
	s_cbranch_execz .LBB4_8878
; %bb.8867:                             ;   in Loop: Header=BB4_8645 Depth=3
	v_and_b32_e32 v2, 0x7fffff, v17
	v_bfe_u32 v17, v17, 23, 8
	v_cmp_gt_u32_e64 s[28:29], s71, v17
	v_sub_u32_e32 v21, 0x79, v17
	v_cmp_eq_u32_e32 vcc, 0, v17
	v_cndmask_b32_e64 v21, 0, v21, s[28:29]
	v_mov_b32_e32 v23, 0x78
	v_or_b32_e32 v22, 0x800000, v2
	v_cndmask_b32_e32 v21, v21, v23, vcc
	v_cndmask_b32_e32 v2, v22, v2, vcc
	v_add_u32_e32 v22, 20, v21
	v_lshlrev_b64 v[24:25], v22, -1
	v_add_u32_e32 v22, 19, v21
	v_lshlrev_b64 v[26:27], v22, 1
	v_lshrrev_b64 v[42:43], v21, v[2:3]
	v_bfi_b32 v25, v25, 0, 0
	v_bfi_b32 v24, v24, 0, v2
	v_cmp_eq_u64_e64 s[28:29], v[24:25], v[26:27]
	v_mov_b32_e32 v44, v43
	v_mov_b32_e32 v43, v42
	s_and_saveexec_b64 s[48:49], s[28:29]
; %bb.8868:                             ;   in Loop: Header=BB4_8645 Depth=3
	v_bfe_u32 v2, v42, 20, 1
	v_add_co_u32_e64 v2, s[28:29], v42, v2
	v_add_co_u32_e64 v43, s[28:29], -1, v2
; %bb.8869:                             ;   in Loop: Header=BB4_8645 Depth=3
	s_or_b64 exec, exec, s[48:49]
	v_add_u32_e32 v2, 0xffffff81, v17
	v_mov_b32_e32 v17, 0xffffff82
	v_cndmask_b32_e32 v2, v2, v17, vcc
	v_lshrrev_b32_e32 v17, 23, v42
	v_add3_u32 v24, v21, v2, v17
	v_add_u32_e32 v21, 6, v24
	v_and_b32_e32 v2, 0xfffff, v43
	v_add_u32_e32 v2, v2, v42
	v_cmp_ne_u32_e32 vcc, 0, v21
                                        ; implicit-def: $vgpr42_vgpr43
                                        ; implicit-def: $vgpr17
	s_and_saveexec_b64 s[28:29], vcc
	s_xor_b64 s[28:29], exec, s[28:29]
; %bb.8870:                             ;   in Loop: Header=BB4_8645 Depth=3
	v_cmp_lt_u64_e32 vcc, s[74:75], v[2:3]
	v_add_u32_e32 v17, 7, v24
	v_cndmask_b32_e32 v17, v21, v17, vcc
	v_cndmask_b32_e64 v21, 0, 1, vcc
	v_lshrrev_b64 v[42:43], v21, v[2:3]
; %bb.8871:                             ;   in Loop: Header=BB4_8645 Depth=3
	s_andn2_saveexec_b64 s[28:29], s[28:29]
; %bb.8872:                             ;   in Loop: Header=BB4_8645 Depth=3
	v_mov_b32_e32 v43, v3
	v_mov_b32_e32 v42, v2
	v_bfe_u32 v17, v2, 23, 1
; %bb.8873:                             ;   in Loop: Header=BB4_8645 Depth=3
	s_or_b64 exec, exec, s[28:29]
	v_lshrrev_b64 v[24:25], 20, v[42:43]
	v_cmp_gt_i32_e32 vcc, 16, v17
	v_cndmask_b32_e32 v43, 0, v25, vcc
	v_cndmask_b32_e32 v42, 7, v24, vcc
	v_cmp_ne_u64_e32 vcc, 0, v[42:43]
	v_cmp_ne_u32_e64 s[28:29], 0, v17
	s_or_b64 s[28:29], s[28:29], vcc
                                        ; implicit-def: $vgpr31
	s_and_saveexec_b64 vcc, s[28:29]
	s_xor_b64 s[28:29], exec, vcc
; %bb.8874:                             ;   in Loop: Header=BB4_8645 Depth=3
	v_min_i32_e32 v2, 15, v17
	v_lshl_or_b32 v2, v2, 3, v4
	v_and_or_b32 v31, v42, 7, v2
                                        ; implicit-def: $vgpr4
; %bb.8875:                             ;   in Loop: Header=BB4_8645 Depth=3
	s_andn2_saveexec_b64 s[28:29], s[28:29]
; %bb.8876:                             ;   in Loop: Header=BB4_8645 Depth=3
	v_mov_b32_e32 v31, v4
; %bb.8877:                             ;   in Loop: Header=BB4_8645 Depth=3
	s_or_b64 exec, exec, s[28:29]
.LBB4_8878:                             ;   in Loop: Header=BB4_8645 Depth=3
	s_or_b64 exec, exec, s[38:39]
                                        ; implicit-def: $vgpr4
.LBB4_8879:                             ;   in Loop: Header=BB4_8645 Depth=3
	s_andn2_saveexec_b64 s[28:29], s[36:37]
; %bb.8880:                             ;   in Loop: Header=BB4_8645 Depth=3
	v_or_b32_e32 v31, 0x7e, v4
; %bb.8881:                             ;   in Loop: Header=BB4_8645 Depth=3
	s_or_b64 exec, exec, s[28:29]
                                        ; implicit-def: $vgpr17
.LBB4_8882:                             ;   in Loop: Header=BB4_8645 Depth=3
	s_andn2_saveexec_b64 s[28:29], s[34:35]
; %bb.8883:                             ;   in Loop: Header=BB4_8645 Depth=3
	v_or_b32_sdwa v31, v17, s68 dst_sel:DWORD dst_unused:UNUSED_PAD src0_sel:BYTE_3 src1_sel:DWORD
; %bb.8884:                             ;   in Loop: Header=BB4_8645 Depth=3
	s_or_b64 exec, exec, s[28:29]
	flat_load_ubyte v4, v[12:13] offset:576 glc slc
	v_mov_b32_e32 v17, 0
	s_waitcnt vmcnt(0) lgkmcnt(0)
	v_cmp_ne_u16_e32 vcc, 0, v4
	s_and_saveexec_b64 s[28:29], vcc
	s_cbranch_execz .LBB4_8890
; %bb.8885:                             ;   in Loop: Header=BB4_8645 Depth=3
	v_cmp_ne_u16_e32 vcc, s70, v4
	v_bfrev_b32_e32 v17, 1
	s_and_saveexec_b64 s[34:35], vcc
	s_cbranch_execz .LBB4_8889
; %bb.8886:                             ;   in Loop: Header=BB4_8645 Depth=3
	v_and_b32_e32 v2, 0xffff, v4
	v_and_b32_e32 v21, 0x7f, v2
	v_cmp_ne_u32_e32 vcc, s68, v21
	v_mov_b32_e32 v17, 0x7f800001
	s_and_saveexec_b64 s[36:37], vcc
	s_cbranch_execz .LBB4_8888
; %bb.8887:                             ;   in Loop: Header=BB4_8645 Depth=3
	v_and_b32_e32 v17, 7, v2
	v_lshrrev_b32_e32 v22, 3, v21
	v_cmp_gt_u32_e32 vcc, 8, v21
	v_ffbh_u32_e32 v21, v17
	v_min_u32_e32 v21, 32, v21
	v_subrev_u32_e32 v23, 28, v21
	v_lshlrev_b64 v[24:25], v23, v[2:3]
	v_sub_u32_e32 v2, 29, v21
	v_and_b32_e32 v21, 7, v24
	v_cndmask_b32_e32 v2, v22, v2, vcc
	v_cndmask_b32_e32 v17, v17, v21, vcc
	v_lshlrev_b32_e32 v4, 24, v4
	v_lshlrev_b32_e32 v17, 20, v17
	v_and_b32_e32 v4, 0x80000000, v4
	v_lshl_add_u32 v2, v2, 23, v5
	v_or3_b32 v17, v4, v2, v17
.LBB4_8888:                             ;   in Loop: Header=BB4_8645 Depth=3
	s_or_b64 exec, exec, s[36:37]
.LBB4_8889:                             ;   in Loop: Header=BB4_8645 Depth=3
	s_or_b64 exec, exec, s[34:35]
.LBB4_8890:                             ;   in Loop: Header=BB4_8645 Depth=3
	s_or_b64 exec, exec, s[28:29]
	v_mul_f32_e32 v17, s44, v17
	v_and_b32_e32 v2, 0x7f800000, v17
	v_cmp_ne_u64_e32 vcc, s[62:63], v[2:3]
                                        ; implicit-def: $vgpr28
	s_and_saveexec_b64 s[28:29], vcc
	s_xor_b64 s[34:35], exec, s[28:29]
	s_cbranch_execz .LBB4_8908
; %bb.8891:                             ;   in Loop: Header=BB4_8645 Depth=3
	v_and_b32_e32 v2, 0x7fffffff, v17
	v_cmp_gt_u64_e32 vcc, s[72:73], v[2:3]
	v_and_b32_sdwa v4, v17, s70 dst_sel:DWORD dst_unused:UNUSED_PAD src0_sel:BYTE_3 src1_sel:DWORD
                                        ; implicit-def: $vgpr28
	s_and_saveexec_b64 s[28:29], vcc
	s_xor_b64 s[36:37], exec, s[28:29]
	s_cbranch_execz .LBB4_8905
; %bb.8892:                             ;   in Loop: Header=BB4_8645 Depth=3
	v_cmp_ne_u32_e32 vcc, 0, v17
	v_mov_b32_e32 v28, 0
	s_and_saveexec_b64 s[38:39], vcc
	s_cbranch_execz .LBB4_8904
; %bb.8893:                             ;   in Loop: Header=BB4_8645 Depth=3
	v_and_b32_e32 v2, 0x7fffff, v17
	v_bfe_u32 v17, v17, 23, 8
	v_cmp_gt_u32_e64 s[28:29], s71, v17
	v_sub_u32_e32 v21, 0x79, v17
	v_cmp_eq_u32_e32 vcc, 0, v17
	v_cndmask_b32_e64 v21, 0, v21, s[28:29]
	v_mov_b32_e32 v23, 0x78
	v_or_b32_e32 v22, 0x800000, v2
	v_cndmask_b32_e32 v21, v21, v23, vcc
	v_cndmask_b32_e32 v2, v22, v2, vcc
	v_add_u32_e32 v22, 20, v21
	v_lshlrev_b64 v[24:25], v22, -1
	v_add_u32_e32 v22, 19, v21
	v_lshlrev_b64 v[26:27], v22, 1
	v_lshrrev_b64 v[42:43], v21, v[2:3]
	v_bfi_b32 v25, v25, 0, 0
	v_bfi_b32 v24, v24, 0, v2
	v_cmp_eq_u64_e64 s[28:29], v[24:25], v[26:27]
	v_mov_b32_e32 v44, v43
	v_mov_b32_e32 v43, v42
	s_and_saveexec_b64 s[48:49], s[28:29]
; %bb.8894:                             ;   in Loop: Header=BB4_8645 Depth=3
	v_bfe_u32 v2, v42, 20, 1
	v_add_co_u32_e64 v2, s[28:29], v42, v2
	v_add_co_u32_e64 v43, s[28:29], -1, v2
; %bb.8895:                             ;   in Loop: Header=BB4_8645 Depth=3
	s_or_b64 exec, exec, s[48:49]
	v_add_u32_e32 v2, 0xffffff81, v17
	v_mov_b32_e32 v17, 0xffffff82
	v_cndmask_b32_e32 v2, v2, v17, vcc
	v_lshrrev_b32_e32 v17, 23, v42
	v_add3_u32 v24, v21, v2, v17
	v_add_u32_e32 v21, 6, v24
	v_and_b32_e32 v2, 0xfffff, v43
	v_add_u32_e32 v2, v2, v42
	v_cmp_ne_u32_e32 vcc, 0, v21
                                        ; implicit-def: $vgpr42_vgpr43
                                        ; implicit-def: $vgpr17
	s_and_saveexec_b64 s[28:29], vcc
	s_xor_b64 s[28:29], exec, s[28:29]
; %bb.8896:                             ;   in Loop: Header=BB4_8645 Depth=3
	v_cmp_lt_u64_e32 vcc, s[74:75], v[2:3]
	v_add_u32_e32 v17, 7, v24
	v_cndmask_b32_e32 v17, v21, v17, vcc
	v_cndmask_b32_e64 v21, 0, 1, vcc
	v_lshrrev_b64 v[42:43], v21, v[2:3]
; %bb.8897:                             ;   in Loop: Header=BB4_8645 Depth=3
	s_andn2_saveexec_b64 s[28:29], s[28:29]
; %bb.8898:                             ;   in Loop: Header=BB4_8645 Depth=3
	v_mov_b32_e32 v43, v3
	v_mov_b32_e32 v42, v2
	v_bfe_u32 v17, v2, 23, 1
; %bb.8899:                             ;   in Loop: Header=BB4_8645 Depth=3
	s_or_b64 exec, exec, s[28:29]
	v_lshrrev_b64 v[24:25], 20, v[42:43]
	v_cmp_gt_i32_e32 vcc, 16, v17
	v_cndmask_b32_e32 v43, 0, v25, vcc
	v_cndmask_b32_e32 v42, 7, v24, vcc
	v_cmp_ne_u64_e32 vcc, 0, v[42:43]
	v_cmp_ne_u32_e64 s[28:29], 0, v17
	s_or_b64 s[28:29], s[28:29], vcc
                                        ; implicit-def: $vgpr28
	s_and_saveexec_b64 vcc, s[28:29]
	s_xor_b64 s[28:29], exec, vcc
; %bb.8900:                             ;   in Loop: Header=BB4_8645 Depth=3
	v_min_i32_e32 v2, 15, v17
	v_lshl_or_b32 v2, v2, 3, v4
	v_and_or_b32 v28, v42, 7, v2
                                        ; implicit-def: $vgpr4
; %bb.8901:                             ;   in Loop: Header=BB4_8645 Depth=3
	s_andn2_saveexec_b64 s[28:29], s[28:29]
; %bb.8902:                             ;   in Loop: Header=BB4_8645 Depth=3
	v_mov_b32_e32 v28, v4
; %bb.8903:                             ;   in Loop: Header=BB4_8645 Depth=3
	s_or_b64 exec, exec, s[28:29]
.LBB4_8904:                             ;   in Loop: Header=BB4_8645 Depth=3
	s_or_b64 exec, exec, s[38:39]
                                        ; implicit-def: $vgpr4
.LBB4_8905:                             ;   in Loop: Header=BB4_8645 Depth=3
	s_andn2_saveexec_b64 s[28:29], s[36:37]
; %bb.8906:                             ;   in Loop: Header=BB4_8645 Depth=3
	v_or_b32_e32 v28, 0x7e, v4
; %bb.8907:                             ;   in Loop: Header=BB4_8645 Depth=3
	s_or_b64 exec, exec, s[28:29]
                                        ; implicit-def: $vgpr17
.LBB4_8908:                             ;   in Loop: Header=BB4_8645 Depth=3
	s_andn2_saveexec_b64 s[28:29], s[34:35]
; %bb.8909:                             ;   in Loop: Header=BB4_8645 Depth=3
	v_or_b32_sdwa v28, v17, s68 dst_sel:DWORD dst_unused:UNUSED_PAD src0_sel:BYTE_3 src1_sel:DWORD
; %bb.8910:                             ;   in Loop: Header=BB4_8645 Depth=3
	s_or_b64 exec, exec, s[28:29]
	flat_load_ubyte v4, v[12:13] offset:640 glc slc
	v_mov_b32_e32 v17, 0
	s_waitcnt vmcnt(0) lgkmcnt(0)
	v_cmp_ne_u16_e32 vcc, 0, v4
	s_and_saveexec_b64 s[28:29], vcc
	s_cbranch_execz .LBB4_8916
; %bb.8911:                             ;   in Loop: Header=BB4_8645 Depth=3
	v_cmp_ne_u16_e32 vcc, s70, v4
	v_bfrev_b32_e32 v17, 1
	s_and_saveexec_b64 s[34:35], vcc
	s_cbranch_execz .LBB4_8915
; %bb.8912:                             ;   in Loop: Header=BB4_8645 Depth=3
	v_and_b32_e32 v2, 0xffff, v4
	v_and_b32_e32 v21, 0x7f, v2
	v_cmp_ne_u32_e32 vcc, s68, v21
	v_mov_b32_e32 v17, 0x7f800001
	s_and_saveexec_b64 s[36:37], vcc
	s_cbranch_execz .LBB4_8914
; %bb.8913:                             ;   in Loop: Header=BB4_8645 Depth=3
	v_and_b32_e32 v17, 7, v2
	v_lshrrev_b32_e32 v22, 3, v21
	v_cmp_gt_u32_e32 vcc, 8, v21
	v_ffbh_u32_e32 v21, v17
	v_min_u32_e32 v21, 32, v21
	v_subrev_u32_e32 v23, 28, v21
	v_lshlrev_b64 v[24:25], v23, v[2:3]
	v_sub_u32_e32 v2, 29, v21
	v_and_b32_e32 v21, 7, v24
	v_cndmask_b32_e32 v2, v22, v2, vcc
	v_cndmask_b32_e32 v17, v17, v21, vcc
	v_lshlrev_b32_e32 v4, 24, v4
	v_lshlrev_b32_e32 v17, 20, v17
	v_and_b32_e32 v4, 0x80000000, v4
	v_lshl_add_u32 v2, v2, 23, v5
	v_or3_b32 v17, v4, v2, v17
.LBB4_8914:                             ;   in Loop: Header=BB4_8645 Depth=3
	s_or_b64 exec, exec, s[36:37]
.LBB4_8915:                             ;   in Loop: Header=BB4_8645 Depth=3
	s_or_b64 exec, exec, s[34:35]
.LBB4_8916:                             ;   in Loop: Header=BB4_8645 Depth=3
	s_or_b64 exec, exec, s[28:29]
	v_mul_f32_e32 v17, s44, v17
	v_and_b32_e32 v2, 0x7f800000, v17
	v_cmp_ne_u64_e32 vcc, s[62:63], v[2:3]
                                        ; implicit-def: $vgpr27
	s_and_saveexec_b64 s[28:29], vcc
	s_xor_b64 s[34:35], exec, s[28:29]
	s_cbranch_execz .LBB4_8934
; %bb.8917:                             ;   in Loop: Header=BB4_8645 Depth=3
	v_and_b32_e32 v2, 0x7fffffff, v17
	v_cmp_gt_u64_e32 vcc, s[72:73], v[2:3]
	v_and_b32_sdwa v4, v17, s70 dst_sel:DWORD dst_unused:UNUSED_PAD src0_sel:BYTE_3 src1_sel:DWORD
                                        ; implicit-def: $vgpr27
	s_and_saveexec_b64 s[28:29], vcc
	s_xor_b64 s[36:37], exec, s[28:29]
	s_cbranch_execz .LBB4_8931
; %bb.8918:                             ;   in Loop: Header=BB4_8645 Depth=3
	v_cmp_ne_u32_e32 vcc, 0, v17
	v_mov_b32_e32 v27, 0
	s_and_saveexec_b64 s[38:39], vcc
	s_cbranch_execz .LBB4_8930
; %bb.8919:                             ;   in Loop: Header=BB4_8645 Depth=3
	v_and_b32_e32 v2, 0x7fffff, v17
	v_bfe_u32 v17, v17, 23, 8
	v_cmp_gt_u32_e64 s[28:29], s71, v17
	v_sub_u32_e32 v21, 0x79, v17
	v_cmp_eq_u32_e32 vcc, 0, v17
	v_cndmask_b32_e64 v21, 0, v21, s[28:29]
	v_mov_b32_e32 v23, 0x78
	v_or_b32_e32 v22, 0x800000, v2
	v_cndmask_b32_e32 v21, v21, v23, vcc
	v_cndmask_b32_e32 v2, v22, v2, vcc
	v_add_u32_e32 v22, 20, v21
	v_lshlrev_b64 v[24:25], v22, -1
	v_add_u32_e32 v22, 19, v21
	v_lshlrev_b64 v[26:27], v22, 1
	v_lshrrev_b64 v[42:43], v21, v[2:3]
	v_bfi_b32 v25, v25, 0, 0
	v_bfi_b32 v24, v24, 0, v2
	v_cmp_eq_u64_e64 s[28:29], v[24:25], v[26:27]
	v_mov_b32_e32 v44, v43
	v_mov_b32_e32 v43, v42
	s_and_saveexec_b64 s[48:49], s[28:29]
; %bb.8920:                             ;   in Loop: Header=BB4_8645 Depth=3
	v_bfe_u32 v2, v42, 20, 1
	v_add_co_u32_e64 v2, s[28:29], v42, v2
	v_add_co_u32_e64 v43, s[28:29], -1, v2
; %bb.8921:                             ;   in Loop: Header=BB4_8645 Depth=3
	s_or_b64 exec, exec, s[48:49]
	v_add_u32_e32 v2, 0xffffff81, v17
	v_mov_b32_e32 v17, 0xffffff82
	v_cndmask_b32_e32 v2, v2, v17, vcc
	v_lshrrev_b32_e32 v17, 23, v42
	v_add3_u32 v24, v21, v2, v17
	v_add_u32_e32 v21, 6, v24
	v_and_b32_e32 v2, 0xfffff, v43
	v_add_u32_e32 v2, v2, v42
	v_cmp_ne_u32_e32 vcc, 0, v21
                                        ; implicit-def: $vgpr42_vgpr43
                                        ; implicit-def: $vgpr17
	s_and_saveexec_b64 s[28:29], vcc
	s_xor_b64 s[28:29], exec, s[28:29]
; %bb.8922:                             ;   in Loop: Header=BB4_8645 Depth=3
	v_cmp_lt_u64_e32 vcc, s[74:75], v[2:3]
	v_add_u32_e32 v17, 7, v24
	v_cndmask_b32_e32 v17, v21, v17, vcc
	v_cndmask_b32_e64 v21, 0, 1, vcc
	v_lshrrev_b64 v[42:43], v21, v[2:3]
; %bb.8923:                             ;   in Loop: Header=BB4_8645 Depth=3
	s_andn2_saveexec_b64 s[28:29], s[28:29]
; %bb.8924:                             ;   in Loop: Header=BB4_8645 Depth=3
	v_mov_b32_e32 v43, v3
	v_mov_b32_e32 v42, v2
	v_bfe_u32 v17, v2, 23, 1
; %bb.8925:                             ;   in Loop: Header=BB4_8645 Depth=3
	s_or_b64 exec, exec, s[28:29]
	v_lshrrev_b64 v[24:25], 20, v[42:43]
	v_cmp_gt_i32_e32 vcc, 16, v17
	v_cndmask_b32_e32 v43, 0, v25, vcc
	v_cndmask_b32_e32 v42, 7, v24, vcc
	v_cmp_ne_u64_e32 vcc, 0, v[42:43]
	v_cmp_ne_u32_e64 s[28:29], 0, v17
	s_or_b64 s[28:29], s[28:29], vcc
                                        ; implicit-def: $vgpr27
	s_and_saveexec_b64 vcc, s[28:29]
	s_xor_b64 s[28:29], exec, vcc
; %bb.8926:                             ;   in Loop: Header=BB4_8645 Depth=3
	v_min_i32_e32 v2, 15, v17
	v_lshl_or_b32 v2, v2, 3, v4
	v_and_or_b32 v27, v42, 7, v2
                                        ; implicit-def: $vgpr4
; %bb.8927:                             ;   in Loop: Header=BB4_8645 Depth=3
	s_andn2_saveexec_b64 s[28:29], s[28:29]
; %bb.8928:                             ;   in Loop: Header=BB4_8645 Depth=3
	v_mov_b32_e32 v27, v4
; %bb.8929:                             ;   in Loop: Header=BB4_8645 Depth=3
	s_or_b64 exec, exec, s[28:29]
.LBB4_8930:                             ;   in Loop: Header=BB4_8645 Depth=3
	s_or_b64 exec, exec, s[38:39]
                                        ; implicit-def: $vgpr4
.LBB4_8931:                             ;   in Loop: Header=BB4_8645 Depth=3
	s_andn2_saveexec_b64 s[28:29], s[36:37]
; %bb.8932:                             ;   in Loop: Header=BB4_8645 Depth=3
	v_or_b32_e32 v27, 0x7e, v4
; %bb.8933:                             ;   in Loop: Header=BB4_8645 Depth=3
	s_or_b64 exec, exec, s[28:29]
                                        ; implicit-def: $vgpr17
.LBB4_8934:                             ;   in Loop: Header=BB4_8645 Depth=3
	s_andn2_saveexec_b64 s[28:29], s[34:35]
; %bb.8935:                             ;   in Loop: Header=BB4_8645 Depth=3
	v_or_b32_sdwa v27, v17, s68 dst_sel:DWORD dst_unused:UNUSED_PAD src0_sel:BYTE_3 src1_sel:DWORD
; %bb.8936:                             ;   in Loop: Header=BB4_8645 Depth=3
	s_or_b64 exec, exec, s[28:29]
	flat_load_ubyte v4, v[12:13] offset:704 glc slc
	v_mov_b32_e32 v17, 0
	s_waitcnt vmcnt(0) lgkmcnt(0)
	v_cmp_ne_u16_e32 vcc, 0, v4
	s_and_saveexec_b64 s[28:29], vcc
	s_cbranch_execz .LBB4_8942
; %bb.8937:                             ;   in Loop: Header=BB4_8645 Depth=3
	v_cmp_ne_u16_e32 vcc, s70, v4
	v_bfrev_b32_e32 v17, 1
	s_and_saveexec_b64 s[34:35], vcc
	s_cbranch_execz .LBB4_8941
; %bb.8938:                             ;   in Loop: Header=BB4_8645 Depth=3
	v_and_b32_e32 v2, 0xffff, v4
	v_and_b32_e32 v21, 0x7f, v2
	v_cmp_ne_u32_e32 vcc, s68, v21
	v_mov_b32_e32 v17, 0x7f800001
	s_and_saveexec_b64 s[36:37], vcc
	s_cbranch_execz .LBB4_8940
; %bb.8939:                             ;   in Loop: Header=BB4_8645 Depth=3
	v_and_b32_e32 v17, 7, v2
	v_lshrrev_b32_e32 v22, 3, v21
	v_cmp_gt_u32_e32 vcc, 8, v21
	v_ffbh_u32_e32 v21, v17
	v_min_u32_e32 v21, 32, v21
	v_subrev_u32_e32 v23, 28, v21
	v_lshlrev_b64 v[24:25], v23, v[2:3]
	v_sub_u32_e32 v2, 29, v21
	v_and_b32_e32 v21, 7, v24
	v_cndmask_b32_e32 v2, v22, v2, vcc
	v_cndmask_b32_e32 v17, v17, v21, vcc
	v_lshlrev_b32_e32 v4, 24, v4
	v_lshlrev_b32_e32 v17, 20, v17
	v_and_b32_e32 v4, 0x80000000, v4
	v_lshl_add_u32 v2, v2, 23, v5
	v_or3_b32 v17, v4, v2, v17
.LBB4_8940:                             ;   in Loop: Header=BB4_8645 Depth=3
	s_or_b64 exec, exec, s[36:37]
.LBB4_8941:                             ;   in Loop: Header=BB4_8645 Depth=3
	s_or_b64 exec, exec, s[34:35]
.LBB4_8942:                             ;   in Loop: Header=BB4_8645 Depth=3
	s_or_b64 exec, exec, s[28:29]
	v_mul_f32_e32 v17, s44, v17
	v_and_b32_e32 v2, 0x7f800000, v17
	v_cmp_ne_u64_e32 vcc, s[62:63], v[2:3]
                                        ; implicit-def: $vgpr26
	s_and_saveexec_b64 s[28:29], vcc
	s_xor_b64 s[34:35], exec, s[28:29]
	s_cbranch_execz .LBB4_8960
; %bb.8943:                             ;   in Loop: Header=BB4_8645 Depth=3
	v_and_b32_e32 v2, 0x7fffffff, v17
	v_cmp_gt_u64_e32 vcc, s[72:73], v[2:3]
	v_and_b32_sdwa v4, v17, s70 dst_sel:DWORD dst_unused:UNUSED_PAD src0_sel:BYTE_3 src1_sel:DWORD
                                        ; implicit-def: $vgpr26
	s_and_saveexec_b64 s[28:29], vcc
	s_xor_b64 s[36:37], exec, s[28:29]
	s_cbranch_execz .LBB4_8957
; %bb.8944:                             ;   in Loop: Header=BB4_8645 Depth=3
	v_cmp_ne_u32_e32 vcc, 0, v17
	v_mov_b32_e32 v26, 0
	s_and_saveexec_b64 s[38:39], vcc
	s_cbranch_execz .LBB4_8956
; %bb.8945:                             ;   in Loop: Header=BB4_8645 Depth=3
	v_and_b32_e32 v2, 0x7fffff, v17
	v_bfe_u32 v17, v17, 23, 8
	v_cmp_gt_u32_e64 s[28:29], s71, v17
	v_sub_u32_e32 v21, 0x79, v17
	v_cmp_eq_u32_e32 vcc, 0, v17
	v_cndmask_b32_e64 v21, 0, v21, s[28:29]
	v_mov_b32_e32 v23, 0x78
	v_or_b32_e32 v22, 0x800000, v2
	v_cndmask_b32_e32 v21, v21, v23, vcc
	v_cndmask_b32_e32 v2, v22, v2, vcc
	v_add_u32_e32 v22, 20, v21
	v_lshlrev_b64 v[24:25], v22, -1
	v_add_u32_e32 v22, 19, v21
	v_lshlrev_b64 v[49:50], v22, 1
	v_lshrrev_b64 v[42:43], v21, v[2:3]
	v_bfi_b32 v25, v25, 0, 0
	v_bfi_b32 v24, v24, 0, v2
	v_cmp_eq_u64_e64 s[28:29], v[24:25], v[49:50]
	v_mov_b32_e32 v44, v43
	v_mov_b32_e32 v43, v42
	s_and_saveexec_b64 s[48:49], s[28:29]
; %bb.8946:                             ;   in Loop: Header=BB4_8645 Depth=3
	v_bfe_u32 v2, v42, 20, 1
	v_add_co_u32_e64 v2, s[28:29], v42, v2
	v_add_co_u32_e64 v43, s[28:29], -1, v2
; %bb.8947:                             ;   in Loop: Header=BB4_8645 Depth=3
	s_or_b64 exec, exec, s[48:49]
	v_add_u32_e32 v2, 0xffffff81, v17
	v_mov_b32_e32 v17, 0xffffff82
	v_cndmask_b32_e32 v2, v2, v17, vcc
	v_lshrrev_b32_e32 v17, 23, v42
	v_add3_u32 v24, v21, v2, v17
	v_add_u32_e32 v21, 6, v24
	v_and_b32_e32 v2, 0xfffff, v43
	v_add_u32_e32 v2, v2, v42
	v_cmp_ne_u32_e32 vcc, 0, v21
                                        ; implicit-def: $vgpr42_vgpr43
                                        ; implicit-def: $vgpr17
	s_and_saveexec_b64 s[28:29], vcc
	s_xor_b64 s[28:29], exec, s[28:29]
; %bb.8948:                             ;   in Loop: Header=BB4_8645 Depth=3
	v_cmp_lt_u64_e32 vcc, s[74:75], v[2:3]
	v_add_u32_e32 v17, 7, v24
	v_cndmask_b32_e32 v17, v21, v17, vcc
	v_cndmask_b32_e64 v21, 0, 1, vcc
	v_lshrrev_b64 v[42:43], v21, v[2:3]
; %bb.8949:                             ;   in Loop: Header=BB4_8645 Depth=3
	s_andn2_saveexec_b64 s[28:29], s[28:29]
; %bb.8950:                             ;   in Loop: Header=BB4_8645 Depth=3
	v_mov_b32_e32 v43, v3
	v_mov_b32_e32 v42, v2
	v_bfe_u32 v17, v2, 23, 1
; %bb.8951:                             ;   in Loop: Header=BB4_8645 Depth=3
	s_or_b64 exec, exec, s[28:29]
	v_lshrrev_b64 v[24:25], 20, v[42:43]
	v_cmp_gt_i32_e32 vcc, 16, v17
	v_cndmask_b32_e32 v43, 0, v25, vcc
	v_cndmask_b32_e32 v42, 7, v24, vcc
	v_cmp_ne_u64_e32 vcc, 0, v[42:43]
	v_cmp_ne_u32_e64 s[28:29], 0, v17
	s_or_b64 s[28:29], s[28:29], vcc
                                        ; implicit-def: $vgpr26
	s_and_saveexec_b64 vcc, s[28:29]
	s_xor_b64 s[28:29], exec, vcc
; %bb.8952:                             ;   in Loop: Header=BB4_8645 Depth=3
	v_min_i32_e32 v2, 15, v17
	v_lshl_or_b32 v2, v2, 3, v4
	v_and_or_b32 v26, v42, 7, v2
                                        ; implicit-def: $vgpr4
; %bb.8953:                             ;   in Loop: Header=BB4_8645 Depth=3
	s_andn2_saveexec_b64 s[28:29], s[28:29]
; %bb.8954:                             ;   in Loop: Header=BB4_8645 Depth=3
	v_mov_b32_e32 v26, v4
; %bb.8955:                             ;   in Loop: Header=BB4_8645 Depth=3
	s_or_b64 exec, exec, s[28:29]
.LBB4_8956:                             ;   in Loop: Header=BB4_8645 Depth=3
	s_or_b64 exec, exec, s[38:39]
                                        ; implicit-def: $vgpr4
.LBB4_8957:                             ;   in Loop: Header=BB4_8645 Depth=3
	s_andn2_saveexec_b64 s[28:29], s[36:37]
; %bb.8958:                             ;   in Loop: Header=BB4_8645 Depth=3
	v_or_b32_e32 v26, 0x7e, v4
; %bb.8959:                             ;   in Loop: Header=BB4_8645 Depth=3
	s_or_b64 exec, exec, s[28:29]
                                        ; implicit-def: $vgpr17
.LBB4_8960:                             ;   in Loop: Header=BB4_8645 Depth=3
	s_andn2_saveexec_b64 s[28:29], s[34:35]
; %bb.8961:                             ;   in Loop: Header=BB4_8645 Depth=3
	v_or_b32_sdwa v26, v17, s68 dst_sel:DWORD dst_unused:UNUSED_PAD src0_sel:BYTE_3 src1_sel:DWORD
; %bb.8962:                             ;   in Loop: Header=BB4_8645 Depth=3
	s_or_b64 exec, exec, s[28:29]
	flat_load_ubyte v4, v[12:13] offset:768 glc slc
	v_mov_b32_e32 v17, 0
	s_waitcnt vmcnt(0) lgkmcnt(0)
	v_cmp_ne_u16_e32 vcc, 0, v4
	s_and_saveexec_b64 s[28:29], vcc
	s_cbranch_execz .LBB4_8968
; %bb.8963:                             ;   in Loop: Header=BB4_8645 Depth=3
	v_cmp_ne_u16_e32 vcc, s70, v4
	v_bfrev_b32_e32 v17, 1
	s_and_saveexec_b64 s[34:35], vcc
	s_cbranch_execz .LBB4_8967
; %bb.8964:                             ;   in Loop: Header=BB4_8645 Depth=3
	v_and_b32_e32 v2, 0xffff, v4
	v_and_b32_e32 v21, 0x7f, v2
	v_cmp_ne_u32_e32 vcc, s68, v21
	v_mov_b32_e32 v17, 0x7f800001
	s_and_saveexec_b64 s[36:37], vcc
	s_cbranch_execz .LBB4_8966
; %bb.8965:                             ;   in Loop: Header=BB4_8645 Depth=3
	v_and_b32_e32 v17, 7, v2
	v_lshrrev_b32_e32 v22, 3, v21
	v_cmp_gt_u32_e32 vcc, 8, v21
	v_ffbh_u32_e32 v21, v17
	v_min_u32_e32 v21, 32, v21
	v_subrev_u32_e32 v23, 28, v21
	v_lshlrev_b64 v[24:25], v23, v[2:3]
	v_sub_u32_e32 v2, 29, v21
	v_and_b32_e32 v21, 7, v24
	v_cndmask_b32_e32 v2, v22, v2, vcc
	v_cndmask_b32_e32 v17, v17, v21, vcc
	v_lshlrev_b32_e32 v4, 24, v4
	v_lshlrev_b32_e32 v17, 20, v17
	v_and_b32_e32 v4, 0x80000000, v4
	v_lshl_add_u32 v2, v2, 23, v5
	v_or3_b32 v17, v4, v2, v17
.LBB4_8966:                             ;   in Loop: Header=BB4_8645 Depth=3
	s_or_b64 exec, exec, s[36:37]
.LBB4_8967:                             ;   in Loop: Header=BB4_8645 Depth=3
	s_or_b64 exec, exec, s[34:35]
.LBB4_8968:                             ;   in Loop: Header=BB4_8645 Depth=3
	s_or_b64 exec, exec, s[28:29]
	v_mul_f32_e32 v17, s44, v17
	v_and_b32_e32 v2, 0x7f800000, v17
	v_cmp_ne_u64_e32 vcc, s[62:63], v[2:3]
                                        ; implicit-def: $vgpr25
	s_and_saveexec_b64 s[28:29], vcc
	s_xor_b64 s[34:35], exec, s[28:29]
	s_cbranch_execz .LBB4_8986
; %bb.8969:                             ;   in Loop: Header=BB4_8645 Depth=3
	v_and_b32_e32 v2, 0x7fffffff, v17
	v_cmp_gt_u64_e32 vcc, s[72:73], v[2:3]
	v_and_b32_sdwa v4, v17, s70 dst_sel:DWORD dst_unused:UNUSED_PAD src0_sel:BYTE_3 src1_sel:DWORD
                                        ; implicit-def: $vgpr25
	s_and_saveexec_b64 s[28:29], vcc
	s_xor_b64 s[36:37], exec, s[28:29]
	s_cbranch_execz .LBB4_8983
; %bb.8970:                             ;   in Loop: Header=BB4_8645 Depth=3
	v_cmp_ne_u32_e32 vcc, 0, v17
	v_mov_b32_e32 v25, 0
	s_and_saveexec_b64 s[38:39], vcc
	s_cbranch_execz .LBB4_8982
; %bb.8971:                             ;   in Loop: Header=BB4_8645 Depth=3
	v_and_b32_e32 v2, 0x7fffff, v17
	v_bfe_u32 v17, v17, 23, 8
	v_cmp_gt_u32_e64 s[28:29], s71, v17
	v_sub_u32_e32 v21, 0x79, v17
	v_cmp_eq_u32_e32 vcc, 0, v17
	v_cndmask_b32_e64 v21, 0, v21, s[28:29]
	v_mov_b32_e32 v23, 0x78
	v_or_b32_e32 v22, 0x800000, v2
	v_cndmask_b32_e32 v21, v21, v23, vcc
	v_cndmask_b32_e32 v2, v22, v2, vcc
	v_add_u32_e32 v22, 20, v21
	v_lshlrev_b64 v[24:25], v22, -1
	v_add_u32_e32 v22, 19, v21
	v_lshlrev_b64 v[49:50], v22, 1
	v_lshrrev_b64 v[42:43], v21, v[2:3]
	v_bfi_b32 v25, v25, 0, 0
	v_bfi_b32 v24, v24, 0, v2
	v_cmp_eq_u64_e64 s[28:29], v[24:25], v[49:50]
	v_mov_b32_e32 v44, v43
	v_mov_b32_e32 v43, v42
	s_and_saveexec_b64 s[48:49], s[28:29]
; %bb.8972:                             ;   in Loop: Header=BB4_8645 Depth=3
	v_bfe_u32 v2, v42, 20, 1
	v_add_co_u32_e64 v2, s[28:29], v42, v2
	v_add_co_u32_e64 v43, s[28:29], -1, v2
; %bb.8973:                             ;   in Loop: Header=BB4_8645 Depth=3
	s_or_b64 exec, exec, s[48:49]
	v_add_u32_e32 v2, 0xffffff81, v17
	v_mov_b32_e32 v17, 0xffffff82
	v_cndmask_b32_e32 v2, v2, v17, vcc
	v_lshrrev_b32_e32 v17, 23, v42
	v_add3_u32 v24, v21, v2, v17
	v_add_u32_e32 v21, 6, v24
	v_and_b32_e32 v2, 0xfffff, v43
	v_add_u32_e32 v2, v2, v42
	v_cmp_ne_u32_e32 vcc, 0, v21
                                        ; implicit-def: $vgpr42_vgpr43
                                        ; implicit-def: $vgpr17
	s_and_saveexec_b64 s[28:29], vcc
	s_xor_b64 s[28:29], exec, s[28:29]
; %bb.8974:                             ;   in Loop: Header=BB4_8645 Depth=3
	v_cmp_lt_u64_e32 vcc, s[74:75], v[2:3]
	v_add_u32_e32 v17, 7, v24
	v_cndmask_b32_e32 v17, v21, v17, vcc
	v_cndmask_b32_e64 v21, 0, 1, vcc
	v_lshrrev_b64 v[42:43], v21, v[2:3]
; %bb.8975:                             ;   in Loop: Header=BB4_8645 Depth=3
	s_andn2_saveexec_b64 s[28:29], s[28:29]
; %bb.8976:                             ;   in Loop: Header=BB4_8645 Depth=3
	v_mov_b32_e32 v43, v3
	v_mov_b32_e32 v42, v2
	v_bfe_u32 v17, v2, 23, 1
; %bb.8977:                             ;   in Loop: Header=BB4_8645 Depth=3
	s_or_b64 exec, exec, s[28:29]
	v_lshrrev_b64 v[24:25], 20, v[42:43]
	v_cmp_gt_i32_e32 vcc, 16, v17
	v_cndmask_b32_e32 v43, 0, v25, vcc
	v_cndmask_b32_e32 v42, 7, v24, vcc
	v_cmp_ne_u64_e32 vcc, 0, v[42:43]
	v_cmp_ne_u32_e64 s[28:29], 0, v17
	s_or_b64 s[28:29], s[28:29], vcc
                                        ; implicit-def: $vgpr25
	s_and_saveexec_b64 vcc, s[28:29]
	s_xor_b64 s[28:29], exec, vcc
; %bb.8978:                             ;   in Loop: Header=BB4_8645 Depth=3
	v_min_i32_e32 v2, 15, v17
	v_lshl_or_b32 v2, v2, 3, v4
	v_and_or_b32 v25, v42, 7, v2
                                        ; implicit-def: $vgpr4
; %bb.8979:                             ;   in Loop: Header=BB4_8645 Depth=3
	s_andn2_saveexec_b64 s[28:29], s[28:29]
; %bb.8980:                             ;   in Loop: Header=BB4_8645 Depth=3
	v_mov_b32_e32 v25, v4
; %bb.8981:                             ;   in Loop: Header=BB4_8645 Depth=3
	s_or_b64 exec, exec, s[28:29]
.LBB4_8982:                             ;   in Loop: Header=BB4_8645 Depth=3
	s_or_b64 exec, exec, s[38:39]
                                        ; implicit-def: $vgpr4
.LBB4_8983:                             ;   in Loop: Header=BB4_8645 Depth=3
	s_andn2_saveexec_b64 s[28:29], s[36:37]
; %bb.8984:                             ;   in Loop: Header=BB4_8645 Depth=3
	v_or_b32_e32 v25, 0x7e, v4
; %bb.8985:                             ;   in Loop: Header=BB4_8645 Depth=3
	s_or_b64 exec, exec, s[28:29]
                                        ; implicit-def: $vgpr17
.LBB4_8986:                             ;   in Loop: Header=BB4_8645 Depth=3
	s_andn2_saveexec_b64 s[28:29], s[34:35]
; %bb.8987:                             ;   in Loop: Header=BB4_8645 Depth=3
	v_or_b32_sdwa v25, v17, s68 dst_sel:DWORD dst_unused:UNUSED_PAD src0_sel:BYTE_3 src1_sel:DWORD
; %bb.8988:                             ;   in Loop: Header=BB4_8645 Depth=3
	s_or_b64 exec, exec, s[28:29]
	flat_load_ubyte v4, v[12:13] offset:832 glc slc
	v_mov_b32_e32 v17, 0
	s_waitcnt vmcnt(0) lgkmcnt(0)
	v_cmp_ne_u16_e32 vcc, 0, v4
	s_and_saveexec_b64 s[28:29], vcc
	s_cbranch_execz .LBB4_8994
; %bb.8989:                             ;   in Loop: Header=BB4_8645 Depth=3
	v_cmp_ne_u16_e32 vcc, s70, v4
	v_bfrev_b32_e32 v17, 1
	s_and_saveexec_b64 s[34:35], vcc
	s_cbranch_execz .LBB4_8993
; %bb.8990:                             ;   in Loop: Header=BB4_8645 Depth=3
	v_and_b32_e32 v2, 0xffff, v4
	v_and_b32_e32 v21, 0x7f, v2
	v_cmp_ne_u32_e32 vcc, s68, v21
	v_mov_b32_e32 v17, 0x7f800001
	s_and_saveexec_b64 s[36:37], vcc
	s_cbranch_execz .LBB4_8992
; %bb.8991:                             ;   in Loop: Header=BB4_8645 Depth=3
	v_and_b32_e32 v17, 7, v2
	v_lshrrev_b32_e32 v22, 3, v21
	v_cmp_gt_u32_e32 vcc, 8, v21
	v_ffbh_u32_e32 v21, v17
	v_min_u32_e32 v21, 32, v21
	v_subrev_u32_e32 v23, 28, v21
	v_lshlrev_b64 v[49:50], v23, v[2:3]
	v_sub_u32_e32 v2, 29, v21
	v_and_b32_e32 v21, 7, v49
	v_cndmask_b32_e32 v2, v22, v2, vcc
	v_cndmask_b32_e32 v17, v17, v21, vcc
	v_lshlrev_b32_e32 v4, 24, v4
	v_lshlrev_b32_e32 v17, 20, v17
	v_and_b32_e32 v4, 0x80000000, v4
	v_lshl_add_u32 v2, v2, 23, v5
	v_or3_b32 v17, v4, v2, v17
.LBB4_8992:                             ;   in Loop: Header=BB4_8645 Depth=3
	s_or_b64 exec, exec, s[36:37]
.LBB4_8993:                             ;   in Loop: Header=BB4_8645 Depth=3
	s_or_b64 exec, exec, s[34:35]
.LBB4_8994:                             ;   in Loop: Header=BB4_8645 Depth=3
	s_or_b64 exec, exec, s[28:29]
	v_mul_f32_e32 v17, s44, v17
	v_and_b32_e32 v2, 0x7f800000, v17
	v_cmp_ne_u64_e32 vcc, s[62:63], v[2:3]
                                        ; implicit-def: $vgpr24
	s_and_saveexec_b64 s[28:29], vcc
	s_xor_b64 s[34:35], exec, s[28:29]
	s_cbranch_execz .LBB4_9012
; %bb.8995:                             ;   in Loop: Header=BB4_8645 Depth=3
	v_and_b32_e32 v2, 0x7fffffff, v17
	v_cmp_gt_u64_e32 vcc, s[72:73], v[2:3]
	v_and_b32_sdwa v4, v17, s70 dst_sel:DWORD dst_unused:UNUSED_PAD src0_sel:BYTE_3 src1_sel:DWORD
                                        ; implicit-def: $vgpr24
	s_and_saveexec_b64 s[28:29], vcc
	s_xor_b64 s[36:37], exec, s[28:29]
	s_cbranch_execz .LBB4_9009
; %bb.8996:                             ;   in Loop: Header=BB4_8645 Depth=3
	v_cmp_ne_u32_e32 vcc, 0, v17
	v_mov_b32_e32 v24, 0
	s_and_saveexec_b64 s[38:39], vcc
	s_cbranch_execz .LBB4_9008
; %bb.8997:                             ;   in Loop: Header=BB4_8645 Depth=3
	v_and_b32_e32 v2, 0x7fffff, v17
	v_bfe_u32 v17, v17, 23, 8
	v_cmp_gt_u32_e64 s[28:29], s71, v17
	v_sub_u32_e32 v21, 0x79, v17
	v_cmp_eq_u32_e32 vcc, 0, v17
	v_cndmask_b32_e64 v21, 0, v21, s[28:29]
	v_mov_b32_e32 v23, 0x78
	v_or_b32_e32 v22, 0x800000, v2
	v_cndmask_b32_e32 v21, v21, v23, vcc
	v_cndmask_b32_e32 v2, v22, v2, vcc
	v_add_u32_e32 v22, 20, v21
	v_lshlrev_b64 v[49:50], v22, -1
	v_add_u32_e32 v22, 19, v21
	v_lshlrev_b64 v[51:52], v22, 1
	v_lshrrev_b64 v[42:43], v21, v[2:3]
	v_bfi_b32 v50, v50, 0, 0
	v_bfi_b32 v49, v49, 0, v2
	v_cmp_eq_u64_e64 s[28:29], v[49:50], v[51:52]
	v_mov_b32_e32 v44, v43
	v_mov_b32_e32 v43, v42
	s_and_saveexec_b64 s[48:49], s[28:29]
; %bb.8998:                             ;   in Loop: Header=BB4_8645 Depth=3
	v_bfe_u32 v2, v42, 20, 1
	v_add_co_u32_e64 v2, s[28:29], v42, v2
	v_add_co_u32_e64 v43, s[28:29], -1, v2
; %bb.8999:                             ;   in Loop: Header=BB4_8645 Depth=3
	s_or_b64 exec, exec, s[48:49]
	v_add_u32_e32 v2, 0xffffff81, v17
	v_mov_b32_e32 v17, 0xffffff82
	v_cndmask_b32_e32 v2, v2, v17, vcc
	v_lshrrev_b32_e32 v17, 23, v42
	v_add3_u32 v24, v21, v2, v17
	v_add_u32_e32 v21, 6, v24
	v_and_b32_e32 v2, 0xfffff, v43
	v_add_u32_e32 v2, v2, v42
	v_cmp_ne_u32_e32 vcc, 0, v21
                                        ; implicit-def: $vgpr42_vgpr43
                                        ; implicit-def: $vgpr17
	s_and_saveexec_b64 s[28:29], vcc
	s_xor_b64 s[28:29], exec, s[28:29]
; %bb.9000:                             ;   in Loop: Header=BB4_8645 Depth=3
	v_cmp_lt_u64_e32 vcc, s[74:75], v[2:3]
	v_add_u32_e32 v17, 7, v24
	v_cndmask_b32_e32 v17, v21, v17, vcc
	v_cndmask_b32_e64 v21, 0, 1, vcc
	v_lshrrev_b64 v[42:43], v21, v[2:3]
; %bb.9001:                             ;   in Loop: Header=BB4_8645 Depth=3
	s_andn2_saveexec_b64 s[28:29], s[28:29]
; %bb.9002:                             ;   in Loop: Header=BB4_8645 Depth=3
	v_mov_b32_e32 v43, v3
	v_mov_b32_e32 v42, v2
	v_bfe_u32 v17, v2, 23, 1
; %bb.9003:                             ;   in Loop: Header=BB4_8645 Depth=3
	s_or_b64 exec, exec, s[28:29]
	v_lshrrev_b64 v[49:50], 20, v[42:43]
	v_cmp_gt_i32_e32 vcc, 16, v17
	v_cndmask_b32_e32 v43, 0, v50, vcc
	v_cndmask_b32_e32 v42, 7, v49, vcc
	v_cmp_ne_u64_e32 vcc, 0, v[42:43]
	v_cmp_ne_u32_e64 s[28:29], 0, v17
	s_or_b64 s[28:29], s[28:29], vcc
                                        ; implicit-def: $vgpr24
	s_and_saveexec_b64 vcc, s[28:29]
	s_xor_b64 s[28:29], exec, vcc
; %bb.9004:                             ;   in Loop: Header=BB4_8645 Depth=3
	v_min_i32_e32 v2, 15, v17
	v_lshl_or_b32 v2, v2, 3, v4
	v_and_or_b32 v24, v42, 7, v2
                                        ; implicit-def: $vgpr4
; %bb.9005:                             ;   in Loop: Header=BB4_8645 Depth=3
	s_andn2_saveexec_b64 s[28:29], s[28:29]
; %bb.9006:                             ;   in Loop: Header=BB4_8645 Depth=3
	v_mov_b32_e32 v24, v4
; %bb.9007:                             ;   in Loop: Header=BB4_8645 Depth=3
	s_or_b64 exec, exec, s[28:29]
.LBB4_9008:                             ;   in Loop: Header=BB4_8645 Depth=3
	s_or_b64 exec, exec, s[38:39]
                                        ; implicit-def: $vgpr4
.LBB4_9009:                             ;   in Loop: Header=BB4_8645 Depth=3
	s_andn2_saveexec_b64 s[28:29], s[36:37]
; %bb.9010:                             ;   in Loop: Header=BB4_8645 Depth=3
	v_or_b32_e32 v24, 0x7e, v4
; %bb.9011:                             ;   in Loop: Header=BB4_8645 Depth=3
	s_or_b64 exec, exec, s[28:29]
                                        ; implicit-def: $vgpr17
.LBB4_9012:                             ;   in Loop: Header=BB4_8645 Depth=3
	s_andn2_saveexec_b64 s[28:29], s[34:35]
; %bb.9013:                             ;   in Loop: Header=BB4_8645 Depth=3
	v_or_b32_sdwa v24, v17, s68 dst_sel:DWORD dst_unused:UNUSED_PAD src0_sel:BYTE_3 src1_sel:DWORD
; %bb.9014:                             ;   in Loop: Header=BB4_8645 Depth=3
	s_or_b64 exec, exec, s[28:29]
	flat_load_ubyte v4, v[12:13] offset:896 glc slc
	v_mov_b32_e32 v17, 0
	s_waitcnt vmcnt(0) lgkmcnt(0)
	v_cmp_ne_u16_e32 vcc, 0, v4
	s_and_saveexec_b64 s[28:29], vcc
	s_cbranch_execz .LBB4_9020
; %bb.9015:                             ;   in Loop: Header=BB4_8645 Depth=3
	v_cmp_ne_u16_e32 vcc, s70, v4
	v_bfrev_b32_e32 v17, 1
	s_and_saveexec_b64 s[34:35], vcc
	s_cbranch_execz .LBB4_9019
; %bb.9016:                             ;   in Loop: Header=BB4_8645 Depth=3
	v_and_b32_e32 v2, 0xffff, v4
	v_and_b32_e32 v21, 0x7f, v2
	v_cmp_ne_u32_e32 vcc, s68, v21
	v_mov_b32_e32 v17, 0x7f800001
	s_and_saveexec_b64 s[36:37], vcc
	s_cbranch_execz .LBB4_9018
; %bb.9017:                             ;   in Loop: Header=BB4_8645 Depth=3
	v_and_b32_e32 v17, 7, v2
	v_lshrrev_b32_e32 v22, 3, v21
	v_cmp_gt_u32_e32 vcc, 8, v21
	v_ffbh_u32_e32 v21, v17
	v_min_u32_e32 v21, 32, v21
	v_subrev_u32_e32 v23, 28, v21
	v_lshlrev_b64 v[49:50], v23, v[2:3]
	v_sub_u32_e32 v2, 29, v21
	v_and_b32_e32 v21, 7, v49
	v_cndmask_b32_e32 v2, v22, v2, vcc
	v_cndmask_b32_e32 v17, v17, v21, vcc
	v_lshlrev_b32_e32 v4, 24, v4
	v_lshlrev_b32_e32 v17, 20, v17
	v_and_b32_e32 v4, 0x80000000, v4
	v_lshl_add_u32 v2, v2, 23, v5
	v_or3_b32 v17, v4, v2, v17
.LBB4_9018:                             ;   in Loop: Header=BB4_8645 Depth=3
	s_or_b64 exec, exec, s[36:37]
.LBB4_9019:                             ;   in Loop: Header=BB4_8645 Depth=3
	s_or_b64 exec, exec, s[34:35]
.LBB4_9020:                             ;   in Loop: Header=BB4_8645 Depth=3
	s_or_b64 exec, exec, s[28:29]
	v_mul_f32_e32 v17, s44, v17
	v_and_b32_e32 v2, 0x7f800000, v17
	v_cmp_ne_u64_e32 vcc, s[62:63], v[2:3]
                                        ; implicit-def: $vgpr21
	s_and_saveexec_b64 s[28:29], vcc
	s_xor_b64 s[34:35], exec, s[28:29]
	s_cbranch_execz .LBB4_9038
; %bb.9021:                             ;   in Loop: Header=BB4_8645 Depth=3
	v_and_b32_e32 v2, 0x7fffffff, v17
	v_cmp_gt_u64_e32 vcc, s[72:73], v[2:3]
	v_and_b32_sdwa v4, v17, s70 dst_sel:DWORD dst_unused:UNUSED_PAD src0_sel:BYTE_3 src1_sel:DWORD
                                        ; implicit-def: $vgpr21
	s_and_saveexec_b64 s[28:29], vcc
	s_xor_b64 s[36:37], exec, s[28:29]
	s_cbranch_execz .LBB4_9035
; %bb.9022:                             ;   in Loop: Header=BB4_8645 Depth=3
	v_cmp_ne_u32_e32 vcc, 0, v17
	v_mov_b32_e32 v21, 0
	s_and_saveexec_b64 s[38:39], vcc
	s_cbranch_execz .LBB4_9034
; %bb.9023:                             ;   in Loop: Header=BB4_8645 Depth=3
	v_and_b32_e32 v2, 0x7fffff, v17
	v_bfe_u32 v17, v17, 23, 8
	v_cmp_gt_u32_e64 s[28:29], s71, v17
	v_sub_u32_e32 v21, 0x79, v17
	v_cmp_eq_u32_e32 vcc, 0, v17
	v_cndmask_b32_e64 v21, 0, v21, s[28:29]
	v_mov_b32_e32 v23, 0x78
	v_or_b32_e32 v22, 0x800000, v2
	v_cndmask_b32_e32 v21, v21, v23, vcc
	v_cndmask_b32_e32 v2, v22, v2, vcc
	v_add_u32_e32 v22, 20, v21
	v_lshlrev_b64 v[49:50], v22, -1
	v_add_u32_e32 v22, 19, v21
	v_lshlrev_b64 v[51:52], v22, 1
	v_lshrrev_b64 v[42:43], v21, v[2:3]
	v_bfi_b32 v50, v50, 0, 0
	v_bfi_b32 v49, v49, 0, v2
	v_cmp_eq_u64_e64 s[28:29], v[49:50], v[51:52]
	v_mov_b32_e32 v44, v43
	v_mov_b32_e32 v43, v42
	s_and_saveexec_b64 s[48:49], s[28:29]
; %bb.9024:                             ;   in Loop: Header=BB4_8645 Depth=3
	v_bfe_u32 v2, v42, 20, 1
	v_add_co_u32_e64 v2, s[28:29], v42, v2
	v_add_co_u32_e64 v43, s[28:29], -1, v2
; %bb.9025:                             ;   in Loop: Header=BB4_8645 Depth=3
	s_or_b64 exec, exec, s[48:49]
	v_add_u32_e32 v2, 0xffffff81, v17
	v_mov_b32_e32 v17, 0xffffff82
	v_cndmask_b32_e32 v2, v2, v17, vcc
	v_lshrrev_b32_e32 v17, 23, v42
	v_add3_u32 v29, v21, v2, v17
	v_add_u32_e32 v21, 6, v29
	v_and_b32_e32 v2, 0xfffff, v43
	v_add_u32_e32 v2, v2, v42
	v_cmp_ne_u32_e32 vcc, 0, v21
                                        ; implicit-def: $vgpr42_vgpr43
                                        ; implicit-def: $vgpr17
	s_and_saveexec_b64 s[28:29], vcc
	s_xor_b64 s[28:29], exec, s[28:29]
; %bb.9026:                             ;   in Loop: Header=BB4_8645 Depth=3
	v_cmp_lt_u64_e32 vcc, s[74:75], v[2:3]
	v_add_u32_e32 v17, 7, v29
	v_cndmask_b32_e32 v17, v21, v17, vcc
	v_cndmask_b32_e64 v21, 0, 1, vcc
	v_lshrrev_b64 v[42:43], v21, v[2:3]
; %bb.9027:                             ;   in Loop: Header=BB4_8645 Depth=3
	s_andn2_saveexec_b64 s[28:29], s[28:29]
; %bb.9028:                             ;   in Loop: Header=BB4_8645 Depth=3
	v_mov_b32_e32 v43, v3
	v_mov_b32_e32 v42, v2
	v_bfe_u32 v17, v2, 23, 1
; %bb.9029:                             ;   in Loop: Header=BB4_8645 Depth=3
	s_or_b64 exec, exec, s[28:29]
	v_lshrrev_b64 v[49:50], 20, v[42:43]
	v_cmp_gt_i32_e32 vcc, 16, v17
	v_cndmask_b32_e32 v43, 0, v50, vcc
	v_cndmask_b32_e32 v42, 7, v49, vcc
	v_cmp_ne_u64_e32 vcc, 0, v[42:43]
	v_cmp_ne_u32_e64 s[28:29], 0, v17
	s_or_b64 s[28:29], s[28:29], vcc
                                        ; implicit-def: $vgpr21
	s_and_saveexec_b64 vcc, s[28:29]
	s_xor_b64 s[28:29], exec, vcc
; %bb.9030:                             ;   in Loop: Header=BB4_8645 Depth=3
	v_min_i32_e32 v2, 15, v17
	v_lshl_or_b32 v2, v2, 3, v4
	v_and_or_b32 v21, v42, 7, v2
                                        ; implicit-def: $vgpr4
; %bb.9031:                             ;   in Loop: Header=BB4_8645 Depth=3
	s_andn2_saveexec_b64 s[28:29], s[28:29]
; %bb.9032:                             ;   in Loop: Header=BB4_8645 Depth=3
	v_mov_b32_e32 v21, v4
; %bb.9033:                             ;   in Loop: Header=BB4_8645 Depth=3
	s_or_b64 exec, exec, s[28:29]
.LBB4_9034:                             ;   in Loop: Header=BB4_8645 Depth=3
	s_or_b64 exec, exec, s[38:39]
                                        ; implicit-def: $vgpr4
.LBB4_9035:                             ;   in Loop: Header=BB4_8645 Depth=3
	s_andn2_saveexec_b64 s[28:29], s[36:37]
; %bb.9036:                             ;   in Loop: Header=BB4_8645 Depth=3
	v_or_b32_e32 v21, 0x7e, v4
; %bb.9037:                             ;   in Loop: Header=BB4_8645 Depth=3
	s_or_b64 exec, exec, s[28:29]
                                        ; implicit-def: $vgpr17
.LBB4_9038:                             ;   in Loop: Header=BB4_8645 Depth=3
	s_andn2_saveexec_b64 s[28:29], s[34:35]
; %bb.9039:                             ;   in Loop: Header=BB4_8645 Depth=3
	v_or_b32_sdwa v21, v17, s68 dst_sel:DWORD dst_unused:UNUSED_PAD src0_sel:BYTE_3 src1_sel:DWORD
; %bb.9040:                             ;   in Loop: Header=BB4_8645 Depth=3
	s_or_b64 exec, exec, s[28:29]
	flat_load_ubyte v4, v[12:13] offset:960 glc slc
	v_mov_b32_e32 v17, 0
	s_waitcnt vmcnt(0) lgkmcnt(0)
	v_cmp_ne_u16_e32 vcc, 0, v4
	s_and_saveexec_b64 s[28:29], vcc
	s_cbranch_execz .LBB4_9046
; %bb.9041:                             ;   in Loop: Header=BB4_8645 Depth=3
	v_cmp_ne_u16_e32 vcc, s70, v4
	v_bfrev_b32_e32 v17, 1
	s_and_saveexec_b64 s[34:35], vcc
	s_cbranch_execz .LBB4_9045
; %bb.9042:                             ;   in Loop: Header=BB4_8645 Depth=3
	v_and_b32_e32 v2, 0xffff, v4
	v_and_b32_e32 v29, 0x7f, v2
	v_cmp_ne_u32_e32 vcc, s68, v29
	v_mov_b32_e32 v17, 0x7f800001
	s_and_saveexec_b64 s[36:37], vcc
	s_cbranch_execz .LBB4_9044
; %bb.9043:                             ;   in Loop: Header=BB4_8645 Depth=3
	v_and_b32_e32 v17, 7, v2
	v_ffbh_u32_e32 v23, v17
	v_min_u32_e32 v23, 32, v23
	v_lshrrev_b32_e32 v22, 3, v29
	v_cmp_gt_u32_e32 vcc, 8, v29
	v_subrev_u32_e32 v29, 28, v23
	v_lshlrev_b64 v[49:50], v29, v[2:3]
	v_sub_u32_e32 v2, 29, v23
	v_and_b32_e32 v23, 7, v49
	v_cndmask_b32_e32 v2, v22, v2, vcc
	v_cndmask_b32_e32 v17, v17, v23, vcc
	v_lshlrev_b32_e32 v4, 24, v4
	v_lshlrev_b32_e32 v17, 20, v17
	v_and_b32_e32 v4, 0x80000000, v4
	v_lshl_add_u32 v2, v2, 23, v5
	v_or3_b32 v17, v4, v2, v17
.LBB4_9044:                             ;   in Loop: Header=BB4_8645 Depth=3
	s_or_b64 exec, exec, s[36:37]
.LBB4_9045:                             ;   in Loop: Header=BB4_8645 Depth=3
	s_or_b64 exec, exec, s[34:35]
.LBB4_9046:                             ;   in Loop: Header=BB4_8645 Depth=3
	s_or_b64 exec, exec, s[28:29]
	v_mul_f32_e32 v29, s44, v17
	v_and_b32_e32 v2, 0x7f800000, v29
	v_cmp_ne_u64_e32 vcc, s[62:63], v[2:3]
                                        ; implicit-def: $vgpr4
	s_and_saveexec_b64 s[28:29], vcc
	s_xor_b64 s[34:35], exec, s[28:29]
	s_cbranch_execz .LBB4_9064
; %bb.9047:                             ;   in Loop: Header=BB4_8645 Depth=3
	v_and_b32_e32 v2, 0x7fffffff, v29
	v_cmp_gt_u64_e32 vcc, s[72:73], v[2:3]
	v_and_b32_sdwa v17, v29, s70 dst_sel:DWORD dst_unused:UNUSED_PAD src0_sel:BYTE_3 src1_sel:DWORD
                                        ; implicit-def: $vgpr4
	s_and_saveexec_b64 s[28:29], vcc
	s_xor_b64 s[36:37], exec, s[28:29]
	s_cbranch_execz .LBB4_9061
; %bb.9048:                             ;   in Loop: Header=BB4_8645 Depth=3
	v_cmp_ne_u32_e32 vcc, 0, v29
	v_mov_b32_e32 v4, 0
	s_and_saveexec_b64 s[38:39], vcc
	s_cbranch_execz .LBB4_9060
; %bb.9049:                             ;   in Loop: Header=BB4_8645 Depth=3
	v_bfe_u32 v4, v29, 23, 8
	v_cmp_gt_u32_e64 s[28:29], s71, v4
	v_sub_u32_e32 v22, 0x79, v4
	v_and_b32_e32 v2, 0x7fffff, v29
	v_cmp_eq_u32_e32 vcc, 0, v4
	v_cndmask_b32_e64 v22, 0, v22, s[28:29]
	v_mov_b32_e32 v29, 0x78
	v_cndmask_b32_e32 v29, v22, v29, vcc
	v_or_b32_e32 v23, 0x800000, v2
	v_add_u32_e32 v22, 20, v29
	v_cndmask_b32_e32 v2, v23, v2, vcc
	v_lshlrev_b64 v[49:50], v22, -1
	v_add_u32_e32 v22, 19, v29
	v_lshlrev_b64 v[51:52], v22, 1
	v_lshrrev_b64 v[42:43], v29, v[2:3]
	v_bfi_b32 v50, v50, 0, 0
	v_bfi_b32 v49, v49, 0, v2
	v_cmp_eq_u64_e64 s[28:29], v[49:50], v[51:52]
	v_mov_b32_e32 v44, v43
	v_mov_b32_e32 v43, v42
	s_and_saveexec_b64 s[48:49], s[28:29]
; %bb.9050:                             ;   in Loop: Header=BB4_8645 Depth=3
	v_bfe_u32 v2, v42, 20, 1
	v_add_co_u32_e64 v2, s[28:29], v42, v2
	v_add_co_u32_e64 v43, s[28:29], -1, v2
; %bb.9051:                             ;   in Loop: Header=BB4_8645 Depth=3
	s_or_b64 exec, exec, s[48:49]
	v_add_u32_e32 v2, 0xffffff81, v4
	v_mov_b32_e32 v4, 0xffffff82
	v_cndmask_b32_e32 v2, v2, v4, vcc
	v_lshrrev_b32_e32 v4, 23, v42
	v_add3_u32 v39, v29, v2, v4
	v_add_u32_e32 v4, 6, v39
	v_and_b32_e32 v2, 0xfffff, v43
	v_add_u32_e32 v2, v2, v42
	v_cmp_ne_u32_e32 vcc, 0, v4
                                        ; implicit-def: $vgpr42_vgpr43
                                        ; implicit-def: $vgpr29
	s_and_saveexec_b64 s[28:29], vcc
	s_xor_b64 s[28:29], exec, s[28:29]
; %bb.9052:                             ;   in Loop: Header=BB4_8645 Depth=3
	v_cmp_lt_u64_e32 vcc, s[74:75], v[2:3]
	v_add_u32_e32 v22, 7, v39
	v_cndmask_b32_e32 v29, v4, v22, vcc
	v_cndmask_b32_e64 v4, 0, 1, vcc
	v_lshrrev_b64 v[42:43], v4, v[2:3]
; %bb.9053:                             ;   in Loop: Header=BB4_8645 Depth=3
	s_andn2_saveexec_b64 s[28:29], s[28:29]
; %bb.9054:                             ;   in Loop: Header=BB4_8645 Depth=3
	v_mov_b32_e32 v43, v3
	v_mov_b32_e32 v42, v2
	v_bfe_u32 v29, v2, 23, 1
; %bb.9055:                             ;   in Loop: Header=BB4_8645 Depth=3
	s_or_b64 exec, exec, s[28:29]
	v_lshrrev_b64 v[49:50], 20, v[42:43]
	v_cmp_gt_i32_e32 vcc, 16, v29
	v_cndmask_b32_e32 v43, 0, v50, vcc
	v_cndmask_b32_e32 v42, 7, v49, vcc
	v_cmp_ne_u64_e32 vcc, 0, v[42:43]
	v_cmp_ne_u32_e64 s[28:29], 0, v29
	s_or_b64 s[28:29], s[28:29], vcc
                                        ; implicit-def: $vgpr4
	s_and_saveexec_b64 s[44:45], s[28:29]
	s_xor_b64 s[28:29], exec, s[44:45]
; %bb.9056:                             ;   in Loop: Header=BB4_8645 Depth=3
	v_min_i32_e32 v2, 15, v29
	v_lshl_or_b32 v2, v2, 3, v17
	v_and_or_b32 v4, v42, 7, v2
                                        ; implicit-def: $vgpr17
; %bb.9057:                             ;   in Loop: Header=BB4_8645 Depth=3
	s_andn2_saveexec_b64 s[28:29], s[28:29]
; %bb.9058:                             ;   in Loop: Header=BB4_8645 Depth=3
	v_mov_b32_e32 v4, v17
; %bb.9059:                             ;   in Loop: Header=BB4_8645 Depth=3
	s_or_b64 exec, exec, s[28:29]
.LBB4_9060:                             ;   in Loop: Header=BB4_8645 Depth=3
	s_or_b64 exec, exec, s[38:39]
                                        ; implicit-def: $vgpr17
.LBB4_9061:                             ;   in Loop: Header=BB4_8645 Depth=3
	s_andn2_saveexec_b64 s[28:29], s[36:37]
; %bb.9062:                             ;   in Loop: Header=BB4_8645 Depth=3
	v_or_b32_e32 v4, 0x7e, v17
; %bb.9063:                             ;   in Loop: Header=BB4_8645 Depth=3
	s_or_b64 exec, exec, s[28:29]
                                        ; implicit-def: $vgpr29
.LBB4_9064:                             ;   in Loop: Header=BB4_8645 Depth=3
	s_andn2_saveexec_b64 s[28:29], s[34:35]
; %bb.9065:                             ;   in Loop: Header=BB4_8645 Depth=3
	v_or_b32_sdwa v4, v29, s68 dst_sel:DWORD dst_unused:UNUSED_PAD src0_sel:BYTE_3 src1_sel:DWORD
; %bb.9066:                             ;   in Loop: Header=BB4_8645 Depth=3
	s_or_b64 exec, exec, s[28:29]
	flat_load_ubyte v42, v[14:15] glc slc
	flat_load_ubyte v47, v[14:15] offset:64 glc slc
	flat_load_ubyte v46, v[14:15] offset:128 glc slc
	;; [unrolled: 1-line block ×15, first 2 shown]
	v_and_b32_e32 v2, 0xff, v20
	v_cmp_ne_u16_e32 vcc, 0, v2
	v_mov_b32_e32 v43, 0
	v_mov_b32_e32 v44, 0
	s_and_saveexec_b64 s[28:29], vcc
	s_cbranch_execz .LBB4_9072
; %bb.9067:                             ;   in Loop: Header=BB4_8645 Depth=3
	v_cmp_ne_u16_e32 vcc, s70, v2
	v_bfrev_b32_e32 v44, 1
	s_and_saveexec_b64 s[34:35], vcc
	s_cbranch_execz .LBB4_9071
; %bb.9068:                             ;   in Loop: Header=BB4_8645 Depth=3
	v_and_b32_e32 v56, 0x7f, v20
	v_cmp_ne_u32_e32 vcc, s68, v56
	v_mov_b32_e32 v44, 0x7f800001
	s_and_saveexec_b64 s[36:37], vcc
	s_cbranch_execz .LBB4_9070
; %bb.9069:                             ;   in Loop: Header=BB4_8645 Depth=3
	v_and_b32_e32 v22, 7, v2
	v_ffbh_u32_e32 v32, v22
	v_min_u32_e32 v32, 32, v32
	v_subrev_u32_e32 v33, 28, v32
	v_lshrrev_b32_e32 v23, 3, v56
	v_cmp_gt_u32_e32 vcc, 8, v56
	v_lshlrev_b64 v[56:57], v33, v[2:3]
	v_sub_u32_e32 v2, 29, v32
	v_and_b32_e32 v32, 7, v56
	v_cndmask_b32_e32 v2, v23, v2, vcc
	v_cndmask_b32_e32 v22, v22, v32, vcc
	v_lshlrev_b32_e32 v20, 24, v20
	v_lshlrev_b32_e32 v22, 20, v22
	v_and_b32_e32 v20, 0x80000000, v20
	v_lshl_add_u32 v2, v2, 23, v5
	v_or3_b32 v44, v20, v2, v22
.LBB4_9070:                             ;   in Loop: Header=BB4_8645 Depth=3
	s_or_b64 exec, exec, s[36:37]
.LBB4_9071:                             ;   in Loop: Header=BB4_8645 Depth=3
	s_or_b64 exec, exec, s[34:35]
.LBB4_9072:                             ;   in Loop: Header=BB4_8645 Depth=3
	s_or_b64 exec, exec, s[28:29]
	s_waitcnt vmcnt(0) lgkmcnt(0)
	v_and_b32_e32 v2, 0xff, v42
	v_cmp_ne_u16_e32 vcc, 0, v2
	s_and_saveexec_b64 s[28:29], vcc
	s_cbranch_execz .LBB4_9078
; %bb.9073:                             ;   in Loop: Header=BB4_8645 Depth=3
	v_cmp_ne_u16_e32 vcc, s70, v2
	v_bfrev_b32_e32 v43, 1
	s_and_saveexec_b64 s[34:35], vcc
	s_cbranch_execz .LBB4_9077
; %bb.9074:                             ;   in Loop: Header=BB4_8645 Depth=3
	v_and_b32_e32 v20, 0x7f, v42
	v_cmp_ne_u32_e32 vcc, s68, v20
	v_mov_b32_e32 v43, 0x7f800001
	s_and_saveexec_b64 s[36:37], vcc
	s_cbranch_execz .LBB4_9076
; %bb.9075:                             ;   in Loop: Header=BB4_8645 Depth=3
	v_and_b32_e32 v22, 7, v2
	v_lshrrev_b32_e32 v23, 3, v20
	v_cmp_gt_u32_e32 vcc, 8, v20
	v_ffbh_u32_e32 v20, v22
	v_min_u32_e32 v20, 32, v20
	v_subrev_u32_e32 v32, 28, v20
	v_lshlrev_b64 v[56:57], v32, v[2:3]
	v_sub_u32_e32 v2, 29, v20
	v_and_b32_e32 v20, 7, v56
	v_cndmask_b32_e32 v2, v23, v2, vcc
	v_cndmask_b32_e32 v20, v22, v20, vcc
	v_lshlrev_b32_e32 v22, 24, v42
	v_lshlrev_b32_e32 v20, 20, v20
	v_and_b32_e32 v22, 0x80000000, v22
	v_lshl_add_u32 v2, v2, 23, v5
	v_or3_b32 v43, v22, v2, v20
.LBB4_9076:                             ;   in Loop: Header=BB4_8645 Depth=3
	s_or_b64 exec, exec, s[36:37]
.LBB4_9077:                             ;   in Loop: Header=BB4_8645 Depth=3
	s_or_b64 exec, exec, s[34:35]
.LBB4_9078:                             ;   in Loop: Header=BB4_8645 Depth=3
	s_or_b64 exec, exec, s[28:29]
	v_add_f32_e32 v42, v44, v43
	v_and_b32_e32 v2, 0x7f800000, v42
	v_cmp_ne_u64_e32 vcc, s[62:63], v[2:3]
                                        ; implicit-def: $vgpr20
	s_and_saveexec_b64 s[28:29], vcc
	s_xor_b64 s[34:35], exec, s[28:29]
	s_cbranch_execz .LBB4_9096
; %bb.9079:                             ;   in Loop: Header=BB4_8645 Depth=3
	v_and_b32_e32 v2, 0x7fffffff, v42
	v_cmp_gt_u64_e32 vcc, s[72:73], v[2:3]
	v_and_b32_sdwa v56, v42, s70 dst_sel:DWORD dst_unused:UNUSED_PAD src0_sel:BYTE_3 src1_sel:DWORD
                                        ; implicit-def: $vgpr20
	s_and_saveexec_b64 s[28:29], vcc
	s_xor_b64 s[36:37], exec, s[28:29]
	s_cbranch_execz .LBB4_9093
; %bb.9080:                             ;   in Loop: Header=BB4_8645 Depth=3
	v_cmp_ne_u32_e32 vcc, 0, v42
	v_mov_b32_e32 v20, 0
	s_and_saveexec_b64 s[38:39], vcc
	s_cbranch_execz .LBB4_9092
; %bb.9081:                             ;   in Loop: Header=BB4_8645 Depth=3
	v_bfe_u32 v20, v42, 23, 8
	v_cmp_gt_u32_e64 s[28:29], s71, v20
	v_sub_u32_e32 v22, 0x79, v20
	v_cmp_eq_u32_e32 vcc, 0, v20
	v_cndmask_b32_e64 v22, 0, v22, s[28:29]
	v_mov_b32_e32 v32, 0x78
	v_cndmask_b32_e32 v57, v22, v32, vcc
	v_and_b32_e32 v2, 0x7fffff, v42
	v_add_u32_e32 v22, 20, v57
	v_or_b32_e32 v23, 0x800000, v2
	v_lshlrev_b64 v[42:43], v22, -1
	v_add_u32_e32 v22, 19, v57
	v_cndmask_b32_e32 v2, v23, v2, vcc
	v_lshlrev_b64 v[58:59], v22, 1
	v_bfi_b32 v43, v43, 0, 0
	v_bfi_b32 v42, v42, 0, v2
	v_cmp_eq_u64_e64 s[28:29], v[42:43], v[58:59]
	v_lshrrev_b64 v[42:43], v57, v[2:3]
	v_mov_b32_e32 v44, v43
	v_mov_b32_e32 v43, v42
	s_and_saveexec_b64 s[48:49], s[28:29]
; %bb.9082:                             ;   in Loop: Header=BB4_8645 Depth=3
	v_bfe_u32 v2, v42, 20, 1
	v_add_co_u32_e64 v2, s[28:29], v42, v2
	v_add_co_u32_e64 v43, s[28:29], -1, v2
; %bb.9083:                             ;   in Loop: Header=BB4_8645 Depth=3
	s_or_b64 exec, exec, s[48:49]
	v_add_u32_e32 v2, 0xffffff81, v20
	v_mov_b32_e32 v20, 0xffffff82
	v_cndmask_b32_e32 v2, v2, v20, vcc
	v_lshrrev_b32_e32 v20, 23, v42
	v_add3_u32 v57, v57, v2, v20
	v_add_u32_e32 v20, 6, v57
	v_and_b32_e32 v2, 0xfffff, v43
	v_add_u32_e32 v2, v2, v42
	v_cmp_ne_u32_e32 vcc, 0, v20
                                        ; implicit-def: $vgpr42_vgpr43
                                        ; implicit-def: $vgpr44
	s_and_saveexec_b64 s[28:29], vcc
	s_xor_b64 s[28:29], exec, s[28:29]
; %bb.9084:                             ;   in Loop: Header=BB4_8645 Depth=3
	v_cmp_lt_u64_e32 vcc, s[74:75], v[2:3]
	v_add_u32_e32 v22, 7, v57
	v_cndmask_b32_e32 v44, v20, v22, vcc
	v_cndmask_b32_e64 v20, 0, 1, vcc
	v_lshrrev_b64 v[42:43], v20, v[2:3]
; %bb.9085:                             ;   in Loop: Header=BB4_8645 Depth=3
	s_andn2_saveexec_b64 s[28:29], s[28:29]
; %bb.9086:                             ;   in Loop: Header=BB4_8645 Depth=3
	v_mov_b32_e32 v43, v3
	v_mov_b32_e32 v42, v2
	v_bfe_u32 v44, v2, 23, 1
; %bb.9087:                             ;   in Loop: Header=BB4_8645 Depth=3
	s_or_b64 exec, exec, s[28:29]
	v_lshrrev_b64 v[42:43], 20, v[42:43]
	v_cmp_gt_i32_e32 vcc, 16, v44
	v_cndmask_b32_e32 v43, 0, v43, vcc
	v_cndmask_b32_e32 v42, 7, v42, vcc
	v_cmp_ne_u64_e32 vcc, 0, v[42:43]
	v_cmp_ne_u32_e64 s[28:29], 0, v44
	s_or_b64 s[28:29], s[28:29], vcc
                                        ; implicit-def: $vgpr20
	s_and_saveexec_b64 s[44:45], s[28:29]
	s_xor_b64 s[28:29], exec, s[44:45]
; %bb.9088:                             ;   in Loop: Header=BB4_8645 Depth=3
	v_min_i32_e32 v2, 15, v44
	v_lshl_or_b32 v2, v2, 3, v56
	v_and_or_b32 v20, v42, 7, v2
                                        ; implicit-def: $vgpr56
; %bb.9089:                             ;   in Loop: Header=BB4_8645 Depth=3
	s_andn2_saveexec_b64 s[28:29], s[28:29]
; %bb.9090:                             ;   in Loop: Header=BB4_8645 Depth=3
	v_mov_b32_e32 v20, v56
; %bb.9091:                             ;   in Loop: Header=BB4_8645 Depth=3
	s_or_b64 exec, exec, s[28:29]
.LBB4_9092:                             ;   in Loop: Header=BB4_8645 Depth=3
	s_or_b64 exec, exec, s[38:39]
                                        ; implicit-def: $vgpr56
.LBB4_9093:                             ;   in Loop: Header=BB4_8645 Depth=3
	s_andn2_saveexec_b64 s[28:29], s[36:37]
; %bb.9094:                             ;   in Loop: Header=BB4_8645 Depth=3
	v_or_b32_e32 v20, 0x7e, v56
; %bb.9095:                             ;   in Loop: Header=BB4_8645 Depth=3
	s_or_b64 exec, exec, s[28:29]
                                        ; implicit-def: $vgpr42
.LBB4_9096:                             ;   in Loop: Header=BB4_8645 Depth=3
	s_andn2_saveexec_b64 s[28:29], s[34:35]
; %bb.9097:                             ;   in Loop: Header=BB4_8645 Depth=3
	v_or_b32_sdwa v20, v42, s68 dst_sel:DWORD dst_unused:UNUSED_PAD src0_sel:BYTE_3 src1_sel:DWORD
; %bb.9098:                             ;   in Loop: Header=BB4_8645 Depth=3
	s_or_b64 exec, exec, s[28:29]
	v_and_b32_e32 v2, 0xff, v30
	v_cmp_ne_u16_e32 vcc, 0, v2
	v_mov_b32_e32 v42, 0
	v_mov_b32_e32 v43, 0
	s_and_saveexec_b64 s[28:29], vcc
	s_cbranch_execz .LBB4_9104
; %bb.9099:                             ;   in Loop: Header=BB4_8645 Depth=3
	v_cmp_ne_u16_e32 vcc, s70, v2
	v_bfrev_b32_e32 v43, 1
	s_and_saveexec_b64 s[34:35], vcc
	s_cbranch_execz .LBB4_9103
; %bb.9100:                             ;   in Loop: Header=BB4_8645 Depth=3
	v_and_b32_e32 v44, 0x7f, v30
	v_cmp_ne_u32_e32 vcc, s68, v44
	v_mov_b32_e32 v43, 0x7f800001
	s_and_saveexec_b64 s[36:37], vcc
	s_cbranch_execz .LBB4_9102
; %bb.9101:                             ;   in Loop: Header=BB4_8645 Depth=3
	v_and_b32_e32 v22, 7, v2
	v_ffbh_u32_e32 v32, v22
	v_min_u32_e32 v32, 32, v32
	v_subrev_u32_e32 v33, 28, v32
	v_lshrrev_b32_e32 v23, 3, v44
	v_cmp_gt_u32_e32 vcc, 8, v44
	v_lshlrev_b64 v[43:44], v33, v[2:3]
	v_sub_u32_e32 v2, 29, v32
	v_and_b32_e32 v32, 7, v43
	v_cndmask_b32_e32 v2, v23, v2, vcc
	v_cndmask_b32_e32 v22, v22, v32, vcc
	v_lshlrev_b32_e32 v23, 24, v30
	v_lshlrev_b32_e32 v22, 20, v22
	v_and_b32_e32 v23, 0x80000000, v23
	v_lshl_add_u32 v2, v2, 23, v5
	v_or3_b32 v43, v23, v2, v22
.LBB4_9102:                             ;   in Loop: Header=BB4_8645 Depth=3
	s_or_b64 exec, exec, s[36:37]
.LBB4_9103:                             ;   in Loop: Header=BB4_8645 Depth=3
	s_or_b64 exec, exec, s[34:35]
.LBB4_9104:                             ;   in Loop: Header=BB4_8645 Depth=3
	s_or_b64 exec, exec, s[28:29]
	v_and_b32_e32 v2, 0xff, v47
	v_cmp_ne_u16_e32 vcc, 0, v2
	s_and_saveexec_b64 s[28:29], vcc
	s_cbranch_execz .LBB4_9110
; %bb.9105:                             ;   in Loop: Header=BB4_8645 Depth=3
	v_cmp_ne_u16_e32 vcc, s70, v2
	v_bfrev_b32_e32 v42, 1
	s_and_saveexec_b64 s[34:35], vcc
	s_cbranch_execz .LBB4_9109
; %bb.9106:                             ;   in Loop: Header=BB4_8645 Depth=3
	v_and_b32_e32 v30, 0x7f, v47
	v_cmp_ne_u32_e32 vcc, s68, v30
	v_mov_b32_e32 v42, 0x7f800001
	s_and_saveexec_b64 s[36:37], vcc
	s_cbranch_execz .LBB4_9108
; %bb.9107:                             ;   in Loop: Header=BB4_8645 Depth=3
	v_and_b32_e32 v22, 7, v2
	v_lshrrev_b32_e32 v23, 3, v30
	v_cmp_gt_u32_e32 vcc, 8, v30
	v_ffbh_u32_e32 v30, v22
	v_min_u32_e32 v30, 32, v30
	v_subrev_u32_e32 v32, 28, v30
	v_lshlrev_b64 v[56:57], v32, v[2:3]
	v_sub_u32_e32 v2, 29, v30
	v_and_b32_e32 v30, 7, v56
	v_cndmask_b32_e32 v2, v23, v2, vcc
	v_cndmask_b32_e32 v22, v22, v30, vcc
	v_lshlrev_b32_e32 v23, 24, v47
	v_lshlrev_b32_e32 v22, 20, v22
	v_and_b32_e32 v23, 0x80000000, v23
	v_lshl_add_u32 v2, v2, 23, v5
	v_or3_b32 v42, v23, v2, v22
.LBB4_9108:                             ;   in Loop: Header=BB4_8645 Depth=3
	s_or_b64 exec, exec, s[36:37]
.LBB4_9109:                             ;   in Loop: Header=BB4_8645 Depth=3
	s_or_b64 exec, exec, s[34:35]
.LBB4_9110:                             ;   in Loop: Header=BB4_8645 Depth=3
	s_or_b64 exec, exec, s[28:29]
	v_add_f32_e32 v42, v43, v42
	v_and_b32_e32 v2, 0x7f800000, v42
	v_cmp_ne_u64_e32 vcc, s[62:63], v[2:3]
                                        ; implicit-def: $vgpr30
	s_and_saveexec_b64 s[28:29], vcc
	s_xor_b64 s[34:35], exec, s[28:29]
	s_cbranch_execz .LBB4_9128
; %bb.9111:                             ;   in Loop: Header=BB4_8645 Depth=3
	v_and_b32_e32 v2, 0x7fffffff, v42
	v_cmp_gt_u64_e32 vcc, s[72:73], v[2:3]
	v_and_b32_sdwa v47, v42, s70 dst_sel:DWORD dst_unused:UNUSED_PAD src0_sel:BYTE_3 src1_sel:DWORD
                                        ; implicit-def: $vgpr30
	s_and_saveexec_b64 s[28:29], vcc
	s_xor_b64 s[36:37], exec, s[28:29]
	s_cbranch_execz .LBB4_9125
; %bb.9112:                             ;   in Loop: Header=BB4_8645 Depth=3
	v_cmp_ne_u32_e32 vcc, 0, v42
	v_mov_b32_e32 v30, 0
	s_and_saveexec_b64 s[38:39], vcc
	s_cbranch_execz .LBB4_9124
; %bb.9113:                             ;   in Loop: Header=BB4_8645 Depth=3
	v_bfe_u32 v30, v42, 23, 8
	v_cmp_gt_u32_e64 s[28:29], s71, v30
	v_sub_u32_e32 v22, 0x79, v30
	v_cmp_eq_u32_e32 vcc, 0, v30
	v_cndmask_b32_e64 v22, 0, v22, s[28:29]
	v_mov_b32_e32 v32, 0x78
	v_cndmask_b32_e32 v56, v22, v32, vcc
	v_and_b32_e32 v2, 0x7fffff, v42
	v_add_u32_e32 v22, 20, v56
	v_or_b32_e32 v23, 0x800000, v2
	v_lshlrev_b64 v[42:43], v22, -1
	v_add_u32_e32 v22, 19, v56
	v_cndmask_b32_e32 v2, v23, v2, vcc
	v_lshlrev_b64 v[57:58], v22, 1
	v_bfi_b32 v43, v43, 0, 0
	v_bfi_b32 v42, v42, 0, v2
	v_cmp_eq_u64_e64 s[28:29], v[42:43], v[57:58]
	v_lshrrev_b64 v[42:43], v56, v[2:3]
	v_mov_b32_e32 v44, v43
	v_mov_b32_e32 v43, v42
	s_and_saveexec_b64 s[48:49], s[28:29]
; %bb.9114:                             ;   in Loop: Header=BB4_8645 Depth=3
	v_bfe_u32 v2, v42, 20, 1
	v_add_co_u32_e64 v2, s[28:29], v42, v2
	v_add_co_u32_e64 v43, s[28:29], -1, v2
; %bb.9115:                             ;   in Loop: Header=BB4_8645 Depth=3
	s_or_b64 exec, exec, s[48:49]
	v_add_u32_e32 v2, 0xffffff81, v30
	v_mov_b32_e32 v22, 0xffffff82
	v_cndmask_b32_e32 v2, v2, v22, vcc
	v_lshrrev_b32_e32 v22, 23, v42
	v_add3_u32 v56, v56, v2, v22
	v_add_u32_e32 v30, 6, v56
	v_and_b32_e32 v2, 0xfffff, v43
	v_add_u32_e32 v2, v2, v42
	v_cmp_ne_u32_e32 vcc, 0, v30
                                        ; implicit-def: $vgpr42_vgpr43
                                        ; implicit-def: $vgpr44
	s_and_saveexec_b64 s[28:29], vcc
	s_xor_b64 s[28:29], exec, s[28:29]
; %bb.9116:                             ;   in Loop: Header=BB4_8645 Depth=3
	v_cmp_lt_u64_e32 vcc, s[74:75], v[2:3]
	v_add_u32_e32 v22, 7, v56
	v_cndmask_b32_e32 v44, v30, v22, vcc
	v_cndmask_b32_e64 v22, 0, 1, vcc
	v_lshrrev_b64 v[42:43], v22, v[2:3]
; %bb.9117:                             ;   in Loop: Header=BB4_8645 Depth=3
	s_andn2_saveexec_b64 s[28:29], s[28:29]
; %bb.9118:                             ;   in Loop: Header=BB4_8645 Depth=3
	v_mov_b32_e32 v43, v3
	v_mov_b32_e32 v42, v2
	v_bfe_u32 v44, v2, 23, 1
; %bb.9119:                             ;   in Loop: Header=BB4_8645 Depth=3
	s_or_b64 exec, exec, s[28:29]
	v_lshrrev_b64 v[42:43], 20, v[42:43]
	v_cmp_gt_i32_e32 vcc, 16, v44
	v_cndmask_b32_e32 v43, 0, v43, vcc
	v_cndmask_b32_e32 v42, 7, v42, vcc
	v_cmp_ne_u64_e32 vcc, 0, v[42:43]
	v_cmp_ne_u32_e64 s[28:29], 0, v44
	s_or_b64 s[28:29], s[28:29], vcc
                                        ; implicit-def: $vgpr30
	s_and_saveexec_b64 s[44:45], s[28:29]
	s_xor_b64 s[28:29], exec, s[44:45]
; %bb.9120:                             ;   in Loop: Header=BB4_8645 Depth=3
	v_min_i32_e32 v2, 15, v44
	v_lshl_or_b32 v2, v2, 3, v47
	v_and_or_b32 v30, v42, 7, v2
                                        ; implicit-def: $vgpr47
; %bb.9121:                             ;   in Loop: Header=BB4_8645 Depth=3
	s_andn2_saveexec_b64 s[28:29], s[28:29]
; %bb.9122:                             ;   in Loop: Header=BB4_8645 Depth=3
	v_mov_b32_e32 v30, v47
; %bb.9123:                             ;   in Loop: Header=BB4_8645 Depth=3
	s_or_b64 exec, exec, s[28:29]
.LBB4_9124:                             ;   in Loop: Header=BB4_8645 Depth=3
	s_or_b64 exec, exec, s[38:39]
                                        ; implicit-def: $vgpr47
.LBB4_9125:                             ;   in Loop: Header=BB4_8645 Depth=3
	s_andn2_saveexec_b64 s[28:29], s[36:37]
; %bb.9126:                             ;   in Loop: Header=BB4_8645 Depth=3
	v_or_b32_e32 v30, 0x7e, v47
; %bb.9127:                             ;   in Loop: Header=BB4_8645 Depth=3
	s_or_b64 exec, exec, s[28:29]
                                        ; implicit-def: $vgpr42
.LBB4_9128:                             ;   in Loop: Header=BB4_8645 Depth=3
	s_andn2_saveexec_b64 s[28:29], s[34:35]
; %bb.9129:                             ;   in Loop: Header=BB4_8645 Depth=3
	v_or_b32_sdwa v30, v42, s68 dst_sel:DWORD dst_unused:UNUSED_PAD src0_sel:BYTE_3 src1_sel:DWORD
; %bb.9130:                             ;   in Loop: Header=BB4_8645 Depth=3
	s_or_b64 exec, exec, s[28:29]
	v_and_b32_e32 v2, 0xff, v48
	v_cmp_ne_u16_e32 vcc, 0, v2
	v_mov_b32_e32 v42, 0
	v_mov_b32_e32 v43, 0
	s_and_saveexec_b64 s[28:29], vcc
	s_cbranch_execz .LBB4_9136
; %bb.9131:                             ;   in Loop: Header=BB4_8645 Depth=3
	v_cmp_ne_u16_e32 vcc, s70, v2
	v_bfrev_b32_e32 v43, 1
	s_and_saveexec_b64 s[34:35], vcc
	s_cbranch_execz .LBB4_9135
; %bb.9132:                             ;   in Loop: Header=BB4_8645 Depth=3
	v_and_b32_e32 v44, 0x7f, v48
	v_cmp_ne_u32_e32 vcc, s68, v44
	v_mov_b32_e32 v43, 0x7f800001
	s_and_saveexec_b64 s[36:37], vcc
	s_cbranch_execz .LBB4_9134
; %bb.9133:                             ;   in Loop: Header=BB4_8645 Depth=3
	v_and_b32_e32 v22, 7, v2
	v_ffbh_u32_e32 v32, v22
	v_min_u32_e32 v32, 32, v32
	v_subrev_u32_e32 v33, 28, v32
	v_lshrrev_b32_e32 v23, 3, v44
	v_cmp_gt_u32_e32 vcc, 8, v44
	v_lshlrev_b64 v[43:44], v33, v[2:3]
	v_sub_u32_e32 v2, 29, v32
	v_and_b32_e32 v32, 7, v43
	v_cndmask_b32_e32 v2, v23, v2, vcc
	v_cndmask_b32_e32 v22, v22, v32, vcc
	v_lshlrev_b32_e32 v23, 24, v48
	v_lshlrev_b32_e32 v22, 20, v22
	v_and_b32_e32 v23, 0x80000000, v23
	v_lshl_add_u32 v2, v2, 23, v5
	v_or3_b32 v43, v23, v2, v22
.LBB4_9134:                             ;   in Loop: Header=BB4_8645 Depth=3
	s_or_b64 exec, exec, s[36:37]
.LBB4_9135:                             ;   in Loop: Header=BB4_8645 Depth=3
	s_or_b64 exec, exec, s[34:35]
.LBB4_9136:                             ;   in Loop: Header=BB4_8645 Depth=3
	s_or_b64 exec, exec, s[28:29]
	v_and_b32_e32 v2, 0xff, v46
	v_cmp_ne_u16_e32 vcc, 0, v2
	s_and_saveexec_b64 s[28:29], vcc
	s_cbranch_execz .LBB4_9142
; %bb.9137:                             ;   in Loop: Header=BB4_8645 Depth=3
	v_cmp_ne_u16_e32 vcc, s70, v2
	v_bfrev_b32_e32 v42, 1
	s_and_saveexec_b64 s[34:35], vcc
	s_cbranch_execz .LBB4_9141
; %bb.9138:                             ;   in Loop: Header=BB4_8645 Depth=3
	v_and_b32_e32 v48, 0x7f, v46
	v_cmp_ne_u32_e32 vcc, s68, v48
	v_mov_b32_e32 v42, 0x7f800001
	s_and_saveexec_b64 s[36:37], vcc
	s_cbranch_execz .LBB4_9140
; %bb.9139:                             ;   in Loop: Header=BB4_8645 Depth=3
	v_and_b32_e32 v22, 7, v2
	v_ffbh_u32_e32 v32, v22
	v_min_u32_e32 v32, 32, v32
	v_subrev_u32_e32 v33, 28, v32
	v_lshrrev_b32_e32 v23, 3, v48
	v_cmp_gt_u32_e32 vcc, 8, v48
	v_lshlrev_b64 v[47:48], v33, v[2:3]
	v_sub_u32_e32 v2, 29, v32
	v_and_b32_e32 v32, 7, v47
	v_cndmask_b32_e32 v2, v23, v2, vcc
	v_cndmask_b32_e32 v22, v22, v32, vcc
	v_lshlrev_b32_e32 v23, 24, v46
	v_lshlrev_b32_e32 v22, 20, v22
	v_and_b32_e32 v23, 0x80000000, v23
	v_lshl_add_u32 v2, v2, 23, v5
	v_or3_b32 v42, v23, v2, v22
.LBB4_9140:                             ;   in Loop: Header=BB4_8645 Depth=3
	s_or_b64 exec, exec, s[36:37]
.LBB4_9141:                             ;   in Loop: Header=BB4_8645 Depth=3
	s_or_b64 exec, exec, s[34:35]
.LBB4_9142:                             ;   in Loop: Header=BB4_8645 Depth=3
	s_or_b64 exec, exec, s[28:29]
	v_add_f32_e32 v42, v43, v42
	v_and_b32_e32 v2, 0x7f800000, v42
	v_cmp_ne_u64_e32 vcc, s[62:63], v[2:3]
                                        ; implicit-def: $vgpr48
	s_and_saveexec_b64 s[28:29], vcc
	s_xor_b64 s[34:35], exec, s[28:29]
	s_cbranch_execz .LBB4_9160
; %bb.9143:                             ;   in Loop: Header=BB4_8645 Depth=3
	v_and_b32_e32 v2, 0x7fffffff, v42
	v_cmp_gt_u64_e32 vcc, s[72:73], v[2:3]
	v_and_b32_sdwa v46, v42, s70 dst_sel:DWORD dst_unused:UNUSED_PAD src0_sel:BYTE_3 src1_sel:DWORD
                                        ; implicit-def: $vgpr48
	s_and_saveexec_b64 s[28:29], vcc
	s_xor_b64 s[36:37], exec, s[28:29]
	s_cbranch_execz .LBB4_9157
; %bb.9144:                             ;   in Loop: Header=BB4_8645 Depth=3
	v_cmp_ne_u32_e32 vcc, 0, v42
	v_mov_b32_e32 v48, 0
	s_and_saveexec_b64 s[38:39], vcc
	s_cbranch_execz .LBB4_9156
; %bb.9145:                             ;   in Loop: Header=BB4_8645 Depth=3
	v_bfe_u32 v48, v42, 23, 8
	v_cmp_gt_u32_e64 s[28:29], s71, v48
	v_sub_u32_e32 v22, 0x79, v48
	v_cmp_eq_u32_e32 vcc, 0, v48
	v_cndmask_b32_e64 v22, 0, v22, s[28:29]
	v_mov_b32_e32 v32, 0x78
	v_cndmask_b32_e32 v47, v22, v32, vcc
	v_and_b32_e32 v2, 0x7fffff, v42
	v_add_u32_e32 v22, 20, v47
	v_or_b32_e32 v23, 0x800000, v2
	v_lshlrev_b64 v[42:43], v22, -1
	v_add_u32_e32 v22, 19, v47
	v_cndmask_b32_e32 v2, v23, v2, vcc
	v_lshlrev_b64 v[56:57], v22, 1
	v_bfi_b32 v43, v43, 0, 0
	v_bfi_b32 v42, v42, 0, v2
	v_cmp_eq_u64_e64 s[28:29], v[42:43], v[56:57]
	v_lshrrev_b64 v[42:43], v47, v[2:3]
	v_mov_b32_e32 v44, v43
	v_mov_b32_e32 v43, v42
	s_and_saveexec_b64 s[48:49], s[28:29]
; %bb.9146:                             ;   in Loop: Header=BB4_8645 Depth=3
	v_bfe_u32 v2, v42, 20, 1
	v_add_co_u32_e64 v2, s[28:29], v42, v2
	v_add_co_u32_e64 v43, s[28:29], -1, v2
; %bb.9147:                             ;   in Loop: Header=BB4_8645 Depth=3
	s_or_b64 exec, exec, s[48:49]
	v_add_u32_e32 v2, 0xffffff81, v48
	v_mov_b32_e32 v22, 0xffffff82
	v_cndmask_b32_e32 v2, v2, v22, vcc
	v_lshrrev_b32_e32 v22, 23, v42
	v_add3_u32 v47, v47, v2, v22
	v_add_u32_e32 v48, 6, v47
	v_and_b32_e32 v2, 0xfffff, v43
	v_add_u32_e32 v2, v2, v42
	v_cmp_ne_u32_e32 vcc, 0, v48
                                        ; implicit-def: $vgpr42_vgpr43
                                        ; implicit-def: $vgpr44
	s_and_saveexec_b64 s[28:29], vcc
	s_xor_b64 s[28:29], exec, s[28:29]
; %bb.9148:                             ;   in Loop: Header=BB4_8645 Depth=3
	v_cmp_lt_u64_e32 vcc, s[74:75], v[2:3]
	v_add_u32_e32 v22, 7, v47
	v_cndmask_b32_e32 v44, v48, v22, vcc
	v_cndmask_b32_e64 v22, 0, 1, vcc
	v_lshrrev_b64 v[42:43], v22, v[2:3]
; %bb.9149:                             ;   in Loop: Header=BB4_8645 Depth=3
	s_andn2_saveexec_b64 s[28:29], s[28:29]
; %bb.9150:                             ;   in Loop: Header=BB4_8645 Depth=3
	v_mov_b32_e32 v43, v3
	v_mov_b32_e32 v42, v2
	v_bfe_u32 v44, v2, 23, 1
; %bb.9151:                             ;   in Loop: Header=BB4_8645 Depth=3
	s_or_b64 exec, exec, s[28:29]
	v_lshrrev_b64 v[42:43], 20, v[42:43]
	v_cmp_gt_i32_e32 vcc, 16, v44
	v_cndmask_b32_e32 v43, 0, v43, vcc
	v_cndmask_b32_e32 v42, 7, v42, vcc
	v_cmp_ne_u64_e32 vcc, 0, v[42:43]
	v_cmp_ne_u32_e64 s[28:29], 0, v44
	s_or_b64 s[28:29], s[28:29], vcc
                                        ; implicit-def: $vgpr48
	s_and_saveexec_b64 s[44:45], s[28:29]
	s_xor_b64 s[28:29], exec, s[44:45]
; %bb.9152:                             ;   in Loop: Header=BB4_8645 Depth=3
	v_min_i32_e32 v2, 15, v44
	v_lshl_or_b32 v2, v2, 3, v46
	v_and_or_b32 v48, v42, 7, v2
                                        ; implicit-def: $vgpr46
; %bb.9153:                             ;   in Loop: Header=BB4_8645 Depth=3
	s_andn2_saveexec_b64 s[28:29], s[28:29]
; %bb.9154:                             ;   in Loop: Header=BB4_8645 Depth=3
	v_mov_b32_e32 v48, v46
; %bb.9155:                             ;   in Loop: Header=BB4_8645 Depth=3
	s_or_b64 exec, exec, s[28:29]
.LBB4_9156:                             ;   in Loop: Header=BB4_8645 Depth=3
	s_or_b64 exec, exec, s[38:39]
                                        ; implicit-def: $vgpr46
.LBB4_9157:                             ;   in Loop: Header=BB4_8645 Depth=3
	s_andn2_saveexec_b64 s[28:29], s[36:37]
; %bb.9158:                             ;   in Loop: Header=BB4_8645 Depth=3
	v_or_b32_e32 v48, 0x7e, v46
; %bb.9159:                             ;   in Loop: Header=BB4_8645 Depth=3
	s_or_b64 exec, exec, s[28:29]
                                        ; implicit-def: $vgpr42
.LBB4_9160:                             ;   in Loop: Header=BB4_8645 Depth=3
	s_andn2_saveexec_b64 s[28:29], s[34:35]
; %bb.9161:                             ;   in Loop: Header=BB4_8645 Depth=3
	v_or_b32_sdwa v48, v42, s68 dst_sel:DWORD dst_unused:UNUSED_PAD src0_sel:BYTE_3 src1_sel:DWORD
; %bb.9162:                             ;   in Loop: Header=BB4_8645 Depth=3
	s_or_b64 exec, exec, s[28:29]
	v_and_b32_e32 v2, 0xff, v38
	v_cmp_ne_u16_e32 vcc, 0, v2
	v_mov_b32_e32 v42, 0
	v_mov_b32_e32 v43, 0
	s_and_saveexec_b64 s[28:29], vcc
	s_cbranch_execz .LBB4_9168
; %bb.9163:                             ;   in Loop: Header=BB4_8645 Depth=3
	v_cmp_ne_u16_e32 vcc, s70, v2
	v_bfrev_b32_e32 v43, 1
	s_and_saveexec_b64 s[34:35], vcc
	s_cbranch_execz .LBB4_9167
; %bb.9164:                             ;   in Loop: Header=BB4_8645 Depth=3
	v_and_b32_e32 v44, 0x7f, v38
	v_cmp_ne_u32_e32 vcc, s68, v44
	v_mov_b32_e32 v43, 0x7f800001
	s_and_saveexec_b64 s[36:37], vcc
	s_cbranch_execz .LBB4_9166
; %bb.9165:                             ;   in Loop: Header=BB4_8645 Depth=3
	v_and_b32_e32 v22, 7, v2
	v_ffbh_u32_e32 v32, v22
	v_min_u32_e32 v32, 32, v32
	v_subrev_u32_e32 v33, 28, v32
	v_lshrrev_b32_e32 v23, 3, v44
	v_cmp_gt_u32_e32 vcc, 8, v44
	v_lshlrev_b64 v[43:44], v33, v[2:3]
	v_sub_u32_e32 v2, 29, v32
	v_and_b32_e32 v32, 7, v43
	v_cndmask_b32_e32 v2, v23, v2, vcc
	v_cndmask_b32_e32 v22, v22, v32, vcc
	v_lshlrev_b32_e32 v23, 24, v38
	v_lshlrev_b32_e32 v22, 20, v22
	v_and_b32_e32 v23, 0x80000000, v23
	v_lshl_add_u32 v2, v2, 23, v5
	v_or3_b32 v43, v23, v2, v22
.LBB4_9166:                             ;   in Loop: Header=BB4_8645 Depth=3
	s_or_b64 exec, exec, s[36:37]
.LBB4_9167:                             ;   in Loop: Header=BB4_8645 Depth=3
	s_or_b64 exec, exec, s[34:35]
.LBB4_9168:                             ;   in Loop: Header=BB4_8645 Depth=3
	s_or_b64 exec, exec, s[28:29]
	v_and_b32_e32 v2, 0xff, v45
	v_cmp_ne_u16_e32 vcc, 0, v2
	s_and_saveexec_b64 s[28:29], vcc
	s_cbranch_execz .LBB4_9174
; %bb.9169:                             ;   in Loop: Header=BB4_8645 Depth=3
	v_cmp_ne_u16_e32 vcc, s70, v2
	v_bfrev_b32_e32 v42, 1
	s_and_saveexec_b64 s[34:35], vcc
	s_cbranch_execz .LBB4_9173
; %bb.9170:                             ;   in Loop: Header=BB4_8645 Depth=3
	v_and_b32_e32 v38, 0x7f, v45
	v_cmp_ne_u32_e32 vcc, s68, v38
	v_mov_b32_e32 v42, 0x7f800001
	s_and_saveexec_b64 s[36:37], vcc
	s_cbranch_execz .LBB4_9172
; %bb.9171:                             ;   in Loop: Header=BB4_8645 Depth=3
	v_and_b32_e32 v22, 7, v2
	v_ffbh_u32_e32 v32, v22
	v_min_u32_e32 v32, 32, v32
	v_subrev_u32_e32 v33, 28, v32
	v_lshlrev_b64 v[46:47], v33, v[2:3]
	v_lshrrev_b32_e32 v23, 3, v38
	v_cmp_gt_u32_e32 vcc, 8, v38
	v_sub_u32_e32 v2, 29, v32
	v_and_b32_e32 v32, 7, v46
	v_cndmask_b32_e32 v2, v23, v2, vcc
	v_cndmask_b32_e32 v22, v22, v32, vcc
	v_lshlrev_b32_e32 v23, 24, v45
	v_lshlrev_b32_e32 v22, 20, v22
	v_and_b32_e32 v23, 0x80000000, v23
	v_lshl_add_u32 v2, v2, 23, v5
	v_or3_b32 v42, v23, v2, v22
.LBB4_9172:                             ;   in Loop: Header=BB4_8645 Depth=3
	s_or_b64 exec, exec, s[36:37]
.LBB4_9173:                             ;   in Loop: Header=BB4_8645 Depth=3
	s_or_b64 exec, exec, s[34:35]
.LBB4_9174:                             ;   in Loop: Header=BB4_8645 Depth=3
	s_or_b64 exec, exec, s[28:29]
	v_add_f32_e32 v42, v43, v42
	v_and_b32_e32 v2, 0x7f800000, v42
	v_cmp_ne_u64_e32 vcc, s[62:63], v[2:3]
                                        ; implicit-def: $vgpr38
	s_and_saveexec_b64 s[28:29], vcc
	s_xor_b64 s[34:35], exec, s[28:29]
	s_cbranch_execz .LBB4_9192
; %bb.9175:                             ;   in Loop: Header=BB4_8645 Depth=3
	v_and_b32_e32 v2, 0x7fffffff, v42
	v_cmp_gt_u64_e32 vcc, s[72:73], v[2:3]
	v_and_b32_sdwa v45, v42, s70 dst_sel:DWORD dst_unused:UNUSED_PAD src0_sel:BYTE_3 src1_sel:DWORD
                                        ; implicit-def: $vgpr38
	s_and_saveexec_b64 s[28:29], vcc
	s_xor_b64 s[36:37], exec, s[28:29]
	s_cbranch_execz .LBB4_9189
; %bb.9176:                             ;   in Loop: Header=BB4_8645 Depth=3
	v_cmp_ne_u32_e32 vcc, 0, v42
	v_mov_b32_e32 v38, 0
	s_and_saveexec_b64 s[38:39], vcc
	s_cbranch_execz .LBB4_9188
; %bb.9177:                             ;   in Loop: Header=BB4_8645 Depth=3
	v_bfe_u32 v38, v42, 23, 8
	v_cmp_gt_u32_e64 s[28:29], s71, v38
	v_sub_u32_e32 v22, 0x79, v38
	v_cmp_eq_u32_e32 vcc, 0, v38
	v_cndmask_b32_e64 v22, 0, v22, s[28:29]
	v_mov_b32_e32 v32, 0x78
	v_cndmask_b32_e32 v46, v22, v32, vcc
	v_and_b32_e32 v2, 0x7fffff, v42
	v_add_u32_e32 v22, 20, v46
	v_or_b32_e32 v23, 0x800000, v2
	v_lshlrev_b64 v[42:43], v22, -1
	v_add_u32_e32 v22, 19, v46
	v_cndmask_b32_e32 v2, v23, v2, vcc
	v_lshlrev_b64 v[56:57], v22, 1
	v_bfi_b32 v43, v43, 0, 0
	v_bfi_b32 v42, v42, 0, v2
	v_cmp_eq_u64_e64 s[28:29], v[42:43], v[56:57]
	v_lshrrev_b64 v[42:43], v46, v[2:3]
	v_mov_b32_e32 v44, v43
	v_mov_b32_e32 v43, v42
	s_and_saveexec_b64 s[48:49], s[28:29]
; %bb.9178:                             ;   in Loop: Header=BB4_8645 Depth=3
	v_bfe_u32 v2, v42, 20, 1
	v_add_co_u32_e64 v2, s[28:29], v42, v2
	v_add_co_u32_e64 v43, s[28:29], -1, v2
; %bb.9179:                             ;   in Loop: Header=BB4_8645 Depth=3
	s_or_b64 exec, exec, s[48:49]
	v_add_u32_e32 v2, 0xffffff81, v38
	v_mov_b32_e32 v22, 0xffffff82
	v_cndmask_b32_e32 v2, v2, v22, vcc
	v_lshrrev_b32_e32 v22, 23, v42
	v_add3_u32 v46, v46, v2, v22
	v_add_u32_e32 v38, 6, v46
	v_and_b32_e32 v2, 0xfffff, v43
	v_add_u32_e32 v2, v2, v42
	v_cmp_ne_u32_e32 vcc, 0, v38
                                        ; implicit-def: $vgpr42_vgpr43
                                        ; implicit-def: $vgpr44
	s_and_saveexec_b64 s[28:29], vcc
	s_xor_b64 s[28:29], exec, s[28:29]
; %bb.9180:                             ;   in Loop: Header=BB4_8645 Depth=3
	v_cmp_lt_u64_e32 vcc, s[74:75], v[2:3]
	v_add_u32_e32 v22, 7, v46
	v_cndmask_b32_e32 v44, v38, v22, vcc
	v_cndmask_b32_e64 v22, 0, 1, vcc
	v_lshrrev_b64 v[42:43], v22, v[2:3]
; %bb.9181:                             ;   in Loop: Header=BB4_8645 Depth=3
	s_andn2_saveexec_b64 s[28:29], s[28:29]
; %bb.9182:                             ;   in Loop: Header=BB4_8645 Depth=3
	v_mov_b32_e32 v43, v3
	v_mov_b32_e32 v42, v2
	v_bfe_u32 v44, v2, 23, 1
; %bb.9183:                             ;   in Loop: Header=BB4_8645 Depth=3
	s_or_b64 exec, exec, s[28:29]
	v_lshrrev_b64 v[42:43], 20, v[42:43]
	v_cmp_gt_i32_e32 vcc, 16, v44
	v_cndmask_b32_e32 v43, 0, v43, vcc
	v_cndmask_b32_e32 v42, 7, v42, vcc
	v_cmp_ne_u64_e32 vcc, 0, v[42:43]
	v_cmp_ne_u32_e64 s[28:29], 0, v44
	s_or_b64 s[28:29], s[28:29], vcc
                                        ; implicit-def: $vgpr38
	s_and_saveexec_b64 s[44:45], s[28:29]
	s_xor_b64 s[28:29], exec, s[44:45]
; %bb.9184:                             ;   in Loop: Header=BB4_8645 Depth=3
	v_min_i32_e32 v2, 15, v44
	v_lshl_or_b32 v2, v2, 3, v45
	v_and_or_b32 v38, v42, 7, v2
                                        ; implicit-def: $vgpr45
; %bb.9185:                             ;   in Loop: Header=BB4_8645 Depth=3
	s_andn2_saveexec_b64 s[28:29], s[28:29]
; %bb.9186:                             ;   in Loop: Header=BB4_8645 Depth=3
	v_mov_b32_e32 v38, v45
; %bb.9187:                             ;   in Loop: Header=BB4_8645 Depth=3
	s_or_b64 exec, exec, s[28:29]
.LBB4_9188:                             ;   in Loop: Header=BB4_8645 Depth=3
	s_or_b64 exec, exec, s[38:39]
                                        ; implicit-def: $vgpr45
.LBB4_9189:                             ;   in Loop: Header=BB4_8645 Depth=3
	s_andn2_saveexec_b64 s[28:29], s[36:37]
; %bb.9190:                             ;   in Loop: Header=BB4_8645 Depth=3
	v_or_b32_e32 v38, 0x7e, v45
; %bb.9191:                             ;   in Loop: Header=BB4_8645 Depth=3
	s_or_b64 exec, exec, s[28:29]
                                        ; implicit-def: $vgpr42
.LBB4_9192:                             ;   in Loop: Header=BB4_8645 Depth=3
	s_andn2_saveexec_b64 s[28:29], s[34:35]
; %bb.9193:                             ;   in Loop: Header=BB4_8645 Depth=3
	v_or_b32_sdwa v38, v42, s68 dst_sel:DWORD dst_unused:UNUSED_PAD src0_sel:BYTE_3 src1_sel:DWORD
; %bb.9194:                             ;   in Loop: Header=BB4_8645 Depth=3
	s_or_b64 exec, exec, s[28:29]
	v_and_b32_e32 v2, 0xff, v37
	v_cmp_ne_u16_e32 vcc, 0, v2
	v_mov_b32_e32 v42, 0
	v_mov_b32_e32 v43, 0
	s_and_saveexec_b64 s[28:29], vcc
	s_cbranch_execz .LBB4_9200
; %bb.9195:                             ;   in Loop: Header=BB4_8645 Depth=3
	v_cmp_ne_u16_e32 vcc, s70, v2
	v_bfrev_b32_e32 v43, 1
	s_and_saveexec_b64 s[34:35], vcc
	s_cbranch_execz .LBB4_9199
; %bb.9196:                             ;   in Loop: Header=BB4_8645 Depth=3
	v_and_b32_e32 v44, 0x7f, v37
	v_cmp_ne_u32_e32 vcc, s68, v44
	v_mov_b32_e32 v43, 0x7f800001
	s_and_saveexec_b64 s[36:37], vcc
	s_cbranch_execz .LBB4_9198
; %bb.9197:                             ;   in Loop: Header=BB4_8645 Depth=3
	v_and_b32_e32 v22, 7, v2
	v_ffbh_u32_e32 v32, v22
	v_min_u32_e32 v32, 32, v32
	v_subrev_u32_e32 v33, 28, v32
	v_lshrrev_b32_e32 v23, 3, v44
	v_cmp_gt_u32_e32 vcc, 8, v44
	v_lshlrev_b64 v[43:44], v33, v[2:3]
	v_sub_u32_e32 v2, 29, v32
	v_and_b32_e32 v32, 7, v43
	v_cndmask_b32_e32 v2, v23, v2, vcc
	v_cndmask_b32_e32 v22, v22, v32, vcc
	v_lshlrev_b32_e32 v23, 24, v37
	v_lshlrev_b32_e32 v22, 20, v22
	v_and_b32_e32 v23, 0x80000000, v23
	v_lshl_add_u32 v2, v2, 23, v5
	v_or3_b32 v43, v23, v2, v22
.LBB4_9198:                             ;   in Loop: Header=BB4_8645 Depth=3
	s_or_b64 exec, exec, s[36:37]
.LBB4_9199:                             ;   in Loop: Header=BB4_8645 Depth=3
	s_or_b64 exec, exec, s[34:35]
.LBB4_9200:                             ;   in Loop: Header=BB4_8645 Depth=3
	s_or_b64 exec, exec, s[28:29]
	v_and_b32_e32 v2, 0xff, v41
	v_cmp_ne_u16_e32 vcc, 0, v2
	s_and_saveexec_b64 s[28:29], vcc
	s_cbranch_execz .LBB4_9206
; %bb.9201:                             ;   in Loop: Header=BB4_8645 Depth=3
	v_cmp_ne_u16_e32 vcc, s70, v2
	v_bfrev_b32_e32 v42, 1
	s_and_saveexec_b64 s[34:35], vcc
	s_cbranch_execz .LBB4_9205
; %bb.9202:                             ;   in Loop: Header=BB4_8645 Depth=3
	v_and_b32_e32 v37, 0x7f, v41
	v_cmp_ne_u32_e32 vcc, s68, v37
	v_mov_b32_e32 v42, 0x7f800001
	s_and_saveexec_b64 s[36:37], vcc
	s_cbranch_execz .LBB4_9204
; %bb.9203:                             ;   in Loop: Header=BB4_8645 Depth=3
	v_and_b32_e32 v22, 7, v2
	v_ffbh_u32_e32 v32, v22
	v_min_u32_e32 v32, 32, v32
	v_subrev_u32_e32 v33, 28, v32
	v_lshlrev_b64 v[44:45], v33, v[2:3]
	v_lshrrev_b32_e32 v23, 3, v37
	v_cmp_gt_u32_e32 vcc, 8, v37
	v_sub_u32_e32 v2, 29, v32
	v_and_b32_e32 v32, 7, v44
	v_cndmask_b32_e32 v2, v23, v2, vcc
	v_cndmask_b32_e32 v22, v22, v32, vcc
	v_lshlrev_b32_e32 v23, 24, v41
	v_lshlrev_b32_e32 v22, 20, v22
	v_and_b32_e32 v23, 0x80000000, v23
	v_lshl_add_u32 v2, v2, 23, v5
	v_or3_b32 v42, v23, v2, v22
.LBB4_9204:                             ;   in Loop: Header=BB4_8645 Depth=3
	s_or_b64 exec, exec, s[36:37]
.LBB4_9205:                             ;   in Loop: Header=BB4_8645 Depth=3
	s_or_b64 exec, exec, s[34:35]
.LBB4_9206:                             ;   in Loop: Header=BB4_8645 Depth=3
	s_or_b64 exec, exec, s[28:29]
	v_add_f32_e32 v42, v43, v42
	v_and_b32_e32 v2, 0x7f800000, v42
	v_cmp_ne_u64_e32 vcc, s[62:63], v[2:3]
                                        ; implicit-def: $vgpr37
	s_and_saveexec_b64 s[28:29], vcc
	s_xor_b64 s[34:35], exec, s[28:29]
	s_cbranch_execz .LBB4_9224
; %bb.9207:                             ;   in Loop: Header=BB4_8645 Depth=3
	v_and_b32_e32 v2, 0x7fffffff, v42
	v_cmp_gt_u64_e32 vcc, s[72:73], v[2:3]
	v_and_b32_sdwa v41, v42, s70 dst_sel:DWORD dst_unused:UNUSED_PAD src0_sel:BYTE_3 src1_sel:DWORD
                                        ; implicit-def: $vgpr37
	s_and_saveexec_b64 s[28:29], vcc
	s_xor_b64 s[36:37], exec, s[28:29]
	s_cbranch_execz .LBB4_9221
; %bb.9208:                             ;   in Loop: Header=BB4_8645 Depth=3
	v_cmp_ne_u32_e32 vcc, 0, v42
	v_mov_b32_e32 v37, 0
	s_and_saveexec_b64 s[38:39], vcc
	s_cbranch_execz .LBB4_9220
; %bb.9209:                             ;   in Loop: Header=BB4_8645 Depth=3
	v_bfe_u32 v37, v42, 23, 8
	v_cmp_gt_u32_e64 s[28:29], s71, v37
	v_sub_u32_e32 v22, 0x79, v37
	v_cmp_eq_u32_e32 vcc, 0, v37
	v_cndmask_b32_e64 v22, 0, v22, s[28:29]
	v_mov_b32_e32 v32, 0x78
	v_cndmask_b32_e32 v45, v22, v32, vcc
	v_and_b32_e32 v2, 0x7fffff, v42
	v_add_u32_e32 v22, 20, v45
	v_or_b32_e32 v23, 0x800000, v2
	v_lshlrev_b64 v[42:43], v22, -1
	v_add_u32_e32 v22, 19, v45
	v_cndmask_b32_e32 v2, v23, v2, vcc
	v_lshlrev_b64 v[46:47], v22, 1
	v_bfi_b32 v43, v43, 0, 0
	v_bfi_b32 v42, v42, 0, v2
	v_cmp_eq_u64_e64 s[28:29], v[42:43], v[46:47]
	v_lshrrev_b64 v[42:43], v45, v[2:3]
	v_mov_b32_e32 v44, v43
	v_mov_b32_e32 v43, v42
	s_and_saveexec_b64 s[48:49], s[28:29]
; %bb.9210:                             ;   in Loop: Header=BB4_8645 Depth=3
	v_bfe_u32 v2, v42, 20, 1
	v_add_co_u32_e64 v2, s[28:29], v42, v2
	v_add_co_u32_e64 v43, s[28:29], -1, v2
; %bb.9211:                             ;   in Loop: Header=BB4_8645 Depth=3
	s_or_b64 exec, exec, s[48:49]
	v_add_u32_e32 v2, 0xffffff81, v37
	v_mov_b32_e32 v22, 0xffffff82
	v_cndmask_b32_e32 v2, v2, v22, vcc
	v_lshrrev_b32_e32 v22, 23, v42
	v_add3_u32 v45, v45, v2, v22
	v_add_u32_e32 v37, 6, v45
	v_and_b32_e32 v2, 0xfffff, v43
	v_add_u32_e32 v2, v2, v42
	v_cmp_ne_u32_e32 vcc, 0, v37
                                        ; implicit-def: $vgpr42_vgpr43
                                        ; implicit-def: $vgpr44
	s_and_saveexec_b64 s[28:29], vcc
	s_xor_b64 s[28:29], exec, s[28:29]
; %bb.9212:                             ;   in Loop: Header=BB4_8645 Depth=3
	v_cmp_lt_u64_e32 vcc, s[74:75], v[2:3]
	v_add_u32_e32 v22, 7, v45
	v_cndmask_b32_e32 v44, v37, v22, vcc
	v_cndmask_b32_e64 v22, 0, 1, vcc
	v_lshrrev_b64 v[42:43], v22, v[2:3]
; %bb.9213:                             ;   in Loop: Header=BB4_8645 Depth=3
	s_andn2_saveexec_b64 s[28:29], s[28:29]
; %bb.9214:                             ;   in Loop: Header=BB4_8645 Depth=3
	v_mov_b32_e32 v43, v3
	v_mov_b32_e32 v42, v2
	v_bfe_u32 v44, v2, 23, 1
; %bb.9215:                             ;   in Loop: Header=BB4_8645 Depth=3
	s_or_b64 exec, exec, s[28:29]
	v_lshrrev_b64 v[42:43], 20, v[42:43]
	v_cmp_gt_i32_e32 vcc, 16, v44
	v_cndmask_b32_e32 v43, 0, v43, vcc
	v_cndmask_b32_e32 v42, 7, v42, vcc
	v_cmp_ne_u64_e32 vcc, 0, v[42:43]
	v_cmp_ne_u32_e64 s[28:29], 0, v44
	s_or_b64 s[28:29], s[28:29], vcc
                                        ; implicit-def: $vgpr37
	s_and_saveexec_b64 s[44:45], s[28:29]
	s_xor_b64 s[28:29], exec, s[44:45]
; %bb.9216:                             ;   in Loop: Header=BB4_8645 Depth=3
	v_min_i32_e32 v2, 15, v44
	v_lshl_or_b32 v2, v2, 3, v41
	v_and_or_b32 v37, v42, 7, v2
                                        ; implicit-def: $vgpr41
; %bb.9217:                             ;   in Loop: Header=BB4_8645 Depth=3
	s_andn2_saveexec_b64 s[28:29], s[28:29]
; %bb.9218:                             ;   in Loop: Header=BB4_8645 Depth=3
	v_mov_b32_e32 v37, v41
; %bb.9219:                             ;   in Loop: Header=BB4_8645 Depth=3
	s_or_b64 exec, exec, s[28:29]
.LBB4_9220:                             ;   in Loop: Header=BB4_8645 Depth=3
	s_or_b64 exec, exec, s[38:39]
                                        ; implicit-def: $vgpr41
.LBB4_9221:                             ;   in Loop: Header=BB4_8645 Depth=3
	s_andn2_saveexec_b64 s[28:29], s[36:37]
; %bb.9222:                             ;   in Loop: Header=BB4_8645 Depth=3
	v_or_b32_e32 v37, 0x7e, v41
; %bb.9223:                             ;   in Loop: Header=BB4_8645 Depth=3
	s_or_b64 exec, exec, s[28:29]
                                        ; implicit-def: $vgpr42
.LBB4_9224:                             ;   in Loop: Header=BB4_8645 Depth=3
	s_andn2_saveexec_b64 s[28:29], s[34:35]
; %bb.9225:                             ;   in Loop: Header=BB4_8645 Depth=3
	v_or_b32_sdwa v37, v42, s68 dst_sel:DWORD dst_unused:UNUSED_PAD src0_sel:BYTE_3 src1_sel:DWORD
; %bb.9226:                             ;   in Loop: Header=BB4_8645 Depth=3
	s_or_b64 exec, exec, s[28:29]
	v_and_b32_e32 v2, 0xff, v36
	v_cmp_ne_u16_e32 vcc, 0, v2
	v_mov_b32_e32 v41, 0
	v_mov_b32_e32 v42, 0
	s_and_saveexec_b64 s[28:29], vcc
	s_cbranch_execz .LBB4_9232
; %bb.9227:                             ;   in Loop: Header=BB4_8645 Depth=3
	v_cmp_ne_u16_e32 vcc, s70, v2
	v_bfrev_b32_e32 v42, 1
	s_and_saveexec_b64 s[34:35], vcc
	s_cbranch_execz .LBB4_9231
; %bb.9228:                             ;   in Loop: Header=BB4_8645 Depth=3
	v_and_b32_e32 v43, 0x7f, v36
	v_cmp_ne_u32_e32 vcc, s68, v43
	v_mov_b32_e32 v42, 0x7f800001
	s_and_saveexec_b64 s[36:37], vcc
	s_cbranch_execz .LBB4_9230
; %bb.9229:                             ;   in Loop: Header=BB4_8645 Depth=3
	v_and_b32_e32 v22, 7, v2
	v_ffbh_u32_e32 v32, v22
	v_min_u32_e32 v32, 32, v32
	v_subrev_u32_e32 v33, 28, v32
	v_lshrrev_b32_e32 v23, 3, v43
	v_cmp_gt_u32_e32 vcc, 8, v43
	v_lshlrev_b64 v[42:43], v33, v[2:3]
	v_sub_u32_e32 v2, 29, v32
	v_and_b32_e32 v32, 7, v42
	v_cndmask_b32_e32 v2, v23, v2, vcc
	v_cndmask_b32_e32 v22, v22, v32, vcc
	v_lshlrev_b32_e32 v23, 24, v36
	v_lshlrev_b32_e32 v22, 20, v22
	v_and_b32_e32 v23, 0x80000000, v23
	v_lshl_add_u32 v2, v2, 23, v5
	v_or3_b32 v42, v23, v2, v22
.LBB4_9230:                             ;   in Loop: Header=BB4_8645 Depth=3
	s_or_b64 exec, exec, s[36:37]
.LBB4_9231:                             ;   in Loop: Header=BB4_8645 Depth=3
	s_or_b64 exec, exec, s[34:35]
.LBB4_9232:                             ;   in Loop: Header=BB4_8645 Depth=3
	s_or_b64 exec, exec, s[28:29]
	v_and_b32_e32 v2, 0xff, v40
	v_cmp_ne_u16_e32 vcc, 0, v2
	s_and_saveexec_b64 s[28:29], vcc
	s_cbranch_execz .LBB4_9238
; %bb.9233:                             ;   in Loop: Header=BB4_8645 Depth=3
	v_cmp_ne_u16_e32 vcc, s70, v2
	v_bfrev_b32_e32 v41, 1
	s_and_saveexec_b64 s[34:35], vcc
	s_cbranch_execz .LBB4_9237
; %bb.9234:                             ;   in Loop: Header=BB4_8645 Depth=3
	v_and_b32_e32 v36, 0x7f, v40
	v_cmp_ne_u32_e32 vcc, s68, v36
	v_mov_b32_e32 v41, 0x7f800001
	s_and_saveexec_b64 s[36:37], vcc
	s_cbranch_execz .LBB4_9236
; %bb.9235:                             ;   in Loop: Header=BB4_8645 Depth=3
	v_and_b32_e32 v22, 7, v2
	v_ffbh_u32_e32 v32, v22
	v_min_u32_e32 v32, 32, v32
	v_subrev_u32_e32 v33, 28, v32
	v_lshlrev_b64 v[43:44], v33, v[2:3]
	v_lshrrev_b32_e32 v23, 3, v36
	v_cmp_gt_u32_e32 vcc, 8, v36
	v_sub_u32_e32 v2, 29, v32
	v_and_b32_e32 v32, 7, v43
	v_cndmask_b32_e32 v2, v23, v2, vcc
	v_cndmask_b32_e32 v22, v22, v32, vcc
	v_lshlrev_b32_e32 v23, 24, v40
	v_lshlrev_b32_e32 v22, 20, v22
	v_and_b32_e32 v23, 0x80000000, v23
	v_lshl_add_u32 v2, v2, 23, v5
	v_or3_b32 v41, v23, v2, v22
.LBB4_9236:                             ;   in Loop: Header=BB4_8645 Depth=3
	s_or_b64 exec, exec, s[36:37]
.LBB4_9237:                             ;   in Loop: Header=BB4_8645 Depth=3
	s_or_b64 exec, exec, s[34:35]
.LBB4_9238:                             ;   in Loop: Header=BB4_8645 Depth=3
	s_or_b64 exec, exec, s[28:29]
	v_add_f32_e32 v41, v42, v41
	v_and_b32_e32 v2, 0x7f800000, v41
	v_cmp_ne_u64_e32 vcc, s[62:63], v[2:3]
                                        ; implicit-def: $vgpr36
	s_and_saveexec_b64 s[28:29], vcc
	s_xor_b64 s[34:35], exec, s[28:29]
	s_cbranch_execz .LBB4_9256
; %bb.9239:                             ;   in Loop: Header=BB4_8645 Depth=3
	v_and_b32_e32 v2, 0x7fffffff, v41
	v_cmp_gt_u64_e32 vcc, s[72:73], v[2:3]
	v_and_b32_sdwa v40, v41, s70 dst_sel:DWORD dst_unused:UNUSED_PAD src0_sel:BYTE_3 src1_sel:DWORD
                                        ; implicit-def: $vgpr36
	s_and_saveexec_b64 s[28:29], vcc
	s_xor_b64 s[36:37], exec, s[28:29]
	s_cbranch_execz .LBB4_9253
; %bb.9240:                             ;   in Loop: Header=BB4_8645 Depth=3
	v_cmp_ne_u32_e32 vcc, 0, v41
	v_mov_b32_e32 v36, 0
	s_and_saveexec_b64 s[38:39], vcc
	s_cbranch_execz .LBB4_9252
; %bb.9241:                             ;   in Loop: Header=BB4_8645 Depth=3
	v_bfe_u32 v36, v41, 23, 8
	v_cmp_gt_u32_e64 s[28:29], s71, v36
	v_sub_u32_e32 v22, 0x79, v36
	v_cmp_eq_u32_e32 vcc, 0, v36
	v_cndmask_b32_e64 v22, 0, v22, s[28:29]
	v_mov_b32_e32 v32, 0x78
	v_and_b32_e32 v2, 0x7fffff, v41
	v_cndmask_b32_e32 v41, v22, v32, vcc
	v_add_u32_e32 v22, 20, v41
	v_or_b32_e32 v23, 0x800000, v2
	v_lshlrev_b64 v[42:43], v22, -1
	v_add_u32_e32 v22, 19, v41
	v_cndmask_b32_e32 v2, v23, v2, vcc
	v_lshlrev_b64 v[44:45], v22, 1
	v_bfi_b32 v43, v43, 0, 0
	v_bfi_b32 v42, v42, 0, v2
	v_cmp_eq_u64_e64 s[28:29], v[42:43], v[44:45]
	v_lshrrev_b64 v[42:43], v41, v[2:3]
	v_mov_b32_e32 v44, v43
	v_mov_b32_e32 v43, v42
	s_and_saveexec_b64 s[48:49], s[28:29]
; %bb.9242:                             ;   in Loop: Header=BB4_8645 Depth=3
	v_bfe_u32 v2, v42, 20, 1
	v_add_co_u32_e64 v2, s[28:29], v42, v2
	v_add_co_u32_e64 v43, s[28:29], -1, v2
; %bb.9243:                             ;   in Loop: Header=BB4_8645 Depth=3
	s_or_b64 exec, exec, s[48:49]
	v_add_u32_e32 v2, 0xffffff81, v36
	v_mov_b32_e32 v22, 0xffffff82
	v_cndmask_b32_e32 v2, v2, v22, vcc
	v_lshrrev_b32_e32 v22, 23, v42
	v_add3_u32 v44, v41, v2, v22
	v_add_u32_e32 v36, 6, v44
	v_and_b32_e32 v2, 0xfffff, v43
	v_add_u32_e32 v2, v2, v42
	v_cmp_ne_u32_e32 vcc, 0, v36
                                        ; implicit-def: $vgpr42_vgpr43
                                        ; implicit-def: $vgpr41
	s_and_saveexec_b64 s[28:29], vcc
	s_xor_b64 s[28:29], exec, s[28:29]
; %bb.9244:                             ;   in Loop: Header=BB4_8645 Depth=3
	v_cmp_lt_u64_e32 vcc, s[74:75], v[2:3]
	v_add_u32_e32 v22, 7, v44
	v_cndmask_b32_e32 v41, v36, v22, vcc
	v_cndmask_b32_e64 v22, 0, 1, vcc
	v_lshrrev_b64 v[42:43], v22, v[2:3]
; %bb.9245:                             ;   in Loop: Header=BB4_8645 Depth=3
	s_andn2_saveexec_b64 s[28:29], s[28:29]
; %bb.9246:                             ;   in Loop: Header=BB4_8645 Depth=3
	v_mov_b32_e32 v43, v3
	v_mov_b32_e32 v42, v2
	v_bfe_u32 v41, v2, 23, 1
; %bb.9247:                             ;   in Loop: Header=BB4_8645 Depth=3
	s_or_b64 exec, exec, s[28:29]
	v_lshrrev_b64 v[42:43], 20, v[42:43]
	v_cmp_gt_i32_e32 vcc, 16, v41
	v_cndmask_b32_e32 v43, 0, v43, vcc
	v_cndmask_b32_e32 v42, 7, v42, vcc
	v_cmp_ne_u64_e32 vcc, 0, v[42:43]
	v_cmp_ne_u32_e64 s[28:29], 0, v41
	s_or_b64 s[28:29], s[28:29], vcc
                                        ; implicit-def: $vgpr36
	s_and_saveexec_b64 s[44:45], s[28:29]
	s_xor_b64 s[28:29], exec, s[44:45]
; %bb.9248:                             ;   in Loop: Header=BB4_8645 Depth=3
	v_min_i32_e32 v2, 15, v41
	v_lshl_or_b32 v2, v2, 3, v40
	v_and_or_b32 v36, v42, 7, v2
                                        ; implicit-def: $vgpr40
; %bb.9249:                             ;   in Loop: Header=BB4_8645 Depth=3
	s_andn2_saveexec_b64 s[28:29], s[28:29]
; %bb.9250:                             ;   in Loop: Header=BB4_8645 Depth=3
	v_mov_b32_e32 v36, v40
; %bb.9251:                             ;   in Loop: Header=BB4_8645 Depth=3
	s_or_b64 exec, exec, s[28:29]
.LBB4_9252:                             ;   in Loop: Header=BB4_8645 Depth=3
	s_or_b64 exec, exec, s[38:39]
                                        ; implicit-def: $vgpr40
.LBB4_9253:                             ;   in Loop: Header=BB4_8645 Depth=3
	s_andn2_saveexec_b64 s[28:29], s[36:37]
; %bb.9254:                             ;   in Loop: Header=BB4_8645 Depth=3
	v_or_b32_e32 v36, 0x7e, v40
; %bb.9255:                             ;   in Loop: Header=BB4_8645 Depth=3
	s_or_b64 exec, exec, s[28:29]
                                        ; implicit-def: $vgpr41
.LBB4_9256:                             ;   in Loop: Header=BB4_8645 Depth=3
	s_andn2_saveexec_b64 s[28:29], s[34:35]
; %bb.9257:                             ;   in Loop: Header=BB4_8645 Depth=3
	v_or_b32_sdwa v36, v41, s68 dst_sel:DWORD dst_unused:UNUSED_PAD src0_sel:BYTE_3 src1_sel:DWORD
; %bb.9258:                             ;   in Loop: Header=BB4_8645 Depth=3
	s_or_b64 exec, exec, s[28:29]
	v_and_b32_e32 v2, 0xff, v35
	v_cmp_ne_u16_e32 vcc, 0, v2
	v_mov_b32_e32 v40, 0
	v_mov_b32_e32 v41, 0
	s_and_saveexec_b64 s[28:29], vcc
	s_cbranch_execz .LBB4_9264
; %bb.9259:                             ;   in Loop: Header=BB4_8645 Depth=3
	v_cmp_ne_u16_e32 vcc, s70, v2
	v_bfrev_b32_e32 v41, 1
	s_and_saveexec_b64 s[34:35], vcc
	s_cbranch_execz .LBB4_9263
; %bb.9260:                             ;   in Loop: Header=BB4_8645 Depth=3
	v_and_b32_e32 v42, 0x7f, v35
	v_cmp_ne_u32_e32 vcc, s68, v42
	v_mov_b32_e32 v41, 0x7f800001
	s_and_saveexec_b64 s[36:37], vcc
	s_cbranch_execz .LBB4_9262
; %bb.9261:                             ;   in Loop: Header=BB4_8645 Depth=3
	v_and_b32_e32 v22, 7, v2
	v_ffbh_u32_e32 v32, v22
	v_min_u32_e32 v32, 32, v32
	v_subrev_u32_e32 v33, 28, v32
	v_lshrrev_b32_e32 v23, 3, v42
	v_cmp_gt_u32_e32 vcc, 8, v42
	v_lshlrev_b64 v[41:42], v33, v[2:3]
	v_sub_u32_e32 v2, 29, v32
	v_and_b32_e32 v32, 7, v41
	v_cndmask_b32_e32 v2, v23, v2, vcc
	v_cndmask_b32_e32 v22, v22, v32, vcc
	v_lshlrev_b32_e32 v23, 24, v35
	v_lshlrev_b32_e32 v22, 20, v22
	v_and_b32_e32 v23, 0x80000000, v23
	v_lshl_add_u32 v2, v2, 23, v5
	v_or3_b32 v41, v23, v2, v22
.LBB4_9262:                             ;   in Loop: Header=BB4_8645 Depth=3
	s_or_b64 exec, exec, s[36:37]
.LBB4_9263:                             ;   in Loop: Header=BB4_8645 Depth=3
	s_or_b64 exec, exec, s[34:35]
.LBB4_9264:                             ;   in Loop: Header=BB4_8645 Depth=3
	s_or_b64 exec, exec, s[28:29]
	v_and_b32_e32 v2, 0xff, v55
	v_cmp_ne_u16_e32 vcc, 0, v2
	s_and_saveexec_b64 s[28:29], vcc
	s_cbranch_execz .LBB4_9270
; %bb.9265:                             ;   in Loop: Header=BB4_8645 Depth=3
	v_cmp_ne_u16_e32 vcc, s70, v2
	v_bfrev_b32_e32 v40, 1
	s_and_saveexec_b64 s[34:35], vcc
	s_cbranch_execz .LBB4_9269
; %bb.9266:                             ;   in Loop: Header=BB4_8645 Depth=3
	v_and_b32_e32 v35, 0x7f, v55
	v_cmp_ne_u32_e32 vcc, s68, v35
	v_mov_b32_e32 v40, 0x7f800001
	s_and_saveexec_b64 s[36:37], vcc
	s_cbranch_execz .LBB4_9268
; %bb.9267:                             ;   in Loop: Header=BB4_8645 Depth=3
	v_and_b32_e32 v22, 7, v2
	v_ffbh_u32_e32 v32, v22
	v_min_u32_e32 v32, 32, v32
	v_subrev_u32_e32 v33, 28, v32
	v_lshlrev_b64 v[42:43], v33, v[2:3]
	v_lshrrev_b32_e32 v23, 3, v35
	v_cmp_gt_u32_e32 vcc, 8, v35
	v_sub_u32_e32 v2, 29, v32
	v_and_b32_e32 v32, 7, v42
	v_cndmask_b32_e32 v2, v23, v2, vcc
	v_cndmask_b32_e32 v22, v22, v32, vcc
	v_lshlrev_b32_e32 v23, 24, v55
	v_lshlrev_b32_e32 v22, 20, v22
	v_and_b32_e32 v23, 0x80000000, v23
	v_lshl_add_u32 v2, v2, 23, v5
	v_or3_b32 v40, v23, v2, v22
.LBB4_9268:                             ;   in Loop: Header=BB4_8645 Depth=3
	s_or_b64 exec, exec, s[36:37]
.LBB4_9269:                             ;   in Loop: Header=BB4_8645 Depth=3
	s_or_b64 exec, exec, s[34:35]
.LBB4_9270:                             ;   in Loop: Header=BB4_8645 Depth=3
	s_or_b64 exec, exec, s[28:29]
	v_add_f32_e32 v40, v41, v40
	v_and_b32_e32 v2, 0x7f800000, v40
	v_cmp_ne_u64_e32 vcc, s[62:63], v[2:3]
                                        ; implicit-def: $vgpr35
	s_and_saveexec_b64 s[28:29], vcc
	s_xor_b64 s[34:35], exec, s[28:29]
	s_cbranch_execz .LBB4_9288
; %bb.9271:                             ;   in Loop: Header=BB4_8645 Depth=3
	v_and_b32_e32 v2, 0x7fffffff, v40
	v_cmp_gt_u64_e32 vcc, s[72:73], v[2:3]
	v_and_b32_sdwa v55, v40, s70 dst_sel:DWORD dst_unused:UNUSED_PAD src0_sel:BYTE_3 src1_sel:DWORD
                                        ; implicit-def: $vgpr35
	s_and_saveexec_b64 s[28:29], vcc
	s_xor_b64 s[36:37], exec, s[28:29]
	s_cbranch_execz .LBB4_9285
; %bb.9272:                             ;   in Loop: Header=BB4_8645 Depth=3
	v_cmp_ne_u32_e32 vcc, 0, v40
	v_mov_b32_e32 v35, 0
	s_and_saveexec_b64 s[38:39], vcc
	s_cbranch_execz .LBB4_9284
; %bb.9273:                             ;   in Loop: Header=BB4_8645 Depth=3
	v_bfe_u32 v35, v40, 23, 8
	v_cmp_gt_u32_e64 s[28:29], s71, v35
	v_sub_u32_e32 v22, 0x79, v35
	v_cmp_eq_u32_e32 vcc, 0, v35
	v_cndmask_b32_e64 v22, 0, v22, s[28:29]
	v_mov_b32_e32 v32, 0x78
	v_and_b32_e32 v2, 0x7fffff, v40
	v_cndmask_b32_e32 v40, v22, v32, vcc
	v_add_u32_e32 v22, 20, v40
	v_or_b32_e32 v23, 0x800000, v2
	v_lshlrev_b64 v[41:42], v22, -1
	v_add_u32_e32 v22, 19, v40
	v_cndmask_b32_e32 v2, v23, v2, vcc
	v_lshlrev_b64 v[43:44], v22, 1
	v_bfi_b32 v42, v42, 0, 0
	v_bfi_b32 v41, v41, 0, v2
	v_cmp_eq_u64_e64 s[28:29], v[41:42], v[43:44]
	v_lshrrev_b64 v[42:43], v40, v[2:3]
	v_mov_b32_e32 v44, v43
	v_mov_b32_e32 v43, v42
	s_and_saveexec_b64 s[48:49], s[28:29]
; %bb.9274:                             ;   in Loop: Header=BB4_8645 Depth=3
	v_bfe_u32 v2, v42, 20, 1
	v_add_co_u32_e64 v2, s[28:29], v42, v2
	v_add_co_u32_e64 v43, s[28:29], -1, v2
; %bb.9275:                             ;   in Loop: Header=BB4_8645 Depth=3
	s_or_b64 exec, exec, s[48:49]
	v_add_u32_e32 v2, 0xffffff81, v35
	v_mov_b32_e32 v22, 0xffffff82
	v_cndmask_b32_e32 v2, v2, v22, vcc
	v_lshrrev_b32_e32 v22, 23, v42
	v_add3_u32 v41, v40, v2, v22
	v_add_u32_e32 v35, 6, v41
	v_and_b32_e32 v2, 0xfffff, v43
	v_add_u32_e32 v2, v2, v42
	v_cmp_ne_u32_e32 vcc, 0, v35
                                        ; implicit-def: $vgpr42_vgpr43
                                        ; implicit-def: $vgpr40
	s_and_saveexec_b64 s[28:29], vcc
	s_xor_b64 s[28:29], exec, s[28:29]
; %bb.9276:                             ;   in Loop: Header=BB4_8645 Depth=3
	v_cmp_lt_u64_e32 vcc, s[74:75], v[2:3]
	v_add_u32_e32 v22, 7, v41
	v_cndmask_b32_e32 v40, v35, v22, vcc
	v_cndmask_b32_e64 v22, 0, 1, vcc
	v_lshrrev_b64 v[42:43], v22, v[2:3]
; %bb.9277:                             ;   in Loop: Header=BB4_8645 Depth=3
	s_andn2_saveexec_b64 s[28:29], s[28:29]
; %bb.9278:                             ;   in Loop: Header=BB4_8645 Depth=3
	v_mov_b32_e32 v43, v3
	v_mov_b32_e32 v42, v2
	v_bfe_u32 v40, v2, 23, 1
; %bb.9279:                             ;   in Loop: Header=BB4_8645 Depth=3
	s_or_b64 exec, exec, s[28:29]
	v_lshrrev_b64 v[41:42], 20, v[42:43]
	v_cmp_gt_i32_e32 vcc, 16, v40
	v_cndmask_b32_e32 v43, 0, v42, vcc
	v_cndmask_b32_e32 v42, 7, v41, vcc
	v_cmp_ne_u64_e32 vcc, 0, v[42:43]
	v_cmp_ne_u32_e64 s[28:29], 0, v40
	s_or_b64 s[28:29], s[28:29], vcc
                                        ; implicit-def: $vgpr35
	s_and_saveexec_b64 s[44:45], s[28:29]
	s_xor_b64 s[28:29], exec, s[44:45]
; %bb.9280:                             ;   in Loop: Header=BB4_8645 Depth=3
	v_min_i32_e32 v2, 15, v40
	v_lshl_or_b32 v2, v2, 3, v55
	v_and_or_b32 v35, v42, 7, v2
                                        ; implicit-def: $vgpr55
; %bb.9281:                             ;   in Loop: Header=BB4_8645 Depth=3
	s_andn2_saveexec_b64 s[28:29], s[28:29]
; %bb.9282:                             ;   in Loop: Header=BB4_8645 Depth=3
	v_mov_b32_e32 v35, v55
; %bb.9283:                             ;   in Loop: Header=BB4_8645 Depth=3
	s_or_b64 exec, exec, s[28:29]
.LBB4_9284:                             ;   in Loop: Header=BB4_8645 Depth=3
	s_or_b64 exec, exec, s[38:39]
                                        ; implicit-def: $vgpr55
.LBB4_9285:                             ;   in Loop: Header=BB4_8645 Depth=3
	s_andn2_saveexec_b64 s[28:29], s[36:37]
; %bb.9286:                             ;   in Loop: Header=BB4_8645 Depth=3
	v_or_b32_e32 v35, 0x7e, v55
; %bb.9287:                             ;   in Loop: Header=BB4_8645 Depth=3
	s_or_b64 exec, exec, s[28:29]
                                        ; implicit-def: $vgpr40
.LBB4_9288:                             ;   in Loop: Header=BB4_8645 Depth=3
	s_andn2_saveexec_b64 s[28:29], s[34:35]
; %bb.9289:                             ;   in Loop: Header=BB4_8645 Depth=3
	v_or_b32_sdwa v35, v40, s68 dst_sel:DWORD dst_unused:UNUSED_PAD src0_sel:BYTE_3 src1_sel:DWORD
; %bb.9290:                             ;   in Loop: Header=BB4_8645 Depth=3
	s_or_b64 exec, exec, s[28:29]
	v_and_b32_e32 v2, 0xff, v34
	v_cmp_ne_u16_e32 vcc, 0, v2
	v_mov_b32_e32 v55, 0
	v_mov_b32_e32 v40, 0
	s_and_saveexec_b64 s[28:29], vcc
	s_cbranch_execz .LBB4_9296
; %bb.9291:                             ;   in Loop: Header=BB4_8645 Depth=3
	v_cmp_ne_u16_e32 vcc, s70, v2
	v_bfrev_b32_e32 v40, 1
	s_and_saveexec_b64 s[34:35], vcc
	s_cbranch_execz .LBB4_9295
; %bb.9292:                             ;   in Loop: Header=BB4_8645 Depth=3
	v_and_b32_e32 v41, 0x7f, v34
	v_cmp_ne_u32_e32 vcc, s68, v41
	v_mov_b32_e32 v40, 0x7f800001
	s_and_saveexec_b64 s[36:37], vcc
	s_cbranch_execz .LBB4_9294
; %bb.9293:                             ;   in Loop: Header=BB4_8645 Depth=3
	v_and_b32_e32 v22, 7, v2
	v_ffbh_u32_e32 v32, v22
	v_min_u32_e32 v32, 32, v32
	v_subrev_u32_e32 v33, 28, v32
	v_lshrrev_b32_e32 v23, 3, v41
	v_cmp_gt_u32_e32 vcc, 8, v41
	v_lshlrev_b64 v[40:41], v33, v[2:3]
	v_sub_u32_e32 v2, 29, v32
	v_and_b32_e32 v32, 7, v40
	v_cndmask_b32_e32 v2, v23, v2, vcc
	v_cndmask_b32_e32 v22, v22, v32, vcc
	v_lshlrev_b32_e32 v23, 24, v34
	v_lshlrev_b32_e32 v22, 20, v22
	v_and_b32_e32 v23, 0x80000000, v23
	v_lshl_add_u32 v2, v2, 23, v5
	v_or3_b32 v40, v23, v2, v22
.LBB4_9294:                             ;   in Loop: Header=BB4_8645 Depth=3
	s_or_b64 exec, exec, s[36:37]
.LBB4_9295:                             ;   in Loop: Header=BB4_8645 Depth=3
	s_or_b64 exec, exec, s[34:35]
.LBB4_9296:                             ;   in Loop: Header=BB4_8645 Depth=3
	s_or_b64 exec, exec, s[28:29]
	v_and_b32_e32 v2, 0xff, v54
	v_cmp_ne_u16_e32 vcc, 0, v2
	s_and_saveexec_b64 s[28:29], vcc
	s_cbranch_execz .LBB4_9302
; %bb.9297:                             ;   in Loop: Header=BB4_8645 Depth=3
	v_cmp_ne_u16_e32 vcc, s70, v2
	v_bfrev_b32_e32 v55, 1
	s_and_saveexec_b64 s[34:35], vcc
	s_cbranch_execz .LBB4_9301
; %bb.9298:                             ;   in Loop: Header=BB4_8645 Depth=3
	v_and_b32_e32 v34, 0x7f, v54
	v_cmp_ne_u32_e32 vcc, s68, v34
	v_mov_b32_e32 v55, 0x7f800001
	s_and_saveexec_b64 s[36:37], vcc
	s_cbranch_execz .LBB4_9300
; %bb.9299:                             ;   in Loop: Header=BB4_8645 Depth=3
	v_and_b32_e32 v22, 7, v2
	v_ffbh_u32_e32 v32, v22
	v_min_u32_e32 v32, 32, v32
	v_subrev_u32_e32 v33, 28, v32
	v_lshlrev_b64 v[41:42], v33, v[2:3]
	v_lshrrev_b32_e32 v23, 3, v34
	v_cmp_gt_u32_e32 vcc, 8, v34
	v_sub_u32_e32 v2, 29, v32
	v_and_b32_e32 v32, 7, v41
	v_cndmask_b32_e32 v2, v23, v2, vcc
	v_cndmask_b32_e32 v22, v22, v32, vcc
	v_lshlrev_b32_e32 v23, 24, v54
	v_lshlrev_b32_e32 v22, 20, v22
	v_and_b32_e32 v23, 0x80000000, v23
	v_lshl_add_u32 v2, v2, 23, v5
	v_or3_b32 v55, v23, v2, v22
.LBB4_9300:                             ;   in Loop: Header=BB4_8645 Depth=3
	s_or_b64 exec, exec, s[36:37]
.LBB4_9301:                             ;   in Loop: Header=BB4_8645 Depth=3
	s_or_b64 exec, exec, s[34:35]
.LBB4_9302:                             ;   in Loop: Header=BB4_8645 Depth=3
	s_or_b64 exec, exec, s[28:29]
	v_add_f32_e32 v55, v40, v55
	v_and_b32_e32 v2, 0x7f800000, v55
	v_cmp_ne_u64_e32 vcc, s[62:63], v[2:3]
                                        ; implicit-def: $vgpr34
	s_and_saveexec_b64 s[28:29], vcc
	s_xor_b64 s[34:35], exec, s[28:29]
	s_cbranch_execz .LBB4_9320
; %bb.9303:                             ;   in Loop: Header=BB4_8645 Depth=3
	v_and_b32_e32 v2, 0x7fffffff, v55
	v_cmp_gt_u64_e32 vcc, s[72:73], v[2:3]
	v_and_b32_sdwa v54, v55, s70 dst_sel:DWORD dst_unused:UNUSED_PAD src0_sel:BYTE_3 src1_sel:DWORD
                                        ; implicit-def: $vgpr34
	s_and_saveexec_b64 s[28:29], vcc
	s_xor_b64 s[36:37], exec, s[28:29]
	s_cbranch_execz .LBB4_9317
; %bb.9304:                             ;   in Loop: Header=BB4_8645 Depth=3
	v_cmp_ne_u32_e32 vcc, 0, v55
	v_mov_b32_e32 v34, 0
	s_and_saveexec_b64 s[38:39], vcc
	s_cbranch_execz .LBB4_9316
; %bb.9305:                             ;   in Loop: Header=BB4_8645 Depth=3
	v_bfe_u32 v34, v55, 23, 8
	v_cmp_gt_u32_e64 s[28:29], s71, v34
	v_sub_u32_e32 v22, 0x79, v34
	v_cmp_eq_u32_e32 vcc, 0, v34
	v_cndmask_b32_e64 v22, 0, v22, s[28:29]
	v_mov_b32_e32 v32, 0x78
	v_and_b32_e32 v2, 0x7fffff, v55
	v_cndmask_b32_e32 v55, v22, v32, vcc
	v_add_u32_e32 v22, 20, v55
	v_or_b32_e32 v23, 0x800000, v2
	v_lshlrev_b64 v[40:41], v22, -1
	v_add_u32_e32 v22, 19, v55
	v_cndmask_b32_e32 v2, v23, v2, vcc
	v_lshlrev_b64 v[42:43], v22, 1
	v_bfi_b32 v41, v41, 0, 0
	v_bfi_b32 v40, v40, 0, v2
	v_cmp_eq_u64_e64 s[28:29], v[40:41], v[42:43]
	v_lshrrev_b64 v[42:43], v55, v[2:3]
	v_mov_b32_e32 v44, v43
	v_mov_b32_e32 v43, v42
	s_and_saveexec_b64 s[48:49], s[28:29]
; %bb.9306:                             ;   in Loop: Header=BB4_8645 Depth=3
	v_bfe_u32 v2, v42, 20, 1
	v_add_co_u32_e64 v2, s[28:29], v42, v2
	v_add_co_u32_e64 v43, s[28:29], -1, v2
; %bb.9307:                             ;   in Loop: Header=BB4_8645 Depth=3
	s_or_b64 exec, exec, s[48:49]
	v_add_u32_e32 v2, 0xffffff81, v34
	v_mov_b32_e32 v22, 0xffffff82
	v_cndmask_b32_e32 v2, v2, v22, vcc
	v_lshrrev_b32_e32 v22, 23, v42
	v_add3_u32 v40, v55, v2, v22
	v_add_u32_e32 v34, 6, v40
	v_and_b32_e32 v2, 0xfffff, v43
	v_add_u32_e32 v2, v2, v42
	v_cmp_ne_u32_e32 vcc, 0, v34
                                        ; implicit-def: $vgpr42_vgpr43
                                        ; implicit-def: $vgpr55
	s_and_saveexec_b64 s[28:29], vcc
	s_xor_b64 s[28:29], exec, s[28:29]
; %bb.9308:                             ;   in Loop: Header=BB4_8645 Depth=3
	v_cmp_lt_u64_e32 vcc, s[74:75], v[2:3]
	v_add_u32_e32 v22, 7, v40
	v_cndmask_b32_e32 v55, v34, v22, vcc
	v_cndmask_b32_e64 v22, 0, 1, vcc
	v_lshrrev_b64 v[42:43], v22, v[2:3]
; %bb.9309:                             ;   in Loop: Header=BB4_8645 Depth=3
	s_andn2_saveexec_b64 s[28:29], s[28:29]
; %bb.9310:                             ;   in Loop: Header=BB4_8645 Depth=3
	v_mov_b32_e32 v43, v3
	v_mov_b32_e32 v42, v2
	v_bfe_u32 v55, v2, 23, 1
; %bb.9311:                             ;   in Loop: Header=BB4_8645 Depth=3
	s_or_b64 exec, exec, s[28:29]
	v_lshrrev_b64 v[40:41], 20, v[42:43]
	v_cmp_gt_i32_e32 vcc, 16, v55
	v_cndmask_b32_e32 v43, 0, v41, vcc
	v_cndmask_b32_e32 v42, 7, v40, vcc
	v_cmp_ne_u64_e32 vcc, 0, v[42:43]
	v_cmp_ne_u32_e64 s[28:29], 0, v55
	s_or_b64 s[28:29], s[28:29], vcc
                                        ; implicit-def: $vgpr34
	s_and_saveexec_b64 s[44:45], s[28:29]
	s_xor_b64 s[28:29], exec, s[44:45]
; %bb.9312:                             ;   in Loop: Header=BB4_8645 Depth=3
	v_min_i32_e32 v2, 15, v55
	v_lshl_or_b32 v2, v2, 3, v54
	v_and_or_b32 v34, v42, 7, v2
                                        ; implicit-def: $vgpr54
; %bb.9313:                             ;   in Loop: Header=BB4_8645 Depth=3
	s_andn2_saveexec_b64 s[28:29], s[28:29]
; %bb.9314:                             ;   in Loop: Header=BB4_8645 Depth=3
	v_mov_b32_e32 v34, v54
; %bb.9315:                             ;   in Loop: Header=BB4_8645 Depth=3
	s_or_b64 exec, exec, s[28:29]
.LBB4_9316:                             ;   in Loop: Header=BB4_8645 Depth=3
	s_or_b64 exec, exec, s[38:39]
                                        ; implicit-def: $vgpr54
.LBB4_9317:                             ;   in Loop: Header=BB4_8645 Depth=3
	s_andn2_saveexec_b64 s[28:29], s[36:37]
; %bb.9318:                             ;   in Loop: Header=BB4_8645 Depth=3
	v_or_b32_e32 v34, 0x7e, v54
; %bb.9319:                             ;   in Loop: Header=BB4_8645 Depth=3
	s_or_b64 exec, exec, s[28:29]
                                        ; implicit-def: $vgpr55
.LBB4_9320:                             ;   in Loop: Header=BB4_8645 Depth=3
	s_andn2_saveexec_b64 s[28:29], s[34:35]
; %bb.9321:                             ;   in Loop: Header=BB4_8645 Depth=3
	v_or_b32_sdwa v34, v55, s68 dst_sel:DWORD dst_unused:UNUSED_PAD src0_sel:BYTE_3 src1_sel:DWORD
; %bb.9322:                             ;   in Loop: Header=BB4_8645 Depth=3
	s_or_b64 exec, exec, s[28:29]
	v_and_b32_e32 v2, 0xff, v31
	v_cmp_ne_u16_e32 vcc, 0, v2
	v_mov_b32_e32 v54, 0
	v_mov_b32_e32 v55, 0
	s_and_saveexec_b64 s[28:29], vcc
	s_cbranch_execz .LBB4_9328
; %bb.9323:                             ;   in Loop: Header=BB4_8645 Depth=3
	v_cmp_ne_u16_e32 vcc, s70, v2
	v_bfrev_b32_e32 v55, 1
	s_and_saveexec_b64 s[34:35], vcc
	s_cbranch_execz .LBB4_9327
; %bb.9324:                             ;   in Loop: Header=BB4_8645 Depth=3
	v_and_b32_e32 v40, 0x7f, v31
	v_cmp_ne_u32_e32 vcc, s68, v40
	v_mov_b32_e32 v55, 0x7f800001
	s_and_saveexec_b64 s[36:37], vcc
	s_cbranch_execz .LBB4_9326
; %bb.9325:                             ;   in Loop: Header=BB4_8645 Depth=3
	v_and_b32_e32 v22, 7, v2
	v_ffbh_u32_e32 v32, v22
	v_min_u32_e32 v32, 32, v32
	v_subrev_u32_e32 v33, 28, v32
	v_lshrrev_b32_e32 v23, 3, v40
	v_cmp_gt_u32_e32 vcc, 8, v40
	v_lshlrev_b64 v[40:41], v33, v[2:3]
	v_sub_u32_e32 v2, 29, v32
	v_and_b32_e32 v32, 7, v40
	v_cndmask_b32_e32 v2, v23, v2, vcc
	v_cndmask_b32_e32 v22, v22, v32, vcc
	v_lshlrev_b32_e32 v23, 24, v31
	v_lshlrev_b32_e32 v22, 20, v22
	v_and_b32_e32 v23, 0x80000000, v23
	v_lshl_add_u32 v2, v2, 23, v5
	v_or3_b32 v55, v23, v2, v22
.LBB4_9326:                             ;   in Loop: Header=BB4_8645 Depth=3
	s_or_b64 exec, exec, s[36:37]
.LBB4_9327:                             ;   in Loop: Header=BB4_8645 Depth=3
	s_or_b64 exec, exec, s[34:35]
.LBB4_9328:                             ;   in Loop: Header=BB4_8645 Depth=3
	s_or_b64 exec, exec, s[28:29]
	v_and_b32_e32 v2, 0xff, v53
	v_cmp_ne_u16_e32 vcc, 0, v2
	s_and_saveexec_b64 s[28:29], vcc
	s_cbranch_execz .LBB4_9334
; %bb.9329:                             ;   in Loop: Header=BB4_8645 Depth=3
	v_cmp_ne_u16_e32 vcc, s70, v2
	v_bfrev_b32_e32 v54, 1
	s_and_saveexec_b64 s[34:35], vcc
	s_cbranch_execz .LBB4_9333
; %bb.9330:                             ;   in Loop: Header=BB4_8645 Depth=3
	v_and_b32_e32 v31, 0x7f, v53
	v_cmp_ne_u32_e32 vcc, s68, v31
	v_mov_b32_e32 v54, 0x7f800001
	s_and_saveexec_b64 s[36:37], vcc
	s_cbranch_execz .LBB4_9332
; %bb.9331:                             ;   in Loop: Header=BB4_8645 Depth=3
	v_and_b32_e32 v22, 7, v2
	v_lshrrev_b32_e32 v23, 3, v31
	v_cmp_gt_u32_e32 vcc, 8, v31
	v_ffbh_u32_e32 v31, v22
	v_min_u32_e32 v31, 32, v31
	v_subrev_u32_e32 v32, 28, v31
	v_lshlrev_b64 v[40:41], v32, v[2:3]
	v_sub_u32_e32 v2, 29, v31
	v_and_b32_e32 v31, 7, v40
	v_cndmask_b32_e32 v2, v23, v2, vcc
	v_cndmask_b32_e32 v22, v22, v31, vcc
	v_lshlrev_b32_e32 v23, 24, v53
	v_lshlrev_b32_e32 v22, 20, v22
	v_and_b32_e32 v23, 0x80000000, v23
	v_lshl_add_u32 v2, v2, 23, v5
	v_or3_b32 v54, v23, v2, v22
.LBB4_9332:                             ;   in Loop: Header=BB4_8645 Depth=3
	s_or_b64 exec, exec, s[36:37]
.LBB4_9333:                             ;   in Loop: Header=BB4_8645 Depth=3
	s_or_b64 exec, exec, s[34:35]
.LBB4_9334:                             ;   in Loop: Header=BB4_8645 Depth=3
	s_or_b64 exec, exec, s[28:29]
	v_add_f32_e32 v54, v55, v54
	v_and_b32_e32 v2, 0x7f800000, v54
	v_cmp_ne_u64_e32 vcc, s[62:63], v[2:3]
                                        ; implicit-def: $vgpr31
	s_and_saveexec_b64 s[28:29], vcc
	s_xor_b64 s[34:35], exec, s[28:29]
	s_cbranch_execz .LBB4_9352
; %bb.9335:                             ;   in Loop: Header=BB4_8645 Depth=3
	v_and_b32_e32 v2, 0x7fffffff, v54
	v_cmp_gt_u64_e32 vcc, s[72:73], v[2:3]
	v_and_b32_sdwa v53, v54, s70 dst_sel:DWORD dst_unused:UNUSED_PAD src0_sel:BYTE_3 src1_sel:DWORD
                                        ; implicit-def: $vgpr31
	s_and_saveexec_b64 s[28:29], vcc
	s_xor_b64 s[36:37], exec, s[28:29]
	s_cbranch_execz .LBB4_9349
; %bb.9336:                             ;   in Loop: Header=BB4_8645 Depth=3
	v_cmp_ne_u32_e32 vcc, 0, v54
	v_mov_b32_e32 v31, 0
	s_and_saveexec_b64 s[38:39], vcc
	s_cbranch_execz .LBB4_9348
; %bb.9337:                             ;   in Loop: Header=BB4_8645 Depth=3
	v_bfe_u32 v31, v54, 23, 8
	v_cmp_gt_u32_e64 s[28:29], s71, v31
	v_sub_u32_e32 v22, 0x79, v31
	v_cmp_eq_u32_e32 vcc, 0, v31
	v_cndmask_b32_e64 v22, 0, v22, s[28:29]
	v_mov_b32_e32 v32, 0x78
	v_and_b32_e32 v2, 0x7fffff, v54
	v_cndmask_b32_e32 v54, v22, v32, vcc
	v_add_u32_e32 v22, 20, v54
	v_or_b32_e32 v23, 0x800000, v2
	v_lshlrev_b64 v[40:41], v22, -1
	v_add_u32_e32 v22, 19, v54
	v_cndmask_b32_e32 v2, v23, v2, vcc
	v_lshlrev_b64 v[42:43], v22, 1
	v_bfi_b32 v41, v41, 0, 0
	v_bfi_b32 v40, v40, 0, v2
	v_cmp_eq_u64_e64 s[28:29], v[40:41], v[42:43]
	v_lshrrev_b64 v[42:43], v54, v[2:3]
	v_mov_b32_e32 v44, v43
	v_mov_b32_e32 v43, v42
	s_and_saveexec_b64 s[48:49], s[28:29]
; %bb.9338:                             ;   in Loop: Header=BB4_8645 Depth=3
	v_bfe_u32 v2, v42, 20, 1
	v_add_co_u32_e64 v2, s[28:29], v42, v2
	v_add_co_u32_e64 v43, s[28:29], -1, v2
; %bb.9339:                             ;   in Loop: Header=BB4_8645 Depth=3
	s_or_b64 exec, exec, s[48:49]
	v_add_u32_e32 v2, 0xffffff81, v31
	v_mov_b32_e32 v22, 0xffffff82
	v_cndmask_b32_e32 v2, v2, v22, vcc
	v_lshrrev_b32_e32 v22, 23, v42
	v_add3_u32 v55, v54, v2, v22
	v_add_u32_e32 v31, 6, v55
	v_and_b32_e32 v2, 0xfffff, v43
	v_add_u32_e32 v2, v2, v42
	v_cmp_ne_u32_e32 vcc, 0, v31
                                        ; implicit-def: $vgpr42_vgpr43
                                        ; implicit-def: $vgpr54
	s_and_saveexec_b64 s[28:29], vcc
	s_xor_b64 s[28:29], exec, s[28:29]
; %bb.9340:                             ;   in Loop: Header=BB4_8645 Depth=3
	v_cmp_lt_u64_e32 vcc, s[74:75], v[2:3]
	v_add_u32_e32 v22, 7, v55
	v_cndmask_b32_e32 v54, v31, v22, vcc
	v_cndmask_b32_e64 v22, 0, 1, vcc
	v_lshrrev_b64 v[42:43], v22, v[2:3]
; %bb.9341:                             ;   in Loop: Header=BB4_8645 Depth=3
	s_andn2_saveexec_b64 s[28:29], s[28:29]
; %bb.9342:                             ;   in Loop: Header=BB4_8645 Depth=3
	v_mov_b32_e32 v43, v3
	v_mov_b32_e32 v42, v2
	v_bfe_u32 v54, v2, 23, 1
; %bb.9343:                             ;   in Loop: Header=BB4_8645 Depth=3
	s_or_b64 exec, exec, s[28:29]
	v_lshrrev_b64 v[40:41], 20, v[42:43]
	v_cmp_gt_i32_e32 vcc, 16, v54
	v_cndmask_b32_e32 v43, 0, v41, vcc
	v_cndmask_b32_e32 v42, 7, v40, vcc
	v_cmp_ne_u64_e32 vcc, 0, v[42:43]
	v_cmp_ne_u32_e64 s[28:29], 0, v54
	s_or_b64 s[28:29], s[28:29], vcc
                                        ; implicit-def: $vgpr31
	s_and_saveexec_b64 s[44:45], s[28:29]
	s_xor_b64 s[28:29], exec, s[44:45]
; %bb.9344:                             ;   in Loop: Header=BB4_8645 Depth=3
	v_min_i32_e32 v2, 15, v54
	v_lshl_or_b32 v2, v2, 3, v53
	v_and_or_b32 v31, v42, 7, v2
                                        ; implicit-def: $vgpr53
; %bb.9345:                             ;   in Loop: Header=BB4_8645 Depth=3
	s_andn2_saveexec_b64 s[28:29], s[28:29]
; %bb.9346:                             ;   in Loop: Header=BB4_8645 Depth=3
	v_mov_b32_e32 v31, v53
; %bb.9347:                             ;   in Loop: Header=BB4_8645 Depth=3
	s_or_b64 exec, exec, s[28:29]
.LBB4_9348:                             ;   in Loop: Header=BB4_8645 Depth=3
	s_or_b64 exec, exec, s[38:39]
                                        ; implicit-def: $vgpr53
.LBB4_9349:                             ;   in Loop: Header=BB4_8645 Depth=3
	s_andn2_saveexec_b64 s[28:29], s[36:37]
; %bb.9350:                             ;   in Loop: Header=BB4_8645 Depth=3
	v_or_b32_e32 v31, 0x7e, v53
; %bb.9351:                             ;   in Loop: Header=BB4_8645 Depth=3
	s_or_b64 exec, exec, s[28:29]
                                        ; implicit-def: $vgpr54
.LBB4_9352:                             ;   in Loop: Header=BB4_8645 Depth=3
	s_andn2_saveexec_b64 s[28:29], s[34:35]
; %bb.9353:                             ;   in Loop: Header=BB4_8645 Depth=3
	v_or_b32_sdwa v31, v54, s68 dst_sel:DWORD dst_unused:UNUSED_PAD src0_sel:BYTE_3 src1_sel:DWORD
; %bb.9354:                             ;   in Loop: Header=BB4_8645 Depth=3
	s_or_b64 exec, exec, s[28:29]
	v_and_b32_e32 v2, 0xff, v28
	v_cmp_ne_u16_e32 vcc, 0, v2
	v_mov_b32_e32 v53, 0
	v_mov_b32_e32 v54, 0
	s_and_saveexec_b64 s[28:29], vcc
	s_cbranch_execz .LBB4_9360
; %bb.9355:                             ;   in Loop: Header=BB4_8645 Depth=3
	v_cmp_ne_u16_e32 vcc, s70, v2
	v_bfrev_b32_e32 v54, 1
	s_and_saveexec_b64 s[34:35], vcc
	s_cbranch_execz .LBB4_9359
; %bb.9356:                             ;   in Loop: Header=BB4_8645 Depth=3
	v_and_b32_e32 v55, 0x7f, v28
	v_cmp_ne_u32_e32 vcc, s68, v55
	v_mov_b32_e32 v54, 0x7f800001
	s_and_saveexec_b64 s[36:37], vcc
	s_cbranch_execz .LBB4_9358
; %bb.9357:                             ;   in Loop: Header=BB4_8645 Depth=3
	v_and_b32_e32 v22, 7, v2
	v_ffbh_u32_e32 v32, v22
	v_min_u32_e32 v32, 32, v32
	v_subrev_u32_e32 v33, 28, v32
	v_lshrrev_b32_e32 v23, 3, v55
	v_cmp_gt_u32_e32 vcc, 8, v55
	v_lshlrev_b64 v[54:55], v33, v[2:3]
	v_sub_u32_e32 v2, 29, v32
	v_and_b32_e32 v32, 7, v54
	v_cndmask_b32_e32 v2, v23, v2, vcc
	v_cndmask_b32_e32 v22, v22, v32, vcc
	v_lshlrev_b32_e32 v23, 24, v28
	v_lshlrev_b32_e32 v22, 20, v22
	v_and_b32_e32 v23, 0x80000000, v23
	v_lshl_add_u32 v2, v2, 23, v5
	v_or3_b32 v54, v23, v2, v22
.LBB4_9358:                             ;   in Loop: Header=BB4_8645 Depth=3
	s_or_b64 exec, exec, s[36:37]
.LBB4_9359:                             ;   in Loop: Header=BB4_8645 Depth=3
	s_or_b64 exec, exec, s[34:35]
.LBB4_9360:                             ;   in Loop: Header=BB4_8645 Depth=3
	s_or_b64 exec, exec, s[28:29]
	v_and_b32_e32 v2, 0xff, v52
	v_cmp_ne_u16_e32 vcc, 0, v2
	s_and_saveexec_b64 s[28:29], vcc
	s_cbranch_execz .LBB4_9366
; %bb.9361:                             ;   in Loop: Header=BB4_8645 Depth=3
	v_cmp_ne_u16_e32 vcc, s70, v2
	v_bfrev_b32_e32 v53, 1
	s_and_saveexec_b64 s[34:35], vcc
	s_cbranch_execz .LBB4_9365
; %bb.9362:                             ;   in Loop: Header=BB4_8645 Depth=3
	v_and_b32_e32 v28, 0x7f, v52
	v_cmp_ne_u32_e32 vcc, s68, v28
	v_mov_b32_e32 v53, 0x7f800001
	s_and_saveexec_b64 s[36:37], vcc
	s_cbranch_execz .LBB4_9364
; %bb.9363:                             ;   in Loop: Header=BB4_8645 Depth=3
	v_and_b32_e32 v22, 7, v2
	v_lshrrev_b32_e32 v23, 3, v28
	v_cmp_gt_u32_e32 vcc, 8, v28
	v_ffbh_u32_e32 v28, v22
	v_min_u32_e32 v28, 32, v28
	v_subrev_u32_e32 v32, 28, v28
	v_lshlrev_b64 v[40:41], v32, v[2:3]
	v_sub_u32_e32 v2, 29, v28
	v_and_b32_e32 v28, 7, v40
	v_cndmask_b32_e32 v2, v23, v2, vcc
	v_cndmask_b32_e32 v22, v22, v28, vcc
	v_lshlrev_b32_e32 v23, 24, v52
	v_lshlrev_b32_e32 v22, 20, v22
	v_and_b32_e32 v23, 0x80000000, v23
	v_lshl_add_u32 v2, v2, 23, v5
	v_or3_b32 v53, v23, v2, v22
.LBB4_9364:                             ;   in Loop: Header=BB4_8645 Depth=3
	s_or_b64 exec, exec, s[36:37]
.LBB4_9365:                             ;   in Loop: Header=BB4_8645 Depth=3
	s_or_b64 exec, exec, s[34:35]
.LBB4_9366:                             ;   in Loop: Header=BB4_8645 Depth=3
	s_or_b64 exec, exec, s[28:29]
	v_add_f32_e32 v53, v54, v53
	v_and_b32_e32 v2, 0x7f800000, v53
	v_cmp_ne_u64_e32 vcc, s[62:63], v[2:3]
                                        ; implicit-def: $vgpr28
	s_and_saveexec_b64 s[28:29], vcc
	s_xor_b64 s[34:35], exec, s[28:29]
	s_cbranch_execz .LBB4_9384
; %bb.9367:                             ;   in Loop: Header=BB4_8645 Depth=3
	v_and_b32_e32 v2, 0x7fffffff, v53
	v_cmp_gt_u64_e32 vcc, s[72:73], v[2:3]
	v_and_b32_sdwa v52, v53, s70 dst_sel:DWORD dst_unused:UNUSED_PAD src0_sel:BYTE_3 src1_sel:DWORD
                                        ; implicit-def: $vgpr28
	s_and_saveexec_b64 s[28:29], vcc
	s_xor_b64 s[36:37], exec, s[28:29]
	s_cbranch_execz .LBB4_9381
; %bb.9368:                             ;   in Loop: Header=BB4_8645 Depth=3
	v_cmp_ne_u32_e32 vcc, 0, v53
	v_mov_b32_e32 v28, 0
	s_and_saveexec_b64 s[38:39], vcc
	s_cbranch_execz .LBB4_9380
; %bb.9369:                             ;   in Loop: Header=BB4_8645 Depth=3
	v_bfe_u32 v28, v53, 23, 8
	v_cmp_gt_u32_e64 s[28:29], s71, v28
	v_sub_u32_e32 v22, 0x79, v28
	v_cmp_eq_u32_e32 vcc, 0, v28
	v_cndmask_b32_e64 v22, 0, v22, s[28:29]
	v_mov_b32_e32 v32, 0x78
	v_and_b32_e32 v2, 0x7fffff, v53
	v_cndmask_b32_e32 v53, v22, v32, vcc
	v_or_b32_e32 v23, 0x800000, v2
	v_add_u32_e32 v22, 20, v53
	v_cndmask_b32_e32 v2, v23, v2, vcc
	v_lshlrev_b64 v[54:55], v22, -1
	v_add_u32_e32 v22, 19, v53
	v_lshlrev_b64 v[40:41], v22, 1
	v_lshrrev_b64 v[42:43], v53, v[2:3]
	v_bfi_b32 v55, v55, 0, 0
	v_bfi_b32 v54, v54, 0, v2
	v_cmp_eq_u64_e64 s[28:29], v[54:55], v[40:41]
	v_mov_b32_e32 v44, v43
	v_mov_b32_e32 v43, v42
	s_and_saveexec_b64 s[48:49], s[28:29]
; %bb.9370:                             ;   in Loop: Header=BB4_8645 Depth=3
	v_bfe_u32 v2, v42, 20, 1
	v_add_co_u32_e64 v2, s[28:29], v42, v2
	v_add_co_u32_e64 v43, s[28:29], -1, v2
; %bb.9371:                             ;   in Loop: Header=BB4_8645 Depth=3
	s_or_b64 exec, exec, s[48:49]
	v_add_u32_e32 v2, 0xffffff81, v28
	v_mov_b32_e32 v22, 0xffffff82
	v_cndmask_b32_e32 v2, v2, v22, vcc
	v_lshrrev_b32_e32 v22, 23, v42
	v_add3_u32 v54, v53, v2, v22
	v_add_u32_e32 v28, 6, v54
	v_and_b32_e32 v2, 0xfffff, v43
	v_add_u32_e32 v2, v2, v42
	v_cmp_ne_u32_e32 vcc, 0, v28
                                        ; implicit-def: $vgpr42_vgpr43
                                        ; implicit-def: $vgpr53
	s_and_saveexec_b64 s[28:29], vcc
	s_xor_b64 s[28:29], exec, s[28:29]
; %bb.9372:                             ;   in Loop: Header=BB4_8645 Depth=3
	v_cmp_lt_u64_e32 vcc, s[74:75], v[2:3]
	v_add_u32_e32 v22, 7, v54
	v_cndmask_b32_e32 v53, v28, v22, vcc
	v_cndmask_b32_e64 v22, 0, 1, vcc
	v_lshrrev_b64 v[42:43], v22, v[2:3]
; %bb.9373:                             ;   in Loop: Header=BB4_8645 Depth=3
	s_andn2_saveexec_b64 s[28:29], s[28:29]
; %bb.9374:                             ;   in Loop: Header=BB4_8645 Depth=3
	v_mov_b32_e32 v43, v3
	v_mov_b32_e32 v42, v2
	v_bfe_u32 v53, v2, 23, 1
; %bb.9375:                             ;   in Loop: Header=BB4_8645 Depth=3
	s_or_b64 exec, exec, s[28:29]
	v_lshrrev_b64 v[54:55], 20, v[42:43]
	v_cmp_gt_i32_e32 vcc, 16, v53
	v_cndmask_b32_e32 v43, 0, v55, vcc
	v_cndmask_b32_e32 v42, 7, v54, vcc
	v_cmp_ne_u64_e32 vcc, 0, v[42:43]
	v_cmp_ne_u32_e64 s[28:29], 0, v53
	s_or_b64 s[28:29], s[28:29], vcc
                                        ; implicit-def: $vgpr28
	s_and_saveexec_b64 s[44:45], s[28:29]
	s_xor_b64 s[28:29], exec, s[44:45]
; %bb.9376:                             ;   in Loop: Header=BB4_8645 Depth=3
	v_min_i32_e32 v2, 15, v53
	v_lshl_or_b32 v2, v2, 3, v52
	v_and_or_b32 v28, v42, 7, v2
                                        ; implicit-def: $vgpr52
; %bb.9377:                             ;   in Loop: Header=BB4_8645 Depth=3
	s_andn2_saveexec_b64 s[28:29], s[28:29]
; %bb.9378:                             ;   in Loop: Header=BB4_8645 Depth=3
	v_mov_b32_e32 v28, v52
; %bb.9379:                             ;   in Loop: Header=BB4_8645 Depth=3
	s_or_b64 exec, exec, s[28:29]
.LBB4_9380:                             ;   in Loop: Header=BB4_8645 Depth=3
	s_or_b64 exec, exec, s[38:39]
                                        ; implicit-def: $vgpr52
.LBB4_9381:                             ;   in Loop: Header=BB4_8645 Depth=3
	s_andn2_saveexec_b64 s[28:29], s[36:37]
; %bb.9382:                             ;   in Loop: Header=BB4_8645 Depth=3
	v_or_b32_e32 v28, 0x7e, v52
; %bb.9383:                             ;   in Loop: Header=BB4_8645 Depth=3
	s_or_b64 exec, exec, s[28:29]
                                        ; implicit-def: $vgpr53
.LBB4_9384:                             ;   in Loop: Header=BB4_8645 Depth=3
	s_andn2_saveexec_b64 s[28:29], s[34:35]
; %bb.9385:                             ;   in Loop: Header=BB4_8645 Depth=3
	v_or_b32_sdwa v28, v53, s68 dst_sel:DWORD dst_unused:UNUSED_PAD src0_sel:BYTE_3 src1_sel:DWORD
; %bb.9386:                             ;   in Loop: Header=BB4_8645 Depth=3
	s_or_b64 exec, exec, s[28:29]
	v_and_b32_e32 v2, 0xff, v27
	v_cmp_ne_u16_e32 vcc, 0, v2
	v_mov_b32_e32 v52, 0
	v_mov_b32_e32 v53, 0
	s_and_saveexec_b64 s[28:29], vcc
	s_cbranch_execz .LBB4_9392
; %bb.9387:                             ;   in Loop: Header=BB4_8645 Depth=3
	v_cmp_ne_u16_e32 vcc, s70, v2
	v_bfrev_b32_e32 v53, 1
	s_and_saveexec_b64 s[34:35], vcc
	s_cbranch_execz .LBB4_9391
; %bb.9388:                             ;   in Loop: Header=BB4_8645 Depth=3
	v_and_b32_e32 v54, 0x7f, v27
	v_cmp_ne_u32_e32 vcc, s68, v54
	v_mov_b32_e32 v53, 0x7f800001
	s_and_saveexec_b64 s[36:37], vcc
	s_cbranch_execz .LBB4_9390
; %bb.9389:                             ;   in Loop: Header=BB4_8645 Depth=3
	v_and_b32_e32 v22, 7, v2
	v_ffbh_u32_e32 v32, v22
	v_min_u32_e32 v32, 32, v32
	v_subrev_u32_e32 v33, 28, v32
	v_lshrrev_b32_e32 v23, 3, v54
	v_cmp_gt_u32_e32 vcc, 8, v54
	v_lshlrev_b64 v[53:54], v33, v[2:3]
	v_sub_u32_e32 v2, 29, v32
	v_and_b32_e32 v32, 7, v53
	v_cndmask_b32_e32 v2, v23, v2, vcc
	v_cndmask_b32_e32 v22, v22, v32, vcc
	v_lshlrev_b32_e32 v23, 24, v27
	v_lshlrev_b32_e32 v22, 20, v22
	v_and_b32_e32 v23, 0x80000000, v23
	v_lshl_add_u32 v2, v2, 23, v5
	v_or3_b32 v53, v23, v2, v22
.LBB4_9390:                             ;   in Loop: Header=BB4_8645 Depth=3
	s_or_b64 exec, exec, s[36:37]
.LBB4_9391:                             ;   in Loop: Header=BB4_8645 Depth=3
	s_or_b64 exec, exec, s[34:35]
.LBB4_9392:                             ;   in Loop: Header=BB4_8645 Depth=3
	s_or_b64 exec, exec, s[28:29]
	v_and_b32_e32 v2, 0xff, v51
	v_cmp_ne_u16_e32 vcc, 0, v2
	s_and_saveexec_b64 s[28:29], vcc
	s_cbranch_execz .LBB4_9398
; %bb.9393:                             ;   in Loop: Header=BB4_8645 Depth=3
	v_cmp_ne_u16_e32 vcc, s70, v2
	v_bfrev_b32_e32 v52, 1
	s_and_saveexec_b64 s[34:35], vcc
	s_cbranch_execz .LBB4_9397
; %bb.9394:                             ;   in Loop: Header=BB4_8645 Depth=3
	v_and_b32_e32 v27, 0x7f, v51
	v_cmp_ne_u32_e32 vcc, s68, v27
	v_mov_b32_e32 v52, 0x7f800001
	s_and_saveexec_b64 s[36:37], vcc
	s_cbranch_execz .LBB4_9396
; %bb.9395:                             ;   in Loop: Header=BB4_8645 Depth=3
	v_and_b32_e32 v22, 7, v2
	v_lshrrev_b32_e32 v23, 3, v27
	v_cmp_gt_u32_e32 vcc, 8, v27
	v_ffbh_u32_e32 v27, v22
	v_min_u32_e32 v27, 32, v27
	v_subrev_u32_e32 v32, 28, v27
	v_lshlrev_b64 v[54:55], v32, v[2:3]
	v_sub_u32_e32 v2, 29, v27
	v_and_b32_e32 v27, 7, v54
	v_cndmask_b32_e32 v2, v23, v2, vcc
	v_cndmask_b32_e32 v22, v22, v27, vcc
	v_lshlrev_b32_e32 v23, 24, v51
	v_lshlrev_b32_e32 v22, 20, v22
	v_and_b32_e32 v23, 0x80000000, v23
	v_lshl_add_u32 v2, v2, 23, v5
	v_or3_b32 v52, v23, v2, v22
.LBB4_9396:                             ;   in Loop: Header=BB4_8645 Depth=3
	s_or_b64 exec, exec, s[36:37]
.LBB4_9397:                             ;   in Loop: Header=BB4_8645 Depth=3
	s_or_b64 exec, exec, s[34:35]
.LBB4_9398:                             ;   in Loop: Header=BB4_8645 Depth=3
	s_or_b64 exec, exec, s[28:29]
	v_add_f32_e32 v52, v53, v52
	v_and_b32_e32 v2, 0x7f800000, v52
	v_cmp_ne_u64_e32 vcc, s[62:63], v[2:3]
                                        ; implicit-def: $vgpr27
	s_and_saveexec_b64 s[28:29], vcc
	s_xor_b64 s[34:35], exec, s[28:29]
	s_cbranch_execz .LBB4_9416
; %bb.9399:                             ;   in Loop: Header=BB4_8645 Depth=3
	v_and_b32_e32 v2, 0x7fffffff, v52
	v_cmp_gt_u64_e32 vcc, s[72:73], v[2:3]
	v_and_b32_sdwa v51, v52, s70 dst_sel:DWORD dst_unused:UNUSED_PAD src0_sel:BYTE_3 src1_sel:DWORD
                                        ; implicit-def: $vgpr27
	s_and_saveexec_b64 s[28:29], vcc
	s_xor_b64 s[36:37], exec, s[28:29]
	s_cbranch_execz .LBB4_9413
; %bb.9400:                             ;   in Loop: Header=BB4_8645 Depth=3
	v_cmp_ne_u32_e32 vcc, 0, v52
	v_mov_b32_e32 v27, 0
	s_and_saveexec_b64 s[38:39], vcc
	s_cbranch_execz .LBB4_9412
; %bb.9401:                             ;   in Loop: Header=BB4_8645 Depth=3
	v_bfe_u32 v27, v52, 23, 8
	v_cmp_gt_u32_e64 s[28:29], s71, v27
	v_sub_u32_e32 v22, 0x79, v27
	v_cmp_eq_u32_e32 vcc, 0, v27
	v_cndmask_b32_e64 v22, 0, v22, s[28:29]
	v_mov_b32_e32 v32, 0x78
	v_and_b32_e32 v2, 0x7fffff, v52
	v_cndmask_b32_e32 v52, v22, v32, vcc
	v_or_b32_e32 v23, 0x800000, v2
	v_add_u32_e32 v22, 20, v52
	v_cndmask_b32_e32 v2, v23, v2, vcc
	v_lshlrev_b64 v[53:54], v22, -1
	v_add_u32_e32 v22, 19, v52
	v_lshlrev_b64 v[40:41], v22, 1
	v_lshrrev_b64 v[42:43], v52, v[2:3]
	v_bfi_b32 v54, v54, 0, 0
	v_bfi_b32 v53, v53, 0, v2
	v_cmp_eq_u64_e64 s[28:29], v[53:54], v[40:41]
	v_mov_b32_e32 v44, v43
	v_mov_b32_e32 v43, v42
	s_and_saveexec_b64 s[48:49], s[28:29]
; %bb.9402:                             ;   in Loop: Header=BB4_8645 Depth=3
	v_bfe_u32 v2, v42, 20, 1
	v_add_co_u32_e64 v2, s[28:29], v42, v2
	v_add_co_u32_e64 v43, s[28:29], -1, v2
; %bb.9403:                             ;   in Loop: Header=BB4_8645 Depth=3
	s_or_b64 exec, exec, s[48:49]
	v_add_u32_e32 v2, 0xffffff81, v27
	v_mov_b32_e32 v22, 0xffffff82
	v_cndmask_b32_e32 v2, v2, v22, vcc
	v_lshrrev_b32_e32 v22, 23, v42
	v_add3_u32 v53, v52, v2, v22
	v_add_u32_e32 v27, 6, v53
	v_and_b32_e32 v2, 0xfffff, v43
	v_add_u32_e32 v2, v2, v42
	v_cmp_ne_u32_e32 vcc, 0, v27
                                        ; implicit-def: $vgpr42_vgpr43
                                        ; implicit-def: $vgpr52
	s_and_saveexec_b64 s[28:29], vcc
	s_xor_b64 s[28:29], exec, s[28:29]
; %bb.9404:                             ;   in Loop: Header=BB4_8645 Depth=3
	v_cmp_lt_u64_e32 vcc, s[74:75], v[2:3]
	v_add_u32_e32 v22, 7, v53
	v_cndmask_b32_e32 v52, v27, v22, vcc
	v_cndmask_b32_e64 v22, 0, 1, vcc
	v_lshrrev_b64 v[42:43], v22, v[2:3]
; %bb.9405:                             ;   in Loop: Header=BB4_8645 Depth=3
	s_andn2_saveexec_b64 s[28:29], s[28:29]
; %bb.9406:                             ;   in Loop: Header=BB4_8645 Depth=3
	v_mov_b32_e32 v43, v3
	v_mov_b32_e32 v42, v2
	v_bfe_u32 v52, v2, 23, 1
; %bb.9407:                             ;   in Loop: Header=BB4_8645 Depth=3
	s_or_b64 exec, exec, s[28:29]
	v_lshrrev_b64 v[53:54], 20, v[42:43]
	v_cmp_gt_i32_e32 vcc, 16, v52
	v_cndmask_b32_e32 v43, 0, v54, vcc
	v_cndmask_b32_e32 v42, 7, v53, vcc
	v_cmp_ne_u64_e32 vcc, 0, v[42:43]
	v_cmp_ne_u32_e64 s[28:29], 0, v52
	s_or_b64 s[28:29], s[28:29], vcc
                                        ; implicit-def: $vgpr27
	s_and_saveexec_b64 s[44:45], s[28:29]
	s_xor_b64 s[28:29], exec, s[44:45]
; %bb.9408:                             ;   in Loop: Header=BB4_8645 Depth=3
	v_min_i32_e32 v2, 15, v52
	v_lshl_or_b32 v2, v2, 3, v51
	v_and_or_b32 v27, v42, 7, v2
                                        ; implicit-def: $vgpr51
; %bb.9409:                             ;   in Loop: Header=BB4_8645 Depth=3
	s_andn2_saveexec_b64 s[28:29], s[28:29]
; %bb.9410:                             ;   in Loop: Header=BB4_8645 Depth=3
	v_mov_b32_e32 v27, v51
; %bb.9411:                             ;   in Loop: Header=BB4_8645 Depth=3
	s_or_b64 exec, exec, s[28:29]
.LBB4_9412:                             ;   in Loop: Header=BB4_8645 Depth=3
	s_or_b64 exec, exec, s[38:39]
                                        ; implicit-def: $vgpr51
.LBB4_9413:                             ;   in Loop: Header=BB4_8645 Depth=3
	s_andn2_saveexec_b64 s[28:29], s[36:37]
; %bb.9414:                             ;   in Loop: Header=BB4_8645 Depth=3
	v_or_b32_e32 v27, 0x7e, v51
; %bb.9415:                             ;   in Loop: Header=BB4_8645 Depth=3
	s_or_b64 exec, exec, s[28:29]
                                        ; implicit-def: $vgpr52
.LBB4_9416:                             ;   in Loop: Header=BB4_8645 Depth=3
	s_andn2_saveexec_b64 s[28:29], s[34:35]
; %bb.9417:                             ;   in Loop: Header=BB4_8645 Depth=3
	v_or_b32_sdwa v27, v52, s68 dst_sel:DWORD dst_unused:UNUSED_PAD src0_sel:BYTE_3 src1_sel:DWORD
; %bb.9418:                             ;   in Loop: Header=BB4_8645 Depth=3
	s_or_b64 exec, exec, s[28:29]
	v_and_b32_e32 v2, 0xff, v26
	v_cmp_ne_u16_e32 vcc, 0, v2
	v_mov_b32_e32 v51, 0
	v_mov_b32_e32 v52, 0
	s_and_saveexec_b64 s[28:29], vcc
	s_cbranch_execz .LBB4_9424
; %bb.9419:                             ;   in Loop: Header=BB4_8645 Depth=3
	v_cmp_ne_u16_e32 vcc, s70, v2
	v_bfrev_b32_e32 v52, 1
	s_and_saveexec_b64 s[34:35], vcc
	s_cbranch_execz .LBB4_9423
; %bb.9420:                             ;   in Loop: Header=BB4_8645 Depth=3
	v_and_b32_e32 v53, 0x7f, v26
	v_cmp_ne_u32_e32 vcc, s68, v53
	v_mov_b32_e32 v52, 0x7f800001
	s_and_saveexec_b64 s[36:37], vcc
	s_cbranch_execz .LBB4_9422
; %bb.9421:                             ;   in Loop: Header=BB4_8645 Depth=3
	v_and_b32_e32 v22, 7, v2
	v_ffbh_u32_e32 v32, v22
	v_min_u32_e32 v32, 32, v32
	v_subrev_u32_e32 v33, 28, v32
	v_lshrrev_b32_e32 v23, 3, v53
	v_cmp_gt_u32_e32 vcc, 8, v53
	v_lshlrev_b64 v[52:53], v33, v[2:3]
	v_sub_u32_e32 v2, 29, v32
	v_and_b32_e32 v32, 7, v52
	v_cndmask_b32_e32 v2, v23, v2, vcc
	v_cndmask_b32_e32 v22, v22, v32, vcc
	v_lshlrev_b32_e32 v23, 24, v26
	v_lshlrev_b32_e32 v22, 20, v22
	v_and_b32_e32 v23, 0x80000000, v23
	v_lshl_add_u32 v2, v2, 23, v5
	v_or3_b32 v52, v23, v2, v22
.LBB4_9422:                             ;   in Loop: Header=BB4_8645 Depth=3
	s_or_b64 exec, exec, s[36:37]
.LBB4_9423:                             ;   in Loop: Header=BB4_8645 Depth=3
	s_or_b64 exec, exec, s[34:35]
.LBB4_9424:                             ;   in Loop: Header=BB4_8645 Depth=3
	s_or_b64 exec, exec, s[28:29]
	v_and_b32_e32 v2, 0xff, v50
	v_cmp_ne_u16_e32 vcc, 0, v2
	s_and_saveexec_b64 s[28:29], vcc
	s_cbranch_execz .LBB4_9430
; %bb.9425:                             ;   in Loop: Header=BB4_8645 Depth=3
	v_cmp_ne_u16_e32 vcc, s70, v2
	v_bfrev_b32_e32 v51, 1
	s_and_saveexec_b64 s[34:35], vcc
	s_cbranch_execz .LBB4_9429
; %bb.9426:                             ;   in Loop: Header=BB4_8645 Depth=3
	v_and_b32_e32 v26, 0x7f, v50
	v_cmp_ne_u32_e32 vcc, s68, v26
	v_mov_b32_e32 v51, 0x7f800001
	s_and_saveexec_b64 s[36:37], vcc
	s_cbranch_execz .LBB4_9428
; %bb.9427:                             ;   in Loop: Header=BB4_8645 Depth=3
	v_and_b32_e32 v22, 7, v2
	v_lshrrev_b32_e32 v23, 3, v26
	v_cmp_gt_u32_e32 vcc, 8, v26
	v_ffbh_u32_e32 v26, v22
	v_min_u32_e32 v26, 32, v26
	v_subrev_u32_e32 v32, 28, v26
	v_lshlrev_b64 v[53:54], v32, v[2:3]
	v_sub_u32_e32 v2, 29, v26
	v_and_b32_e32 v26, 7, v53
	v_cndmask_b32_e32 v2, v23, v2, vcc
	v_cndmask_b32_e32 v22, v22, v26, vcc
	v_lshlrev_b32_e32 v23, 24, v50
	v_lshlrev_b32_e32 v22, 20, v22
	v_and_b32_e32 v23, 0x80000000, v23
	v_lshl_add_u32 v2, v2, 23, v5
	v_or3_b32 v51, v23, v2, v22
.LBB4_9428:                             ;   in Loop: Header=BB4_8645 Depth=3
	s_or_b64 exec, exec, s[36:37]
.LBB4_9429:                             ;   in Loop: Header=BB4_8645 Depth=3
	s_or_b64 exec, exec, s[34:35]
.LBB4_9430:                             ;   in Loop: Header=BB4_8645 Depth=3
	s_or_b64 exec, exec, s[28:29]
	v_add_f32_e32 v51, v52, v51
	v_and_b32_e32 v2, 0x7f800000, v51
	v_cmp_ne_u64_e32 vcc, s[62:63], v[2:3]
                                        ; implicit-def: $vgpr26
	s_and_saveexec_b64 s[28:29], vcc
	s_xor_b64 s[34:35], exec, s[28:29]
	s_cbranch_execz .LBB4_9448
; %bb.9431:                             ;   in Loop: Header=BB4_8645 Depth=3
	v_and_b32_e32 v2, 0x7fffffff, v51
	v_cmp_gt_u64_e32 vcc, s[72:73], v[2:3]
	v_and_b32_sdwa v50, v51, s70 dst_sel:DWORD dst_unused:UNUSED_PAD src0_sel:BYTE_3 src1_sel:DWORD
                                        ; implicit-def: $vgpr26
	s_and_saveexec_b64 s[28:29], vcc
	s_xor_b64 s[36:37], exec, s[28:29]
	s_cbranch_execz .LBB4_9445
; %bb.9432:                             ;   in Loop: Header=BB4_8645 Depth=3
	v_cmp_ne_u32_e32 vcc, 0, v51
	v_mov_b32_e32 v26, 0
	s_and_saveexec_b64 s[38:39], vcc
	s_cbranch_execz .LBB4_9444
; %bb.9433:                             ;   in Loop: Header=BB4_8645 Depth=3
	v_bfe_u32 v26, v51, 23, 8
	v_cmp_gt_u32_e64 s[28:29], s71, v26
	v_sub_u32_e32 v22, 0x79, v26
	v_cmp_eq_u32_e32 vcc, 0, v26
	v_cndmask_b32_e64 v22, 0, v22, s[28:29]
	v_mov_b32_e32 v32, 0x78
	v_and_b32_e32 v2, 0x7fffff, v51
	v_cndmask_b32_e32 v51, v22, v32, vcc
	v_or_b32_e32 v23, 0x800000, v2
	v_add_u32_e32 v22, 20, v51
	v_cndmask_b32_e32 v2, v23, v2, vcc
	v_lshlrev_b64 v[52:53], v22, -1
	v_add_u32_e32 v22, 19, v51
	v_lshlrev_b64 v[54:55], v22, 1
	v_lshrrev_b64 v[42:43], v51, v[2:3]
	v_bfi_b32 v53, v53, 0, 0
	v_bfi_b32 v52, v52, 0, v2
	v_cmp_eq_u64_e64 s[28:29], v[52:53], v[54:55]
	v_mov_b32_e32 v44, v43
	v_mov_b32_e32 v43, v42
	s_and_saveexec_b64 s[48:49], s[28:29]
; %bb.9434:                             ;   in Loop: Header=BB4_8645 Depth=3
	v_bfe_u32 v2, v42, 20, 1
	v_add_co_u32_e64 v2, s[28:29], v42, v2
	v_add_co_u32_e64 v43, s[28:29], -1, v2
; %bb.9435:                             ;   in Loop: Header=BB4_8645 Depth=3
	s_or_b64 exec, exec, s[48:49]
	v_add_u32_e32 v2, 0xffffff81, v26
	v_mov_b32_e32 v22, 0xffffff82
	v_cndmask_b32_e32 v2, v2, v22, vcc
	v_lshrrev_b32_e32 v22, 23, v42
	v_add3_u32 v52, v51, v2, v22
	v_add_u32_e32 v26, 6, v52
	v_and_b32_e32 v2, 0xfffff, v43
	v_add_u32_e32 v2, v2, v42
	v_cmp_ne_u32_e32 vcc, 0, v26
                                        ; implicit-def: $vgpr42_vgpr43
                                        ; implicit-def: $vgpr51
	s_and_saveexec_b64 s[28:29], vcc
	s_xor_b64 s[28:29], exec, s[28:29]
; %bb.9436:                             ;   in Loop: Header=BB4_8645 Depth=3
	v_cmp_lt_u64_e32 vcc, s[74:75], v[2:3]
	v_add_u32_e32 v22, 7, v52
	v_cndmask_b32_e32 v51, v26, v22, vcc
	v_cndmask_b32_e64 v22, 0, 1, vcc
	v_lshrrev_b64 v[42:43], v22, v[2:3]
; %bb.9437:                             ;   in Loop: Header=BB4_8645 Depth=3
	s_andn2_saveexec_b64 s[28:29], s[28:29]
; %bb.9438:                             ;   in Loop: Header=BB4_8645 Depth=3
	v_mov_b32_e32 v43, v3
	v_mov_b32_e32 v42, v2
	v_bfe_u32 v51, v2, 23, 1
; %bb.9439:                             ;   in Loop: Header=BB4_8645 Depth=3
	s_or_b64 exec, exec, s[28:29]
	v_lshrrev_b64 v[52:53], 20, v[42:43]
	v_cmp_gt_i32_e32 vcc, 16, v51
	v_cndmask_b32_e32 v43, 0, v53, vcc
	v_cndmask_b32_e32 v42, 7, v52, vcc
	v_cmp_ne_u64_e32 vcc, 0, v[42:43]
	v_cmp_ne_u32_e64 s[28:29], 0, v51
	s_or_b64 s[28:29], s[28:29], vcc
                                        ; implicit-def: $vgpr26
	s_and_saveexec_b64 s[44:45], s[28:29]
	s_xor_b64 s[28:29], exec, s[44:45]
; %bb.9440:                             ;   in Loop: Header=BB4_8645 Depth=3
	v_min_i32_e32 v2, 15, v51
	v_lshl_or_b32 v2, v2, 3, v50
	v_and_or_b32 v26, v42, 7, v2
                                        ; implicit-def: $vgpr50
; %bb.9441:                             ;   in Loop: Header=BB4_8645 Depth=3
	s_andn2_saveexec_b64 s[28:29], s[28:29]
; %bb.9442:                             ;   in Loop: Header=BB4_8645 Depth=3
	v_mov_b32_e32 v26, v50
; %bb.9443:                             ;   in Loop: Header=BB4_8645 Depth=3
	s_or_b64 exec, exec, s[28:29]
.LBB4_9444:                             ;   in Loop: Header=BB4_8645 Depth=3
	s_or_b64 exec, exec, s[38:39]
                                        ; implicit-def: $vgpr50
.LBB4_9445:                             ;   in Loop: Header=BB4_8645 Depth=3
	s_andn2_saveexec_b64 s[28:29], s[36:37]
; %bb.9446:                             ;   in Loop: Header=BB4_8645 Depth=3
	v_or_b32_e32 v26, 0x7e, v50
; %bb.9447:                             ;   in Loop: Header=BB4_8645 Depth=3
	s_or_b64 exec, exec, s[28:29]
                                        ; implicit-def: $vgpr51
.LBB4_9448:                             ;   in Loop: Header=BB4_8645 Depth=3
	s_andn2_saveexec_b64 s[28:29], s[34:35]
; %bb.9449:                             ;   in Loop: Header=BB4_8645 Depth=3
	v_or_b32_sdwa v26, v51, s68 dst_sel:DWORD dst_unused:UNUSED_PAD src0_sel:BYTE_3 src1_sel:DWORD
; %bb.9450:                             ;   in Loop: Header=BB4_8645 Depth=3
	s_or_b64 exec, exec, s[28:29]
	v_and_b32_e32 v2, 0xff, v25
	v_cmp_ne_u16_e32 vcc, 0, v2
	v_mov_b32_e32 v50, 0
	v_mov_b32_e32 v51, 0
	s_and_saveexec_b64 s[28:29], vcc
	s_cbranch_execz .LBB4_9456
; %bb.9451:                             ;   in Loop: Header=BB4_8645 Depth=3
	v_cmp_ne_u16_e32 vcc, s70, v2
	v_bfrev_b32_e32 v51, 1
	s_and_saveexec_b64 s[34:35], vcc
	s_cbranch_execz .LBB4_9455
; %bb.9452:                             ;   in Loop: Header=BB4_8645 Depth=3
	v_and_b32_e32 v52, 0x7f, v25
	v_cmp_ne_u32_e32 vcc, s68, v52
	v_mov_b32_e32 v51, 0x7f800001
	s_and_saveexec_b64 s[36:37], vcc
	s_cbranch_execz .LBB4_9454
; %bb.9453:                             ;   in Loop: Header=BB4_8645 Depth=3
	v_and_b32_e32 v22, 7, v2
	v_ffbh_u32_e32 v32, v22
	v_min_u32_e32 v32, 32, v32
	v_subrev_u32_e32 v33, 28, v32
	v_lshrrev_b32_e32 v23, 3, v52
	v_cmp_gt_u32_e32 vcc, 8, v52
	v_lshlrev_b64 v[51:52], v33, v[2:3]
	v_sub_u32_e32 v2, 29, v32
	v_and_b32_e32 v32, 7, v51
	v_cndmask_b32_e32 v2, v23, v2, vcc
	v_cndmask_b32_e32 v22, v22, v32, vcc
	v_lshlrev_b32_e32 v23, 24, v25
	v_lshlrev_b32_e32 v22, 20, v22
	v_and_b32_e32 v23, 0x80000000, v23
	v_lshl_add_u32 v2, v2, 23, v5
	v_or3_b32 v51, v23, v2, v22
.LBB4_9454:                             ;   in Loop: Header=BB4_8645 Depth=3
	s_or_b64 exec, exec, s[36:37]
.LBB4_9455:                             ;   in Loop: Header=BB4_8645 Depth=3
	s_or_b64 exec, exec, s[34:35]
.LBB4_9456:                             ;   in Loop: Header=BB4_8645 Depth=3
	s_or_b64 exec, exec, s[28:29]
	v_and_b32_e32 v2, 0xff, v49
	v_cmp_ne_u16_e32 vcc, 0, v2
	s_and_saveexec_b64 s[28:29], vcc
	s_cbranch_execz .LBB4_9462
; %bb.9457:                             ;   in Loop: Header=BB4_8645 Depth=3
	v_cmp_ne_u16_e32 vcc, s70, v2
	v_bfrev_b32_e32 v50, 1
	s_and_saveexec_b64 s[34:35], vcc
	s_cbranch_execz .LBB4_9461
; %bb.9458:                             ;   in Loop: Header=BB4_8645 Depth=3
	v_and_b32_e32 v25, 0x7f, v49
	v_cmp_ne_u32_e32 vcc, s68, v25
	v_mov_b32_e32 v50, 0x7f800001
	s_and_saveexec_b64 s[36:37], vcc
	s_cbranch_execz .LBB4_9460
; %bb.9459:                             ;   in Loop: Header=BB4_8645 Depth=3
	v_and_b32_e32 v22, 7, v2
	v_lshrrev_b32_e32 v23, 3, v25
	v_cmp_gt_u32_e32 vcc, 8, v25
	v_ffbh_u32_e32 v25, v22
	v_min_u32_e32 v25, 32, v25
	v_subrev_u32_e32 v32, 28, v25
	v_lshlrev_b64 v[52:53], v32, v[2:3]
	v_sub_u32_e32 v2, 29, v25
	v_and_b32_e32 v25, 7, v52
	v_cndmask_b32_e32 v2, v23, v2, vcc
	v_cndmask_b32_e32 v22, v22, v25, vcc
	v_lshlrev_b32_e32 v23, 24, v49
	v_lshlrev_b32_e32 v22, 20, v22
	v_and_b32_e32 v23, 0x80000000, v23
	v_lshl_add_u32 v2, v2, 23, v5
	v_or3_b32 v50, v23, v2, v22
.LBB4_9460:                             ;   in Loop: Header=BB4_8645 Depth=3
	s_or_b64 exec, exec, s[36:37]
.LBB4_9461:                             ;   in Loop: Header=BB4_8645 Depth=3
	s_or_b64 exec, exec, s[34:35]
.LBB4_9462:                             ;   in Loop: Header=BB4_8645 Depth=3
	s_or_b64 exec, exec, s[28:29]
	v_add_f32_e32 v50, v51, v50
	v_and_b32_e32 v2, 0x7f800000, v50
	v_cmp_ne_u64_e32 vcc, s[62:63], v[2:3]
                                        ; implicit-def: $vgpr25
	s_and_saveexec_b64 s[28:29], vcc
	s_xor_b64 s[34:35], exec, s[28:29]
	s_cbranch_execz .LBB4_9480
; %bb.9463:                             ;   in Loop: Header=BB4_8645 Depth=3
	v_and_b32_e32 v2, 0x7fffffff, v50
	v_cmp_gt_u64_e32 vcc, s[72:73], v[2:3]
	v_and_b32_sdwa v49, v50, s70 dst_sel:DWORD dst_unused:UNUSED_PAD src0_sel:BYTE_3 src1_sel:DWORD
                                        ; implicit-def: $vgpr25
	s_and_saveexec_b64 s[28:29], vcc
	s_xor_b64 s[36:37], exec, s[28:29]
	s_cbranch_execz .LBB4_9477
; %bb.9464:                             ;   in Loop: Header=BB4_8645 Depth=3
	v_cmp_ne_u32_e32 vcc, 0, v50
	v_mov_b32_e32 v25, 0
	s_and_saveexec_b64 s[38:39], vcc
	s_cbranch_execz .LBB4_9476
; %bb.9465:                             ;   in Loop: Header=BB4_8645 Depth=3
	v_bfe_u32 v25, v50, 23, 8
	v_cmp_gt_u32_e64 s[28:29], s71, v25
	v_sub_u32_e32 v22, 0x79, v25
	v_cmp_eq_u32_e32 vcc, 0, v25
	v_cndmask_b32_e64 v22, 0, v22, s[28:29]
	v_mov_b32_e32 v32, 0x78
	v_and_b32_e32 v2, 0x7fffff, v50
	v_cndmask_b32_e32 v50, v22, v32, vcc
	v_or_b32_e32 v23, 0x800000, v2
	v_add_u32_e32 v22, 20, v50
	v_cndmask_b32_e32 v2, v23, v2, vcc
	v_lshlrev_b64 v[51:52], v22, -1
	v_add_u32_e32 v22, 19, v50
	v_lshlrev_b64 v[53:54], v22, 1
	v_lshrrev_b64 v[42:43], v50, v[2:3]
	v_bfi_b32 v52, v52, 0, 0
	v_bfi_b32 v51, v51, 0, v2
	v_cmp_eq_u64_e64 s[28:29], v[51:52], v[53:54]
	v_mov_b32_e32 v44, v43
	v_mov_b32_e32 v43, v42
	s_and_saveexec_b64 s[48:49], s[28:29]
; %bb.9466:                             ;   in Loop: Header=BB4_8645 Depth=3
	v_bfe_u32 v2, v42, 20, 1
	v_add_co_u32_e64 v2, s[28:29], v42, v2
	v_add_co_u32_e64 v43, s[28:29], -1, v2
; %bb.9467:                             ;   in Loop: Header=BB4_8645 Depth=3
	s_or_b64 exec, exec, s[48:49]
	v_add_u32_e32 v2, 0xffffff81, v25
	v_mov_b32_e32 v22, 0xffffff82
	v_cndmask_b32_e32 v2, v2, v22, vcc
	v_lshrrev_b32_e32 v22, 23, v42
	v_add3_u32 v51, v50, v2, v22
	v_add_u32_e32 v25, 6, v51
	v_and_b32_e32 v2, 0xfffff, v43
	v_add_u32_e32 v2, v2, v42
	v_cmp_ne_u32_e32 vcc, 0, v25
                                        ; implicit-def: $vgpr42_vgpr43
                                        ; implicit-def: $vgpr50
	s_and_saveexec_b64 s[28:29], vcc
	s_xor_b64 s[28:29], exec, s[28:29]
; %bb.9468:                             ;   in Loop: Header=BB4_8645 Depth=3
	v_cmp_lt_u64_e32 vcc, s[74:75], v[2:3]
	v_add_u32_e32 v22, 7, v51
	v_cndmask_b32_e32 v50, v25, v22, vcc
	v_cndmask_b32_e64 v22, 0, 1, vcc
	v_lshrrev_b64 v[42:43], v22, v[2:3]
; %bb.9469:                             ;   in Loop: Header=BB4_8645 Depth=3
	s_andn2_saveexec_b64 s[28:29], s[28:29]
; %bb.9470:                             ;   in Loop: Header=BB4_8645 Depth=3
	v_mov_b32_e32 v43, v3
	v_mov_b32_e32 v42, v2
	v_bfe_u32 v50, v2, 23, 1
; %bb.9471:                             ;   in Loop: Header=BB4_8645 Depth=3
	s_or_b64 exec, exec, s[28:29]
	v_lshrrev_b64 v[51:52], 20, v[42:43]
	v_cmp_gt_i32_e32 vcc, 16, v50
	v_cndmask_b32_e32 v43, 0, v52, vcc
	v_cndmask_b32_e32 v42, 7, v51, vcc
	v_cmp_ne_u64_e32 vcc, 0, v[42:43]
	v_cmp_ne_u32_e64 s[28:29], 0, v50
	s_or_b64 s[28:29], s[28:29], vcc
                                        ; implicit-def: $vgpr25
	s_and_saveexec_b64 s[44:45], s[28:29]
	s_xor_b64 s[28:29], exec, s[44:45]
; %bb.9472:                             ;   in Loop: Header=BB4_8645 Depth=3
	v_min_i32_e32 v2, 15, v50
	v_lshl_or_b32 v2, v2, 3, v49
	v_and_or_b32 v25, v42, 7, v2
                                        ; implicit-def: $vgpr49
; %bb.9473:                             ;   in Loop: Header=BB4_8645 Depth=3
	s_andn2_saveexec_b64 s[28:29], s[28:29]
; %bb.9474:                             ;   in Loop: Header=BB4_8645 Depth=3
	v_mov_b32_e32 v25, v49
; %bb.9475:                             ;   in Loop: Header=BB4_8645 Depth=3
	s_or_b64 exec, exec, s[28:29]
.LBB4_9476:                             ;   in Loop: Header=BB4_8645 Depth=3
	s_or_b64 exec, exec, s[38:39]
                                        ; implicit-def: $vgpr49
.LBB4_9477:                             ;   in Loop: Header=BB4_8645 Depth=3
	s_andn2_saveexec_b64 s[28:29], s[36:37]
; %bb.9478:                             ;   in Loop: Header=BB4_8645 Depth=3
	v_or_b32_e32 v25, 0x7e, v49
; %bb.9479:                             ;   in Loop: Header=BB4_8645 Depth=3
	s_or_b64 exec, exec, s[28:29]
                                        ; implicit-def: $vgpr50
.LBB4_9480:                             ;   in Loop: Header=BB4_8645 Depth=3
	s_andn2_saveexec_b64 s[28:29], s[34:35]
; %bb.9481:                             ;   in Loop: Header=BB4_8645 Depth=3
	v_or_b32_sdwa v25, v50, s68 dst_sel:DWORD dst_unused:UNUSED_PAD src0_sel:BYTE_3 src1_sel:DWORD
; %bb.9482:                             ;   in Loop: Header=BB4_8645 Depth=3
	s_or_b64 exec, exec, s[28:29]
	v_and_b32_e32 v2, 0xff, v24
	v_cmp_ne_u16_e32 vcc, 0, v2
	v_mov_b32_e32 v49, 0
	v_mov_b32_e32 v50, 0
	s_and_saveexec_b64 s[28:29], vcc
	s_cbranch_execz .LBB4_9488
; %bb.9483:                             ;   in Loop: Header=BB4_8645 Depth=3
	v_cmp_ne_u16_e32 vcc, s70, v2
	v_bfrev_b32_e32 v50, 1
	s_and_saveexec_b64 s[34:35], vcc
	s_cbranch_execz .LBB4_9487
; %bb.9484:                             ;   in Loop: Header=BB4_8645 Depth=3
	v_and_b32_e32 v51, 0x7f, v24
	v_cmp_ne_u32_e32 vcc, s68, v51
	v_mov_b32_e32 v50, 0x7f800001
	s_and_saveexec_b64 s[36:37], vcc
	s_cbranch_execz .LBB4_9486
; %bb.9485:                             ;   in Loop: Header=BB4_8645 Depth=3
	v_and_b32_e32 v22, 7, v2
	v_ffbh_u32_e32 v32, v22
	v_min_u32_e32 v32, 32, v32
	v_subrev_u32_e32 v33, 28, v32
	v_lshrrev_b32_e32 v23, 3, v51
	v_cmp_gt_u32_e32 vcc, 8, v51
	v_lshlrev_b64 v[50:51], v33, v[2:3]
	v_sub_u32_e32 v2, 29, v32
	v_and_b32_e32 v32, 7, v50
	v_cndmask_b32_e32 v2, v23, v2, vcc
	v_cndmask_b32_e32 v22, v22, v32, vcc
	v_lshlrev_b32_e32 v23, 24, v24
	v_lshlrev_b32_e32 v22, 20, v22
	v_and_b32_e32 v23, 0x80000000, v23
	v_lshl_add_u32 v2, v2, 23, v5
	v_or3_b32 v50, v23, v2, v22
.LBB4_9486:                             ;   in Loop: Header=BB4_8645 Depth=3
	s_or_b64 exec, exec, s[36:37]
.LBB4_9487:                             ;   in Loop: Header=BB4_8645 Depth=3
	s_or_b64 exec, exec, s[34:35]
.LBB4_9488:                             ;   in Loop: Header=BB4_8645 Depth=3
	s_or_b64 exec, exec, s[28:29]
	v_and_b32_e32 v2, 0xff, v39
	v_cmp_ne_u16_e32 vcc, 0, v2
	s_and_saveexec_b64 s[28:29], vcc
	s_cbranch_execz .LBB4_9494
; %bb.9489:                             ;   in Loop: Header=BB4_8645 Depth=3
	v_cmp_ne_u16_e32 vcc, s70, v2
	v_bfrev_b32_e32 v49, 1
	s_and_saveexec_b64 s[34:35], vcc
	s_cbranch_execz .LBB4_9493
; %bb.9490:                             ;   in Loop: Header=BB4_8645 Depth=3
	v_and_b32_e32 v24, 0x7f, v39
	v_cmp_ne_u32_e32 vcc, s68, v24
	v_mov_b32_e32 v49, 0x7f800001
	s_and_saveexec_b64 s[36:37], vcc
	s_cbranch_execz .LBB4_9492
; %bb.9491:                             ;   in Loop: Header=BB4_8645 Depth=3
	v_and_b32_e32 v22, 7, v2
	v_lshrrev_b32_e32 v23, 3, v24
	v_cmp_gt_u32_e32 vcc, 8, v24
	v_ffbh_u32_e32 v24, v22
	v_min_u32_e32 v24, 32, v24
	v_subrev_u32_e32 v32, 28, v24
	v_lshlrev_b64 v[51:52], v32, v[2:3]
	v_sub_u32_e32 v2, 29, v24
	v_and_b32_e32 v24, 7, v51
	v_cndmask_b32_e32 v2, v23, v2, vcc
	v_cndmask_b32_e32 v22, v22, v24, vcc
	v_lshlrev_b32_e32 v23, 24, v39
	v_lshlrev_b32_e32 v22, 20, v22
	v_and_b32_e32 v23, 0x80000000, v23
	v_lshl_add_u32 v2, v2, 23, v5
	v_or3_b32 v49, v23, v2, v22
.LBB4_9492:                             ;   in Loop: Header=BB4_8645 Depth=3
	s_or_b64 exec, exec, s[36:37]
.LBB4_9493:                             ;   in Loop: Header=BB4_8645 Depth=3
	s_or_b64 exec, exec, s[34:35]
.LBB4_9494:                             ;   in Loop: Header=BB4_8645 Depth=3
	s_or_b64 exec, exec, s[28:29]
	v_add_f32_e32 v49, v50, v49
	v_and_b32_e32 v2, 0x7f800000, v49
	v_cmp_ne_u64_e32 vcc, s[62:63], v[2:3]
                                        ; implicit-def: $vgpr24
	s_and_saveexec_b64 s[28:29], vcc
	s_xor_b64 s[34:35], exec, s[28:29]
	s_cbranch_execz .LBB4_9512
; %bb.9495:                             ;   in Loop: Header=BB4_8645 Depth=3
	v_and_b32_e32 v2, 0x7fffffff, v49
	v_cmp_gt_u64_e32 vcc, s[72:73], v[2:3]
	v_and_b32_sdwa v39, v49, s70 dst_sel:DWORD dst_unused:UNUSED_PAD src0_sel:BYTE_3 src1_sel:DWORD
                                        ; implicit-def: $vgpr24
	s_and_saveexec_b64 s[28:29], vcc
	s_xor_b64 s[36:37], exec, s[28:29]
	s_cbranch_execz .LBB4_9509
; %bb.9496:                             ;   in Loop: Header=BB4_8645 Depth=3
	v_cmp_ne_u32_e32 vcc, 0, v49
	v_mov_b32_e32 v24, 0
	s_and_saveexec_b64 s[38:39], vcc
	s_cbranch_execz .LBB4_9508
; %bb.9497:                             ;   in Loop: Header=BB4_8645 Depth=3
	v_bfe_u32 v24, v49, 23, 8
	v_cmp_gt_u32_e64 s[28:29], s71, v24
	v_sub_u32_e32 v22, 0x79, v24
	v_cmp_eq_u32_e32 vcc, 0, v24
	v_cndmask_b32_e64 v22, 0, v22, s[28:29]
	v_mov_b32_e32 v32, 0x78
	v_and_b32_e32 v2, 0x7fffff, v49
	v_cndmask_b32_e32 v49, v22, v32, vcc
	v_or_b32_e32 v23, 0x800000, v2
	v_add_u32_e32 v22, 20, v49
	v_cndmask_b32_e32 v2, v23, v2, vcc
	v_lshlrev_b64 v[50:51], v22, -1
	v_add_u32_e32 v22, 19, v49
	v_lshlrev_b64 v[52:53], v22, 1
	v_lshrrev_b64 v[42:43], v49, v[2:3]
	v_bfi_b32 v51, v51, 0, 0
	v_bfi_b32 v50, v50, 0, v2
	v_cmp_eq_u64_e64 s[28:29], v[50:51], v[52:53]
	v_mov_b32_e32 v44, v43
	v_mov_b32_e32 v43, v42
	s_and_saveexec_b64 s[48:49], s[28:29]
; %bb.9498:                             ;   in Loop: Header=BB4_8645 Depth=3
	v_bfe_u32 v2, v42, 20, 1
	v_add_co_u32_e64 v2, s[28:29], v42, v2
	v_add_co_u32_e64 v43, s[28:29], -1, v2
; %bb.9499:                             ;   in Loop: Header=BB4_8645 Depth=3
	s_or_b64 exec, exec, s[48:49]
	v_add_u32_e32 v2, 0xffffff81, v24
	v_mov_b32_e32 v22, 0xffffff82
	v_cndmask_b32_e32 v2, v2, v22, vcc
	v_lshrrev_b32_e32 v22, 23, v42
	v_add3_u32 v50, v49, v2, v22
	v_add_u32_e32 v24, 6, v50
	v_and_b32_e32 v2, 0xfffff, v43
	v_add_u32_e32 v2, v2, v42
	v_cmp_ne_u32_e32 vcc, 0, v24
                                        ; implicit-def: $vgpr42_vgpr43
                                        ; implicit-def: $vgpr49
	s_and_saveexec_b64 s[28:29], vcc
	s_xor_b64 s[28:29], exec, s[28:29]
; %bb.9500:                             ;   in Loop: Header=BB4_8645 Depth=3
	v_cmp_lt_u64_e32 vcc, s[74:75], v[2:3]
	v_add_u32_e32 v22, 7, v50
	v_cndmask_b32_e32 v49, v24, v22, vcc
	v_cndmask_b32_e64 v22, 0, 1, vcc
	v_lshrrev_b64 v[42:43], v22, v[2:3]
; %bb.9501:                             ;   in Loop: Header=BB4_8645 Depth=3
	s_andn2_saveexec_b64 s[28:29], s[28:29]
; %bb.9502:                             ;   in Loop: Header=BB4_8645 Depth=3
	v_mov_b32_e32 v43, v3
	v_mov_b32_e32 v42, v2
	v_bfe_u32 v49, v2, 23, 1
; %bb.9503:                             ;   in Loop: Header=BB4_8645 Depth=3
	s_or_b64 exec, exec, s[28:29]
	v_lshrrev_b64 v[50:51], 20, v[42:43]
	v_cmp_gt_i32_e32 vcc, 16, v49
	v_cndmask_b32_e32 v43, 0, v51, vcc
	v_cndmask_b32_e32 v42, 7, v50, vcc
	v_cmp_ne_u64_e32 vcc, 0, v[42:43]
	v_cmp_ne_u32_e64 s[28:29], 0, v49
	s_or_b64 s[28:29], s[28:29], vcc
                                        ; implicit-def: $vgpr24
	s_and_saveexec_b64 s[44:45], s[28:29]
	s_xor_b64 s[28:29], exec, s[44:45]
; %bb.9504:                             ;   in Loop: Header=BB4_8645 Depth=3
	v_min_i32_e32 v2, 15, v49
	v_lshl_or_b32 v2, v2, 3, v39
	v_and_or_b32 v24, v42, 7, v2
                                        ; implicit-def: $vgpr39
; %bb.9505:                             ;   in Loop: Header=BB4_8645 Depth=3
	s_andn2_saveexec_b64 s[28:29], s[28:29]
; %bb.9506:                             ;   in Loop: Header=BB4_8645 Depth=3
	v_mov_b32_e32 v24, v39
; %bb.9507:                             ;   in Loop: Header=BB4_8645 Depth=3
	s_or_b64 exec, exec, s[28:29]
.LBB4_9508:                             ;   in Loop: Header=BB4_8645 Depth=3
	s_or_b64 exec, exec, s[38:39]
                                        ; implicit-def: $vgpr39
.LBB4_9509:                             ;   in Loop: Header=BB4_8645 Depth=3
	s_andn2_saveexec_b64 s[28:29], s[36:37]
; %bb.9510:                             ;   in Loop: Header=BB4_8645 Depth=3
	v_or_b32_e32 v24, 0x7e, v39
; %bb.9511:                             ;   in Loop: Header=BB4_8645 Depth=3
	s_or_b64 exec, exec, s[28:29]
                                        ; implicit-def: $vgpr49
.LBB4_9512:                             ;   in Loop: Header=BB4_8645 Depth=3
	s_andn2_saveexec_b64 s[28:29], s[34:35]
; %bb.9513:                             ;   in Loop: Header=BB4_8645 Depth=3
	v_or_b32_sdwa v24, v49, s68 dst_sel:DWORD dst_unused:UNUSED_PAD src0_sel:BYTE_3 src1_sel:DWORD
; %bb.9514:                             ;   in Loop: Header=BB4_8645 Depth=3
	s_or_b64 exec, exec, s[28:29]
	v_and_b32_e32 v2, 0xff, v21
	v_cmp_ne_u16_e32 vcc, 0, v2
	v_mov_b32_e32 v39, 0
	v_mov_b32_e32 v49, 0
	s_and_saveexec_b64 s[28:29], vcc
	s_cbranch_execz .LBB4_9520
; %bb.9515:                             ;   in Loop: Header=BB4_8645 Depth=3
	v_cmp_ne_u16_e32 vcc, s70, v2
	v_bfrev_b32_e32 v49, 1
	s_and_saveexec_b64 s[34:35], vcc
	s_cbranch_execz .LBB4_9519
; %bb.9516:                             ;   in Loop: Header=BB4_8645 Depth=3
	v_and_b32_e32 v50, 0x7f, v21
	v_cmp_ne_u32_e32 vcc, s68, v50
	v_mov_b32_e32 v49, 0x7f800001
	s_and_saveexec_b64 s[36:37], vcc
	s_cbranch_execz .LBB4_9518
; %bb.9517:                             ;   in Loop: Header=BB4_8645 Depth=3
	v_and_b32_e32 v22, 7, v2
	v_ffbh_u32_e32 v32, v22
	v_min_u32_e32 v32, 32, v32
	v_subrev_u32_e32 v33, 28, v32
	v_lshrrev_b32_e32 v23, 3, v50
	v_cmp_gt_u32_e32 vcc, 8, v50
	v_lshlrev_b64 v[49:50], v33, v[2:3]
	v_sub_u32_e32 v2, 29, v32
	v_and_b32_e32 v32, 7, v49
	v_cndmask_b32_e32 v2, v23, v2, vcc
	v_cndmask_b32_e32 v22, v22, v32, vcc
	v_lshlrev_b32_e32 v21, 24, v21
	v_lshlrev_b32_e32 v22, 20, v22
	v_and_b32_e32 v21, 0x80000000, v21
	v_lshl_add_u32 v2, v2, 23, v5
	v_or3_b32 v49, v21, v2, v22
.LBB4_9518:                             ;   in Loop: Header=BB4_8645 Depth=3
	s_or_b64 exec, exec, s[36:37]
.LBB4_9519:                             ;   in Loop: Header=BB4_8645 Depth=3
	s_or_b64 exec, exec, s[34:35]
.LBB4_9520:                             ;   in Loop: Header=BB4_8645 Depth=3
	s_or_b64 exec, exec, s[28:29]
	v_and_b32_e32 v2, 0xff, v29
	v_cmp_ne_u16_e32 vcc, 0, v2
	s_and_saveexec_b64 s[28:29], vcc
	s_cbranch_execz .LBB4_9526
; %bb.9521:                             ;   in Loop: Header=BB4_8645 Depth=3
	v_cmp_ne_u16_e32 vcc, s70, v2
	v_bfrev_b32_e32 v39, 1
	s_and_saveexec_b64 s[34:35], vcc
	s_cbranch_execz .LBB4_9525
; %bb.9522:                             ;   in Loop: Header=BB4_8645 Depth=3
	v_and_b32_e32 v21, 0x7f, v29
	v_cmp_ne_u32_e32 vcc, s68, v21
	v_mov_b32_e32 v39, 0x7f800001
	s_and_saveexec_b64 s[36:37], vcc
	s_cbranch_execz .LBB4_9524
; %bb.9523:                             ;   in Loop: Header=BB4_8645 Depth=3
	v_and_b32_e32 v22, 7, v2
	v_lshrrev_b32_e32 v23, 3, v21
	v_cmp_gt_u32_e32 vcc, 8, v21
	v_ffbh_u32_e32 v21, v22
	v_min_u32_e32 v21, 32, v21
	v_subrev_u32_e32 v32, 28, v21
	v_lshlrev_b64 v[50:51], v32, v[2:3]
	v_sub_u32_e32 v2, 29, v21
	v_and_b32_e32 v21, 7, v50
	v_cndmask_b32_e32 v2, v23, v2, vcc
	v_cndmask_b32_e32 v21, v22, v21, vcc
	v_lshlrev_b32_e32 v22, 24, v29
	v_lshlrev_b32_e32 v21, 20, v21
	v_and_b32_e32 v22, 0x80000000, v22
	v_lshl_add_u32 v2, v2, 23, v5
	v_or3_b32 v39, v22, v2, v21
.LBB4_9524:                             ;   in Loop: Header=BB4_8645 Depth=3
	s_or_b64 exec, exec, s[36:37]
.LBB4_9525:                             ;   in Loop: Header=BB4_8645 Depth=3
	s_or_b64 exec, exec, s[34:35]
.LBB4_9526:                             ;   in Loop: Header=BB4_8645 Depth=3
	s_or_b64 exec, exec, s[28:29]
	v_add_f32_e32 v39, v49, v39
	v_and_b32_e32 v2, 0x7f800000, v39
	v_cmp_ne_u64_e32 vcc, s[62:63], v[2:3]
                                        ; implicit-def: $vgpr21
	s_and_saveexec_b64 s[28:29], vcc
	s_xor_b64 s[34:35], exec, s[28:29]
	s_cbranch_execz .LBB4_9544
; %bb.9527:                             ;   in Loop: Header=BB4_8645 Depth=3
	v_and_b32_e32 v2, 0x7fffffff, v39
	v_cmp_gt_u64_e32 vcc, s[72:73], v[2:3]
	v_and_b32_sdwa v29, v39, s70 dst_sel:DWORD dst_unused:UNUSED_PAD src0_sel:BYTE_3 src1_sel:DWORD
                                        ; implicit-def: $vgpr21
	s_and_saveexec_b64 s[28:29], vcc
	s_xor_b64 s[36:37], exec, s[28:29]
	s_cbranch_execz .LBB4_9541
; %bb.9528:                             ;   in Loop: Header=BB4_8645 Depth=3
	v_cmp_ne_u32_e32 vcc, 0, v39
	v_mov_b32_e32 v21, 0
	s_and_saveexec_b64 s[38:39], vcc
	s_cbranch_execz .LBB4_9540
; %bb.9529:                             ;   in Loop: Header=BB4_8645 Depth=3
	v_bfe_u32 v21, v39, 23, 8
	v_cmp_gt_u32_e64 s[28:29], s71, v21
	v_sub_u32_e32 v22, 0x79, v21
	v_cmp_eq_u32_e32 vcc, 0, v21
	v_cndmask_b32_e64 v22, 0, v22, s[28:29]
	v_mov_b32_e32 v32, 0x78
	v_and_b32_e32 v2, 0x7fffff, v39
	v_cndmask_b32_e32 v39, v22, v32, vcc
	v_or_b32_e32 v23, 0x800000, v2
	v_add_u32_e32 v22, 20, v39
	v_cndmask_b32_e32 v2, v23, v2, vcc
	v_lshlrev_b64 v[49:50], v22, -1
	v_add_u32_e32 v22, 19, v39
	v_lshlrev_b64 v[51:52], v22, 1
	v_lshrrev_b64 v[42:43], v39, v[2:3]
	v_bfi_b32 v50, v50, 0, 0
	v_bfi_b32 v49, v49, 0, v2
	v_cmp_eq_u64_e64 s[28:29], v[49:50], v[51:52]
	v_mov_b32_e32 v44, v43
	v_mov_b32_e32 v43, v42
	s_and_saveexec_b64 s[48:49], s[28:29]
; %bb.9530:                             ;   in Loop: Header=BB4_8645 Depth=3
	v_bfe_u32 v2, v42, 20, 1
	v_add_co_u32_e64 v2, s[28:29], v42, v2
	v_add_co_u32_e64 v43, s[28:29], -1, v2
; %bb.9531:                             ;   in Loop: Header=BB4_8645 Depth=3
	s_or_b64 exec, exec, s[48:49]
	v_add_u32_e32 v2, 0xffffff81, v21
	v_mov_b32_e32 v21, 0xffffff82
	v_cndmask_b32_e32 v2, v2, v21, vcc
	v_lshrrev_b32_e32 v21, 23, v42
	v_add3_u32 v49, v39, v2, v21
	v_add_u32_e32 v21, 6, v49
	v_and_b32_e32 v2, 0xfffff, v43
	v_add_u32_e32 v2, v2, v42
	v_cmp_ne_u32_e32 vcc, 0, v21
                                        ; implicit-def: $vgpr42_vgpr43
                                        ; implicit-def: $vgpr39
	s_and_saveexec_b64 s[28:29], vcc
	s_xor_b64 s[28:29], exec, s[28:29]
; %bb.9532:                             ;   in Loop: Header=BB4_8645 Depth=3
	v_cmp_lt_u64_e32 vcc, s[74:75], v[2:3]
	v_add_u32_e32 v22, 7, v49
	v_cndmask_b32_e32 v39, v21, v22, vcc
	v_cndmask_b32_e64 v21, 0, 1, vcc
	v_lshrrev_b64 v[42:43], v21, v[2:3]
; %bb.9533:                             ;   in Loop: Header=BB4_8645 Depth=3
	s_andn2_saveexec_b64 s[28:29], s[28:29]
; %bb.9534:                             ;   in Loop: Header=BB4_8645 Depth=3
	v_mov_b32_e32 v43, v3
	v_mov_b32_e32 v42, v2
	v_bfe_u32 v39, v2, 23, 1
; %bb.9535:                             ;   in Loop: Header=BB4_8645 Depth=3
	s_or_b64 exec, exec, s[28:29]
	v_lshrrev_b64 v[49:50], 20, v[42:43]
	v_cmp_gt_i32_e32 vcc, 16, v39
	v_cndmask_b32_e32 v43, 0, v50, vcc
	v_cndmask_b32_e32 v42, 7, v49, vcc
	v_cmp_ne_u64_e32 vcc, 0, v[42:43]
	v_cmp_ne_u32_e64 s[28:29], 0, v39
	s_or_b64 s[28:29], s[28:29], vcc
                                        ; implicit-def: $vgpr21
	s_and_saveexec_b64 s[44:45], s[28:29]
	s_xor_b64 s[28:29], exec, s[44:45]
; %bb.9536:                             ;   in Loop: Header=BB4_8645 Depth=3
	v_min_i32_e32 v2, 15, v39
	v_lshl_or_b32 v2, v2, 3, v29
	v_and_or_b32 v21, v42, 7, v2
                                        ; implicit-def: $vgpr29
; %bb.9537:                             ;   in Loop: Header=BB4_8645 Depth=3
	s_andn2_saveexec_b64 s[28:29], s[28:29]
; %bb.9538:                             ;   in Loop: Header=BB4_8645 Depth=3
	v_mov_b32_e32 v21, v29
; %bb.9539:                             ;   in Loop: Header=BB4_8645 Depth=3
	s_or_b64 exec, exec, s[28:29]
.LBB4_9540:                             ;   in Loop: Header=BB4_8645 Depth=3
	s_or_b64 exec, exec, s[38:39]
                                        ; implicit-def: $vgpr29
.LBB4_9541:                             ;   in Loop: Header=BB4_8645 Depth=3
	s_andn2_saveexec_b64 s[28:29], s[36:37]
; %bb.9542:                             ;   in Loop: Header=BB4_8645 Depth=3
	v_or_b32_e32 v21, 0x7e, v29
; %bb.9543:                             ;   in Loop: Header=BB4_8645 Depth=3
	s_or_b64 exec, exec, s[28:29]
                                        ; implicit-def: $vgpr39
.LBB4_9544:                             ;   in Loop: Header=BB4_8645 Depth=3
	s_andn2_saveexec_b64 s[28:29], s[34:35]
; %bb.9545:                             ;   in Loop: Header=BB4_8645 Depth=3
	v_or_b32_sdwa v21, v39, s68 dst_sel:DWORD dst_unused:UNUSED_PAD src0_sel:BYTE_3 src1_sel:DWORD
; %bb.9546:                             ;   in Loop: Header=BB4_8645 Depth=3
	s_or_b64 exec, exec, s[28:29]
	v_and_b32_e32 v2, 0xff, v4
	v_cmp_ne_u16_e32 vcc, 0, v2
	v_mov_b32_e32 v29, 0
	v_mov_b32_e32 v39, 0
	s_and_saveexec_b64 s[28:29], vcc
	s_cbranch_execz .LBB4_9552
; %bb.9547:                             ;   in Loop: Header=BB4_8645 Depth=3
	v_cmp_ne_u16_e32 vcc, s70, v2
	v_bfrev_b32_e32 v39, 1
	s_and_saveexec_b64 s[34:35], vcc
	s_cbranch_execz .LBB4_9551
; %bb.9548:                             ;   in Loop: Header=BB4_8645 Depth=3
	v_and_b32_e32 v49, 0x7f, v4
	v_cmp_ne_u32_e32 vcc, s68, v49
	v_mov_b32_e32 v39, 0x7f800001
	s_and_saveexec_b64 s[36:37], vcc
	s_cbranch_execz .LBB4_9550
; %bb.9549:                             ;   in Loop: Header=BB4_8645 Depth=3
	v_and_b32_e32 v22, 7, v2
	v_ffbh_u32_e32 v32, v22
	v_min_u32_e32 v32, 32, v32
	v_subrev_u32_e32 v33, 28, v32
	v_lshrrev_b32_e32 v23, 3, v49
	v_cmp_gt_u32_e32 vcc, 8, v49
	v_lshlrev_b64 v[49:50], v33, v[2:3]
	v_sub_u32_e32 v2, 29, v32
	v_and_b32_e32 v32, 7, v49
	v_cndmask_b32_e32 v2, v23, v2, vcc
	v_cndmask_b32_e32 v22, v22, v32, vcc
	v_lshlrev_b32_e32 v4, 24, v4
	v_lshlrev_b32_e32 v22, 20, v22
	v_and_b32_e32 v4, 0x80000000, v4
	v_lshl_add_u32 v2, v2, 23, v5
	v_or3_b32 v39, v4, v2, v22
.LBB4_9550:                             ;   in Loop: Header=BB4_8645 Depth=3
	s_or_b64 exec, exec, s[36:37]
.LBB4_9551:                             ;   in Loop: Header=BB4_8645 Depth=3
	s_or_b64 exec, exec, s[34:35]
.LBB4_9552:                             ;   in Loop: Header=BB4_8645 Depth=3
	s_or_b64 exec, exec, s[28:29]
	v_and_b32_e32 v2, 0xff, v17
	v_cmp_ne_u16_e32 vcc, 0, v2
	s_and_saveexec_b64 s[28:29], vcc
	s_cbranch_execz .LBB4_9558
; %bb.9553:                             ;   in Loop: Header=BB4_8645 Depth=3
	v_cmp_ne_u16_e32 vcc, s70, v2
	v_bfrev_b32_e32 v29, 1
	s_and_saveexec_b64 s[34:35], vcc
	s_cbranch_execz .LBB4_9557
; %bb.9554:                             ;   in Loop: Header=BB4_8645 Depth=3
	v_and_b32_e32 v4, 0x7f, v17
	v_cmp_ne_u32_e32 vcc, s68, v4
	v_mov_b32_e32 v29, 0x7f800001
	s_and_saveexec_b64 s[36:37], vcc
	s_cbranch_execz .LBB4_9556
; %bb.9555:                             ;   in Loop: Header=BB4_8645 Depth=3
	v_and_b32_e32 v22, 7, v2
	v_lshrrev_b32_e32 v23, 3, v4
	v_cmp_gt_u32_e32 vcc, 8, v4
	v_ffbh_u32_e32 v4, v22
	v_min_u32_e32 v4, 32, v4
	v_subrev_u32_e32 v29, 28, v4
	v_lshlrev_b64 v[49:50], v29, v[2:3]
	v_sub_u32_e32 v2, 29, v4
	v_and_b32_e32 v4, 7, v49
	v_cndmask_b32_e32 v2, v23, v2, vcc
	v_cndmask_b32_e32 v4, v22, v4, vcc
	v_lshlrev_b32_e32 v17, 24, v17
	v_lshlrev_b32_e32 v4, 20, v4
	v_and_b32_e32 v17, 0x80000000, v17
	v_lshl_add_u32 v2, v2, 23, v5
	v_or3_b32 v29, v17, v2, v4
.LBB4_9556:                             ;   in Loop: Header=BB4_8645 Depth=3
	s_or_b64 exec, exec, s[36:37]
.LBB4_9557:                             ;   in Loop: Header=BB4_8645 Depth=3
	s_or_b64 exec, exec, s[34:35]
.LBB4_9558:                             ;   in Loop: Header=BB4_8645 Depth=3
	s_or_b64 exec, exec, s[28:29]
	v_add_f32_e32 v17, v39, v29
	v_and_b32_e32 v2, 0x7f800000, v17
	v_cmp_ne_u64_e32 vcc, s[62:63], v[2:3]
                                        ; implicit-def: $vgpr2
	s_and_saveexec_b64 s[28:29], vcc
	s_xor_b64 s[34:35], exec, s[28:29]
	s_cbranch_execz .LBB4_9576
; %bb.9559:                             ;   in Loop: Header=BB4_8645 Depth=3
	v_and_b32_e32 v2, 0x7fffffff, v17
	v_cmp_gt_u64_e32 vcc, s[72:73], v[2:3]
	v_and_b32_sdwa v4, v17, s70 dst_sel:DWORD dst_unused:UNUSED_PAD src0_sel:BYTE_3 src1_sel:DWORD
                                        ; implicit-def: $vgpr2
	s_and_saveexec_b64 s[28:29], vcc
	s_xor_b64 s[36:37], exec, s[28:29]
	s_cbranch_execz .LBB4_9573
; %bb.9560:                             ;   in Loop: Header=BB4_8645 Depth=3
	v_cmp_ne_u32_e32 vcc, 0, v17
	v_mov_b32_e32 v2, 0
	s_and_saveexec_b64 s[38:39], vcc
	s_cbranch_execz .LBB4_9572
; %bb.9561:                             ;   in Loop: Header=BB4_8645 Depth=3
	v_and_b32_e32 v2, 0x7fffff, v17
	v_bfe_u32 v17, v17, 23, 8
	v_cmp_gt_u32_e64 s[28:29], s71, v17
	v_sub_u32_e32 v22, 0x79, v17
	v_cmp_eq_u32_e32 vcc, 0, v17
	v_cndmask_b32_e64 v22, 0, v22, s[28:29]
	v_mov_b32_e32 v29, 0x78
	v_cndmask_b32_e32 v29, v22, v29, vcc
	v_or_b32_e32 v23, 0x800000, v2
	v_add_u32_e32 v22, 20, v29
	v_cndmask_b32_e32 v2, v23, v2, vcc
	v_lshlrev_b64 v[49:50], v22, -1
	v_add_u32_e32 v22, 19, v29
	v_lshlrev_b64 v[51:52], v22, 1
	v_lshrrev_b64 v[42:43], v29, v[2:3]
	v_bfi_b32 v50, v50, 0, 0
	v_bfi_b32 v49, v49, 0, v2
	v_cmp_eq_u64_e64 s[28:29], v[49:50], v[51:52]
	v_mov_b32_e32 v44, v43
	v_mov_b32_e32 v43, v42
	s_and_saveexec_b64 s[48:49], s[28:29]
; %bb.9562:                             ;   in Loop: Header=BB4_8645 Depth=3
	v_bfe_u32 v2, v42, 20, 1
	v_add_co_u32_e64 v2, s[28:29], v42, v2
	v_add_co_u32_e64 v43, s[28:29], -1, v2
; %bb.9563:                             ;   in Loop: Header=BB4_8645 Depth=3
	s_or_b64 exec, exec, s[48:49]
	v_add_u32_e32 v2, 0xffffff81, v17
	v_mov_b32_e32 v17, 0xffffff82
	v_cndmask_b32_e32 v2, v2, v17, vcc
	v_lshrrev_b32_e32 v17, 23, v42
	v_add3_u32 v39, v29, v2, v17
	v_add_u32_e32 v29, 6, v39
	v_and_b32_e32 v2, 0xfffff, v43
	v_add_u32_e32 v2, v2, v42
	v_cmp_ne_u32_e32 vcc, 0, v29
                                        ; implicit-def: $vgpr42_vgpr43
                                        ; implicit-def: $vgpr17
	s_and_saveexec_b64 s[28:29], vcc
	s_xor_b64 s[28:29], exec, s[28:29]
; %bb.9564:                             ;   in Loop: Header=BB4_8645 Depth=3
	v_cmp_lt_u64_e32 vcc, s[74:75], v[2:3]
	v_add_u32_e32 v17, 7, v39
	v_cndmask_b32_e64 v22, 0, 1, vcc
	v_lshrrev_b64 v[42:43], v22, v[2:3]
	v_cndmask_b32_e32 v17, v29, v17, vcc
; %bb.9565:                             ;   in Loop: Header=BB4_8645 Depth=3
	s_andn2_saveexec_b64 s[28:29], s[28:29]
; %bb.9566:                             ;   in Loop: Header=BB4_8645 Depth=3
	v_mov_b32_e32 v43, v3
	v_mov_b32_e32 v42, v2
	v_bfe_u32 v17, v2, 23, 1
; %bb.9567:                             ;   in Loop: Header=BB4_8645 Depth=3
	s_or_b64 exec, exec, s[28:29]
	v_lshrrev_b64 v[49:50], 20, v[42:43]
	v_cmp_gt_i32_e32 vcc, 16, v17
	v_cndmask_b32_e32 v43, 0, v50, vcc
	v_cndmask_b32_e32 v42, 7, v49, vcc
	v_cmp_ne_u64_e32 vcc, 0, v[42:43]
	v_cmp_ne_u32_e64 s[28:29], 0, v17
	s_or_b64 s[28:29], s[28:29], vcc
                                        ; implicit-def: $vgpr2
	s_and_saveexec_b64 s[44:45], s[28:29]
	s_xor_b64 s[28:29], exec, s[44:45]
; %bb.9568:                             ;   in Loop: Header=BB4_8645 Depth=3
	v_min_i32_e32 v2, 15, v17
	v_lshl_or_b32 v2, v2, 3, v4
	v_and_or_b32 v2, v42, 7, v2
                                        ; implicit-def: $vgpr4
; %bb.9569:                             ;   in Loop: Header=BB4_8645 Depth=3
	s_andn2_saveexec_b64 s[28:29], s[28:29]
; %bb.9570:                             ;   in Loop: Header=BB4_8645 Depth=3
	v_mov_b32_e32 v2, v4
; %bb.9571:                             ;   in Loop: Header=BB4_8645 Depth=3
	s_or_b64 exec, exec, s[28:29]
.LBB4_9572:                             ;   in Loop: Header=BB4_8645 Depth=3
	s_or_b64 exec, exec, s[38:39]
                                        ; implicit-def: $vgpr4
.LBB4_9573:                             ;   in Loop: Header=BB4_8645 Depth=3
	s_andn2_saveexec_b64 s[28:29], s[36:37]
; %bb.9574:                             ;   in Loop: Header=BB4_8645 Depth=3
	v_or_b32_e32 v2, 0x7e, v4
; %bb.9575:                             ;   in Loop: Header=BB4_8645 Depth=3
	s_or_b64 exec, exec, s[28:29]
                                        ; implicit-def: $vgpr17
.LBB4_9576:                             ;   in Loop: Header=BB4_8645 Depth=3
	s_andn2_saveexec_b64 s[28:29], s[34:35]
	s_cbranch_execz .LBB4_8644
; %bb.9577:                             ;   in Loop: Header=BB4_8645 Depth=3
	v_or_b32_sdwa v2, v17, s68 dst_sel:DWORD dst_unused:UNUSED_PAD src0_sel:BYTE_3 src1_sel:DWORD
	s_branch .LBB4_8644
.LBB4_9578:                             ;   in Loop: Header=BB4_6132 Depth=2
	s_or_b64 exec, exec, s[30:31]
.LBB4_9579:                             ;   in Loop: Header=BB4_6132 Depth=2
	s_or_b64 exec, exec, s[40:41]
	v_lshlrev_b32_e32 v2, 10, v18
	v_cmp_ne_u32_e32 vcc, v6, v2
	s_and_b64 exec, exec, vcc
	s_cbranch_execz .LBB4_9648
; %bb.9580:                             ;   in Loop: Header=BB4_6132 Depth=2
	v_lshlrev_b32_e32 v0, 6, v0
	v_sub_u32_e32 v0, v7, v0
	v_lshlrev_b32_e32 v4, 6, v16
	v_sub_u32_e32 v0, v0, v4
	v_add_u32_e32 v2, v2, v0
	v_sub_u32_e32 v0, v6, v2
	v_cmp_lt_i32_e32 vcc, 0, v0
	s_and_b64 exec, exec, vcc
	s_cbranch_execz .LBB4_9648
; %bb.9581:                             ;   in Loop: Header=BB4_6132 Depth=2
	s_trap 2
	ds_read_b128 v[8:11], v0
	v_add_u32_e32 v1, v2, v1
	v_ashrrev_i32_e32 v2, 31, v1
	s_mov_b64 s[30:31], 0
	s_waitcnt lgkmcnt(0)
	v_add_co_u32_e32 v8, vcc, v8, v1
	v_addc_co_u32_e32 v9, vcc, v9, v2, vcc
	v_add_co_u32_e32 v10, vcc, v10, v1
	v_addc_co_u32_e32 v11, vcc, v11, v2, vcc
	v_mov_b32_e32 v13, v9
	v_mov_b32_e32 v15, v11
	;; [unrolled: 1-line block ×4, first 2 shown]
.LBB4_9582:                             ;   Parent Loop BB4_47 Depth=1
                                        ;     Parent Loop BB4_6132 Depth=2
                                        ; =>    This Loop Header: Depth=3
                                        ;         Child Loop BB4_9646 Depth 4
	s_trap 2
	ds_read_b64 v[42:43], v0
	s_waitcnt lgkmcnt(0)
	v_cmp_eq_u32_sdwa s[40:41], v42, v3 src0_sel:BYTE_0 src1_sel:DWORD
	v_readfirstlane_b32 s28, v42
	v_readfirstlane_b32 s29, v43
	s_and_b64 vcc, exec, s[40:41]
	s_cbranch_vccnz .LBB4_9586
; %bb.9583:                             ;   in Loop: Header=BB4_9582 Depth=3
	v_cmp_eq_u32_sdwa s[40:41], v42, s70 src0_sel:BYTE_0 src1_sel:DWORD
	s_brev_b32 s44, 1
	s_and_b64 vcc, exec, s[40:41]
	s_cbranch_vccnz .LBB4_9587
; %bb.9584:                             ;   in Loop: Header=BB4_9582 Depth=3
	s_and_b32 s40, s28, 0x7f
	s_cmpk_eq_i32 s40, 0x7f
	s_mov_b32 s44, 0x7f800001
	s_cbranch_scc1 .LBB4_9587
; %bb.9585:                             ;   in Loop: Header=BB4_9582 Depth=3
	s_and_b32 s41, s28, 7
	s_flbit_i32_b32 s41, s41
	s_min_u32 s41, s41, 32
	s_lshr_b32 s44, s40, 3
	s_sub_i32 s45, s41, 28
	s_sub_i32 s41, 29, s41
	s_cmp_lt_u32 s40, 8
	s_cselect_b32 s40, s45, 0
	s_cselect_b32 s44, s41, s44
	s_lshl_b64 s[40:41], s[28:29], s40
	s_lshl_b32 s29, s40, 20
	s_lshl_b32 s28, s28, 24
	;; [unrolled: 1-line block ×3, first 2 shown]
	s_and_b32 s28, s28, 0x80000000
	s_add_i32 s40, s40, 0x3c000000
	s_and_b32 s29, s29, 0x700000
	s_or_b32 s28, s28, s40
	s_or_b32 s44, s28, s29
	s_branch .LBB4_9587
.LBB4_9586:                             ;   in Loop: Header=BB4_9582 Depth=3
	s_mov_b32 s44, 0
.LBB4_9587:                             ;   in Loop: Header=BB4_9582 Depth=3
	flat_load_ubyte v1, v[12:13] glc slc
	v_mov_b32_e32 v4, 0
	s_waitcnt vmcnt(0) lgkmcnt(0)
	v_cmp_ne_u16_e32 vcc, 0, v1
	s_and_saveexec_b64 s[28:29], vcc
	s_cbranch_execz .LBB4_9593
; %bb.9588:                             ;   in Loop: Header=BB4_9582 Depth=3
	v_cmp_ne_u16_e32 vcc, s70, v1
	v_bfrev_b32_e32 v4, 1
	s_and_saveexec_b64 s[40:41], vcc
	s_cbranch_execz .LBB4_9592
; %bb.9589:                             ;   in Loop: Header=BB4_9582 Depth=3
	v_and_b32_e32 v2, 0xffff, v1
	v_and_b32_e32 v6, 0x7f, v2
	v_cmp_ne_u32_e32 vcc, s68, v6
	v_mov_b32_e32 v4, 0x7f800001
	s_and_saveexec_b64 s[34:35], vcc
	s_cbranch_execz .LBB4_9591
; %bb.9590:                             ;   in Loop: Header=BB4_9582 Depth=3
	v_and_b32_e32 v4, 7, v2
	v_lshrrev_b32_e32 v16, 3, v6
	v_cmp_gt_u32_e32 vcc, 8, v6
	v_ffbh_u32_e32 v6, v4
	v_min_u32_e32 v17, 32, v6
	v_subrev_u32_e32 v6, 28, v17
	v_lshlrev_b64 v[6:7], v6, v[2:3]
	v_sub_u32_e32 v2, 29, v17
	v_and_b32_e32 v6, 7, v6
	v_cndmask_b32_e32 v2, v16, v2, vcc
	v_cndmask_b32_e32 v4, v4, v6, vcc
	v_lshlrev_b32_e32 v1, 24, v1
	v_lshlrev_b32_e32 v4, 20, v4
	v_and_b32_e32 v1, 0x80000000, v1
	v_lshl_add_u32 v2, v2, 23, v5
	v_or3_b32 v4, v1, v2, v4
.LBB4_9591:                             ;   in Loop: Header=BB4_9582 Depth=3
	s_or_b64 exec, exec, s[34:35]
.LBB4_9592:                             ;   in Loop: Header=BB4_9582 Depth=3
	s_or_b64 exec, exec, s[40:41]
.LBB4_9593:                             ;   in Loop: Header=BB4_9582 Depth=3
	s_or_b64 exec, exec, s[28:29]
	v_mul_f32_e32 v6, s44, v4
	v_and_b32_e32 v2, 0x7f800000, v6
	v_cmp_ne_u64_e32 vcc, s[62:63], v[2:3]
                                        ; implicit-def: $vgpr4
	s_and_saveexec_b64 s[28:29], vcc
	s_xor_b64 s[40:41], exec, s[28:29]
	s_cbranch_execz .LBB4_9611
; %bb.9594:                             ;   in Loop: Header=BB4_9582 Depth=3
	v_and_b32_e32 v2, 0x7fffffff, v6
	v_cmp_gt_u64_e32 vcc, s[72:73], v[2:3]
	v_and_b32_sdwa v1, v6, s70 dst_sel:DWORD dst_unused:UNUSED_PAD src0_sel:BYTE_3 src1_sel:DWORD
                                        ; implicit-def: $vgpr4
	s_and_saveexec_b64 s[28:29], vcc
	s_xor_b64 s[34:35], exec, s[28:29]
	s_cbranch_execz .LBB4_9608
; %bb.9595:                             ;   in Loop: Header=BB4_9582 Depth=3
	v_cmp_ne_u32_e32 vcc, 0, v6
	v_mov_b32_e32 v4, 0
	s_and_saveexec_b64 s[36:37], vcc
	s_cbranch_execz .LBB4_9607
; %bb.9596:                             ;   in Loop: Header=BB4_9582 Depth=3
	v_bfe_u32 v4, v6, 23, 8
	v_and_b32_e32 v2, 0x7fffff, v6
	v_cmp_gt_u32_e64 s[28:29], s71, v4
	v_sub_u32_e32 v6, 0x79, v4
	v_cmp_eq_u32_e32 vcc, 0, v4
	v_cndmask_b32_e64 v6, 0, v6, s[28:29]
	v_mov_b32_e32 v16, 0x78
	v_or_b32_e32 v7, 0x800000, v2
	v_cndmask_b32_e32 v6, v6, v16, vcc
	v_cndmask_b32_e32 v2, v7, v2, vcc
	v_add_u32_e32 v7, 20, v6
	v_lshlrev_b64 v[16:17], v7, -1
	v_add_u32_e32 v7, 19, v6
	v_lshlrev_b64 v[20:21], v7, 1
	v_lshrrev_b64 v[42:43], v6, v[2:3]
	v_bfi_b32 v17, v17, 0, 0
	v_bfi_b32 v16, v16, 0, v2
	v_cmp_eq_u64_e64 s[28:29], v[16:17], v[20:21]
	v_mov_b32_e32 v44, v43
	v_mov_b32_e32 v43, v42
	s_and_saveexec_b64 s[38:39], s[28:29]
; %bb.9597:                             ;   in Loop: Header=BB4_9582 Depth=3
	v_bfe_u32 v2, v42, 20, 1
	v_add_co_u32_e64 v2, s[28:29], v42, v2
	v_add_co_u32_e64 v43, s[28:29], -1, v2
; %bb.9598:                             ;   in Loop: Header=BB4_9582 Depth=3
	s_or_b64 exec, exec, s[38:39]
	v_add_u32_e32 v2, 0xffffff81, v4
	v_mov_b32_e32 v4, 0xffffff82
	v_cndmask_b32_e32 v2, v2, v4, vcc
	v_lshrrev_b32_e32 v4, 23, v42
	v_add3_u32 v7, v6, v2, v4
	v_add_u32_e32 v4, 6, v7
	v_and_b32_e32 v2, 0xfffff, v43
	v_add_u32_e32 v2, v2, v42
	v_cmp_ne_u32_e32 vcc, 0, v4
                                        ; implicit-def: $vgpr42_vgpr43
                                        ; implicit-def: $vgpr6
	s_and_saveexec_b64 s[28:29], vcc
	s_xor_b64 s[28:29], exec, s[28:29]
; %bb.9599:                             ;   in Loop: Header=BB4_9582 Depth=3
	v_cmp_lt_u64_e32 vcc, s[74:75], v[2:3]
	v_add_u32_e32 v6, 7, v7
	v_cndmask_b32_e32 v6, v4, v6, vcc
	v_cndmask_b32_e64 v4, 0, 1, vcc
	v_lshrrev_b64 v[42:43], v4, v[2:3]
; %bb.9600:                             ;   in Loop: Header=BB4_9582 Depth=3
	s_andn2_saveexec_b64 s[28:29], s[28:29]
; %bb.9601:                             ;   in Loop: Header=BB4_9582 Depth=3
	v_mov_b32_e32 v43, v3
	v_mov_b32_e32 v42, v2
	v_bfe_u32 v6, v2, 23, 1
; %bb.9602:                             ;   in Loop: Header=BB4_9582 Depth=3
	s_or_b64 exec, exec, s[28:29]
	v_lshrrev_b64 v[16:17], 20, v[42:43]
	v_cmp_gt_i32_e32 vcc, 16, v6
	v_cndmask_b32_e32 v43, 0, v17, vcc
	v_cndmask_b32_e32 v42, 7, v16, vcc
	v_cmp_ne_u64_e32 vcc, 0, v[42:43]
	v_cmp_ne_u32_e64 s[28:29], 0, v6
	s_or_b64 s[28:29], s[28:29], vcc
                                        ; implicit-def: $vgpr4
	s_and_saveexec_b64 s[44:45], s[28:29]
	s_xor_b64 s[28:29], exec, s[44:45]
; %bb.9603:                             ;   in Loop: Header=BB4_9582 Depth=3
	v_min_i32_e32 v2, 15, v6
	v_lshl_or_b32 v1, v2, 3, v1
	v_and_or_b32 v4, v42, 7, v1
                                        ; implicit-def: $vgpr1
; %bb.9604:                             ;   in Loop: Header=BB4_9582 Depth=3
	s_andn2_saveexec_b64 s[28:29], s[28:29]
; %bb.9605:                             ;   in Loop: Header=BB4_9582 Depth=3
	v_mov_b32_e32 v4, v1
; %bb.9606:                             ;   in Loop: Header=BB4_9582 Depth=3
	s_or_b64 exec, exec, s[28:29]
.LBB4_9607:                             ;   in Loop: Header=BB4_9582 Depth=3
	s_or_b64 exec, exec, s[36:37]
                                        ; implicit-def: $vgpr1
.LBB4_9608:                             ;   in Loop: Header=BB4_9582 Depth=3
	s_andn2_saveexec_b64 s[28:29], s[34:35]
; %bb.9609:                             ;   in Loop: Header=BB4_9582 Depth=3
	v_or_b32_e32 v4, 0x7e, v1
; %bb.9610:                             ;   in Loop: Header=BB4_9582 Depth=3
	s_or_b64 exec, exec, s[28:29]
                                        ; implicit-def: $vgpr6
.LBB4_9611:                             ;   in Loop: Header=BB4_9582 Depth=3
	s_andn2_saveexec_b64 s[28:29], s[40:41]
; %bb.9612:                             ;   in Loop: Header=BB4_9582 Depth=3
	v_or_b32_sdwa v4, v6, s68 dst_sel:DWORD dst_unused:UNUSED_PAD src0_sel:BYTE_3 src1_sel:DWORD
; %bb.9613:                             ;   in Loop: Header=BB4_9582 Depth=3
	s_or_b64 exec, exec, s[28:29]
	flat_load_ubyte v6, v[14:15] glc slc
	v_and_b32_e32 v2, 0xff, v4
	v_cmp_ne_u16_e32 vcc, 0, v2
	v_mov_b32_e32 v1, 0
	v_mov_b32_e32 v7, 0
	s_and_saveexec_b64 s[28:29], vcc
	s_cbranch_execz .LBB4_9619
; %bb.9614:                             ;   in Loop: Header=BB4_9582 Depth=3
	v_cmp_ne_u16_e32 vcc, s70, v2
	v_bfrev_b32_e32 v7, 1
	s_and_saveexec_b64 s[40:41], vcc
	s_cbranch_execz .LBB4_9618
; %bb.9615:                             ;   in Loop: Header=BB4_9582 Depth=3
	v_and_b32_e32 v16, 0x7f, v4
	v_cmp_ne_u32_e32 vcc, s68, v16
	v_mov_b32_e32 v7, 0x7f800001
	s_and_saveexec_b64 s[34:35], vcc
	s_cbranch_execz .LBB4_9617
; %bb.9616:                             ;   in Loop: Header=BB4_9582 Depth=3
	v_and_b32_e32 v7, 7, v2
	v_lshrrev_b32_e32 v18, 3, v16
	v_cmp_gt_u32_e32 vcc, 8, v16
	v_ffbh_u32_e32 v16, v7
	v_min_u32_e32 v20, 32, v16
	v_subrev_u32_e32 v16, 28, v20
	v_lshlrev_b64 v[16:17], v16, v[2:3]
	v_sub_u32_e32 v2, 29, v20
	v_and_b32_e32 v16, 7, v16
	v_cndmask_b32_e32 v2, v18, v2, vcc
	v_cndmask_b32_e32 v7, v7, v16, vcc
	v_lshlrev_b32_e32 v4, 24, v4
	v_lshlrev_b32_e32 v7, 20, v7
	v_and_b32_e32 v4, 0x80000000, v4
	v_lshl_add_u32 v2, v2, 23, v5
	v_or3_b32 v7, v4, v2, v7
.LBB4_9617:                             ;   in Loop: Header=BB4_9582 Depth=3
	s_or_b64 exec, exec, s[34:35]
.LBB4_9618:                             ;   in Loop: Header=BB4_9582 Depth=3
	s_or_b64 exec, exec, s[40:41]
.LBB4_9619:                             ;   in Loop: Header=BB4_9582 Depth=3
	s_or_b64 exec, exec, s[28:29]
	s_waitcnt vmcnt(0) lgkmcnt(0)
	v_and_b32_e32 v2, 0xff, v6
	v_cmp_ne_u16_e32 vcc, 0, v2
	s_and_saveexec_b64 s[28:29], vcc
	s_cbranch_execz .LBB4_9625
; %bb.9620:                             ;   in Loop: Header=BB4_9582 Depth=3
	v_cmp_ne_u16_e32 vcc, s70, v2
	v_bfrev_b32_e32 v1, 1
	s_and_saveexec_b64 s[40:41], vcc
	s_cbranch_execz .LBB4_9624
; %bb.9621:                             ;   in Loop: Header=BB4_9582 Depth=3
	v_and_b32_e32 v4, 0x7f, v6
	v_cmp_ne_u32_e32 vcc, s68, v4
	v_mov_b32_e32 v1, 0x7f800001
	s_and_saveexec_b64 s[34:35], vcc
	s_cbranch_execz .LBB4_9623
; %bb.9622:                             ;   in Loop: Header=BB4_9582 Depth=3
	v_and_b32_e32 v16, 7, v2
	v_lshlrev_b32_e32 v1, 24, v6
	v_and_b32_e32 v6, 0x80000000, v1
	v_ffbh_u32_e32 v1, v16
	v_lshrrev_b32_e32 v17, 3, v4
	v_cmp_gt_u32_e32 vcc, 8, v4
	v_min_u32_e32 v4, 32, v1
	v_subrev_u32_e32 v1, 28, v4
	v_lshlrev_b64 v[1:2], v1, v[2:3]
	v_sub_u32_e32 v2, 29, v4
	v_and_b32_e32 v1, 7, v1
	v_cndmask_b32_e32 v2, v17, v2, vcc
	v_cndmask_b32_e32 v1, v16, v1, vcc
	v_lshlrev_b32_e32 v1, 20, v1
	v_lshl_add_u32 v2, v2, 23, v5
	v_or3_b32 v1, v6, v2, v1
.LBB4_9623:                             ;   in Loop: Header=BB4_9582 Depth=3
	s_or_b64 exec, exec, s[34:35]
.LBB4_9624:                             ;   in Loop: Header=BB4_9582 Depth=3
	s_or_b64 exec, exec, s[40:41]
.LBB4_9625:                             ;   in Loop: Header=BB4_9582 Depth=3
	s_or_b64 exec, exec, s[28:29]
	v_add_f32_e32 v4, v7, v1
	v_and_b32_e32 v2, 0x7f800000, v4
	v_cmp_ne_u64_e32 vcc, s[62:63], v[2:3]
                                        ; implicit-def: $vgpr2
	s_and_saveexec_b64 s[28:29], vcc
	s_xor_b64 s[40:41], exec, s[28:29]
	s_cbranch_execz .LBB4_9643
; %bb.9626:                             ;   in Loop: Header=BB4_9582 Depth=3
	v_and_b32_e32 v2, 0x7fffffff, v4
	v_cmp_gt_u64_e32 vcc, s[72:73], v[2:3]
	v_and_b32_sdwa v1, v4, s70 dst_sel:DWORD dst_unused:UNUSED_PAD src0_sel:BYTE_3 src1_sel:DWORD
                                        ; implicit-def: $vgpr2
	s_and_saveexec_b64 s[28:29], vcc
	s_xor_b64 s[34:35], exec, s[28:29]
	s_cbranch_execz .LBB4_9640
; %bb.9627:                             ;   in Loop: Header=BB4_9582 Depth=3
	v_cmp_ne_u32_e32 vcc, 0, v4
	v_mov_b32_e32 v2, 0
	s_and_saveexec_b64 s[36:37], vcc
	s_cbranch_execz .LBB4_9639
; %bb.9628:                             ;   in Loop: Header=BB4_9582 Depth=3
	v_and_b32_e32 v2, 0x7fffff, v4
	v_bfe_u32 v4, v4, 23, 8
	v_cmp_gt_u32_e64 s[28:29], s71, v4
	v_sub_u32_e32 v6, 0x79, v4
	v_cmp_eq_u32_e32 vcc, 0, v4
	v_cndmask_b32_e64 v6, 0, v6, s[28:29]
	v_mov_b32_e32 v16, 0x78
	v_or_b32_e32 v7, 0x800000, v2
	v_cndmask_b32_e32 v6, v6, v16, vcc
	v_cndmask_b32_e32 v2, v7, v2, vcc
	v_add_u32_e32 v7, 20, v6
	v_lshlrev_b64 v[16:17], v7, -1
	v_add_u32_e32 v7, 19, v6
	v_lshlrev_b64 v[20:21], v7, 1
	v_lshrrev_b64 v[42:43], v6, v[2:3]
	v_bfi_b32 v17, v17, 0, 0
	v_bfi_b32 v16, v16, 0, v2
	v_cmp_eq_u64_e64 s[28:29], v[16:17], v[20:21]
	v_mov_b32_e32 v44, v43
	v_mov_b32_e32 v43, v42
	s_and_saveexec_b64 s[38:39], s[28:29]
; %bb.9629:                             ;   in Loop: Header=BB4_9582 Depth=3
	v_bfe_u32 v2, v42, 20, 1
	v_add_co_u32_e64 v2, s[28:29], v42, v2
	v_add_co_u32_e64 v43, s[28:29], -1, v2
; %bb.9630:                             ;   in Loop: Header=BB4_9582 Depth=3
	s_or_b64 exec, exec, s[38:39]
	v_add_u32_e32 v2, 0xffffff81, v4
	v_mov_b32_e32 v4, 0xffffff82
	v_cndmask_b32_e32 v2, v2, v4, vcc
	v_lshrrev_b32_e32 v4, 23, v42
	v_add3_u32 v7, v6, v2, v4
	v_add_u32_e32 v6, 6, v7
	v_and_b32_e32 v2, 0xfffff, v43
	v_add_u32_e32 v2, v2, v42
	v_cmp_ne_u32_e32 vcc, 0, v6
                                        ; implicit-def: $vgpr42_vgpr43
                                        ; implicit-def: $vgpr4
	s_and_saveexec_b64 s[28:29], vcc
	s_xor_b64 s[28:29], exec, s[28:29]
; %bb.9631:                             ;   in Loop: Header=BB4_9582 Depth=3
	v_cmp_lt_u64_e32 vcc, s[74:75], v[2:3]
	v_add_u32_e32 v4, 7, v7
	v_cndmask_b32_e32 v4, v6, v4, vcc
	v_cndmask_b32_e64 v6, 0, 1, vcc
	v_lshrrev_b64 v[42:43], v6, v[2:3]
; %bb.9632:                             ;   in Loop: Header=BB4_9582 Depth=3
	s_andn2_saveexec_b64 s[28:29], s[28:29]
; %bb.9633:                             ;   in Loop: Header=BB4_9582 Depth=3
	v_mov_b32_e32 v43, v3
	v_mov_b32_e32 v42, v2
	v_bfe_u32 v4, v2, 23, 1
; %bb.9634:                             ;   in Loop: Header=BB4_9582 Depth=3
	s_or_b64 exec, exec, s[28:29]
	v_lshrrev_b64 v[6:7], 20, v[42:43]
	v_cmp_gt_i32_e32 vcc, 16, v4
	v_cndmask_b32_e32 v43, 0, v7, vcc
	v_cndmask_b32_e32 v42, 7, v6, vcc
	v_cmp_ne_u64_e32 vcc, 0, v[42:43]
	v_cmp_ne_u32_e64 s[28:29], 0, v4
	s_or_b64 s[28:29], s[28:29], vcc
                                        ; implicit-def: $vgpr2
	s_and_saveexec_b64 s[44:45], s[28:29]
	s_xor_b64 s[28:29], exec, s[44:45]
; %bb.9635:                             ;   in Loop: Header=BB4_9582 Depth=3
	v_min_i32_e32 v2, 15, v4
	v_lshl_or_b32 v1, v2, 3, v1
	v_and_or_b32 v2, v42, 7, v1
                                        ; implicit-def: $vgpr1
; %bb.9636:                             ;   in Loop: Header=BB4_9582 Depth=3
	s_andn2_saveexec_b64 s[28:29], s[28:29]
; %bb.9637:                             ;   in Loop: Header=BB4_9582 Depth=3
	v_mov_b32_e32 v2, v1
; %bb.9638:                             ;   in Loop: Header=BB4_9582 Depth=3
	s_or_b64 exec, exec, s[28:29]
.LBB4_9639:                             ;   in Loop: Header=BB4_9582 Depth=3
	s_or_b64 exec, exec, s[36:37]
                                        ; implicit-def: $vgpr1
.LBB4_9640:                             ;   in Loop: Header=BB4_9582 Depth=3
	s_andn2_saveexec_b64 s[28:29], s[34:35]
; %bb.9641:                             ;   in Loop: Header=BB4_9582 Depth=3
	v_or_b32_e32 v2, 0x7e, v1
; %bb.9642:                             ;   in Loop: Header=BB4_9582 Depth=3
	s_or_b64 exec, exec, s[28:29]
                                        ; implicit-def: $vgpr4
.LBB4_9643:                             ;   in Loop: Header=BB4_9582 Depth=3
	s_andn2_saveexec_b64 s[28:29], s[40:41]
; %bb.9644:                             ;   in Loop: Header=BB4_9582 Depth=3
	v_or_b32_sdwa v2, v4, s68 dst_sel:DWORD dst_unused:UNUSED_PAD src0_sel:BYTE_3 src1_sel:DWORD
; %bb.9645:                             ;   in Loop: Header=BB4_9582 Depth=3
	s_or_b64 exec, exec, s[28:29]
	s_mov_b64 s[36:37], 0
	s_mov_b64 s[34:35], -1
.LBB4_9646:                             ;   Parent Loop BB4_47 Depth=1
                                        ;     Parent Loop BB4_6132 Depth=2
                                        ;       Parent Loop BB4_9582 Depth=3
                                        ; =>      This Inner Loop Header: Depth=4
	s_cmp_eq_u32 s36, 1
	s_cselect_b64 vcc, -1, 0
	v_cndmask_b32_e32 v6, v8, v10, vcc
	v_cndmask_b32_e32 v7, v9, v11, vcc
	v_add_co_u32_e64 v1, s[28:29], 64, v6
	s_cmp_eq_u32 s36, 0
	v_addc_co_u32_e64 v4, s[28:29], 0, v7, s[28:29]
	s_cselect_b64 s[28:29], -1, 0
	s_and_b64 s[40:41], exec, s[34:35]
	s_mov_b64 s[36:37], 1
	s_mov_b64 s[34:35], 0
	v_cndmask_b32_e32 v11, v11, v4, vcc
	v_cndmask_b32_e32 v10, v10, v1, vcc
	v_cndmask_b32_e64 v9, v9, v4, s[28:29]
	v_cndmask_b32_e64 v8, v8, v1, s[28:29]
	s_mov_b64 vcc, s[40:41]
	flat_store_byte v[6:7], v2 glc slc
	s_cbranch_vccnz .LBB4_9646
; %bb.9647:                             ;   in Loop: Header=BB4_9582 Depth=3
	buffer_load_dword v1, off, s[0:3], s33 offset:164 ; 4-byte Folded Reload
	buffer_load_dword v2, off, s[0:3], s33 offset:168 ; 4-byte Folded Reload
	;; [unrolled: 1-line block ×3, first 2 shown]
	s_waitcnt vmcnt(0)
	v_add_co_u32_e32 v12, vcc, v12, v1
	v_addc_co_u32_e32 v13, vcc, v13, v2, vcc
	v_add_co_u32_e32 v14, vcc, v14, v1
	v_addc_co_u32_e32 v15, vcc, v15, v2, vcc
	buffer_load_dword v2, off, s[0:3], s33 offset:156 ; 4-byte Folded Reload
	buffer_load_dword v1, off, s[0:3], s33 offset:104 ; 4-byte Folded Reload
	s_waitcnt vmcnt(0)
	v_add_co_u32_e32 v8, vcc, v8, v2
	v_addc_co_u32_e32 v9, vcc, v9, v4, vcc
	v_sub_u32_e32 v0, v0, v1
	v_cmp_gt_i32_e32 vcc, 1, v0
	s_or_b64 s[30:31], vcc, s[30:31]
	v_add_co_u32_e32 v10, vcc, v10, v2
	v_addc_co_u32_e32 v11, vcc, v11, v4, vcc
	s_andn2_b64 exec, exec, s[30:31]
	s_cbranch_execnz .LBB4_9582
.LBB4_9648:                             ;   in Loop: Header=BB4_6132 Depth=2
	s_or_b64 exec, exec, s[42:43]
	buffer_load_dword v16, off, s[0:3], s33 offset:272 ; 4-byte Folded Reload
	s_branch .LBB4_13087
.LBB4_9649:                             ;   in Loop: Header=BB4_6132 Depth=2
	s_mov_b64 s[40:41], -1
	s_and_saveexec_b64 s[28:29], s[22:23]
	s_cbranch_execz .LBB4_9651
; %bb.9650:                             ;   in Loop: Header=BB4_6132 Depth=2
	ds_read_b32 v0, v0 offset:720
	s_waitcnt lgkmcnt(0)
	v_and_b32_e32 v0, 15, v0
	v_cmp_eq_u32_e32 vcc, 0, v0
	s_orn2_b64 s[40:41], vcc, exec
.LBB4_9651:                             ;   in Loop: Header=BB4_6132 Depth=2
	s_or_b64 exec, exec, s[28:29]
	s_and_saveexec_b64 s[28:29], s[18:19]
	s_cbranch_execz .LBB4_9653
; %bb.9652:                             ;   in Loop: Header=BB4_6132 Depth=2
	ds_read_b32 v0, v0 offset:784
	s_waitcnt lgkmcnt(0)
	v_and_b32_e32 v0, 15, v0
	v_cmp_eq_u32_e32 vcc, 0, v0
	s_and_b64 s[42:43], s[40:41], vcc
	s_andn2_b64 s[40:41], s[40:41], exec
	s_and_b64 s[42:43], s[42:43], exec
	s_or_b64 s[40:41], s[40:41], s[42:43]
.LBB4_9653:                             ;   in Loop: Header=BB4_6132 Depth=2
	s_or_b64 exec, exec, s[28:29]
	buffer_load_dword v6, off, s[0:3], s33 offset:228 ; 4-byte Folded Reload
	buffer_load_dword v7, off, s[0:3], s33 offset:176 ; 4-byte Folded Reload
	s_xor_b64 s[40:41], s[40:41], -1
	v_cndmask_b32_e64 v0, 0, 1, s[40:41]
	s_mov_b64 s[28:29], -1
	s_waitcnt vmcnt(0)
	v_mov_b32_e32 v1, 0
	v_cmp_ne_u32_e32 vcc, 0, v0
	s_cbranch_vccz .LBB4_9655
; %bb.9654:                             ;   in Loop: Header=BB4_6132 Depth=2
	s_and_saveexec_b64 s[40:41], s[28:29]
	s_cbranch_execnz .LBB4_12082
	s_branch .LBB4_13086
.LBB4_9655:                             ;   in Loop: Header=BB4_6132 Depth=2
	buffer_load_dword v1, off, s[0:3], s33 offset:228 ; 4-byte Folded Reload
	s_waitcnt vmcnt(0)
	v_ashrrev_i32_e32 v0, 31, v1
	v_lshrrev_b32_e32 v0, 21, v0
	v_add_u32_e32 v0, v1, v0
	v_ashrrev_i32_e32 v1, 11, v0
	buffer_load_dword v0, off, s[0:3], s33 offset:212 ; 4-byte Folded Reload
	s_waitcnt vmcnt(0)
	v_sub_u32_e32 v0, v1, v0
	v_cmp_lt_i32_e32 vcc, 0, v0
	s_and_saveexec_b64 s[40:41], vcc
	s_cbranch_execz .LBB4_11267
; %bb.9656:                             ;   in Loop: Header=BB4_6132 Depth=2
	buffer_store_dword v1, off, s[0:3], s33 offset:220 ; 4-byte Folded Spill
	s_trap 2
	ds_read_b64 v[1:2], v0
	buffer_load_dword v4, off, s[0:3], s33 offset:356 ; 4-byte Folded Reload
	buffer_load_dword v6, off, s[0:3], s33 offset:236 ; 4-byte Folded Reload
	;; [unrolled: 1-line block ×3, first 2 shown]
	s_waitcnt lgkmcnt(0)
	v_readfirstlane_b32 s28, v1
	s_and_b32 s29, s28, 7
	s_flbit_i32_b32 s29, s29
	s_min_u32 s29, s29, 32
	s_and_b32 s42, s28, 0x7f
	s_bfe_u32 s43, s28, 0x40003
	s_sub_i32 s44, s29, 28
	s_sub_i32 s29, 29, s29
	s_cmp_lt_u32 s42, 8
	s_cselect_b32 s44, s44, 0
	s_cselect_b32 s29, s29, s43
	s_lshl_b32 s43, s28, 24
	s_lshl_b32 s29, s29, 23
	s_and_b32 s43, s43, 0x80000000
	s_add_i32 s29, s29, 0x3c000000
	s_or_b32 s29, s43, s29
	s_cmpk_lg_i32 s42, 0x7f
	s_mov_b64 s[42:43], 0
	s_waitcnt vmcnt(1)
	v_add_co_u32_e32 v42, vcc, v6, v4
	s_waitcnt vmcnt(0)
	v_addc_co_u32_e32 v43, vcc, 0, v7, vcc
	buffer_load_dword v6, off, s[0:3], s33 offset:248 ; 4-byte Folded Reload
	buffer_load_dword v7, off, s[0:3], s33 offset:252 ; 4-byte Folded Reload
	v_add_co_u32_e32 v44, vcc, v1, v4
	v_addc_co_u32_e32 v45, vcc, 0, v2, vcc
	v_lshlrev_b64 v[1:2], s44, v[1:2]
	v_mov_b32_e32 v2, 0x7f800001
	v_lshlrev_b32_e32 v1, 20, v1
	v_and_b32_e32 v1, 0x700000, v1
	v_or_b32_e32 v1, s29, v1
	s_waitcnt vmcnt(1)
	v_add_co_u32_e32 v46, vcc, v6, v4
	s_waitcnt vmcnt(0)
	v_addc_co_u32_e32 v47, vcc, 0, v7, vcc
	s_cselect_b64 vcc, -1, 0
	v_cndmask_b32_e32 v33, v2, v1, vcc
	s_and_b32 s44, s28, 0xff
	s_branch .LBB4_9658
.LBB4_9657:                             ;   in Loop: Header=BB4_9658 Depth=3
	s_or_b64 exec, exec, s[28:29]
	v_lshl_or_b32 v4, v40, 8, v4
	v_lshlrev_b32_e32 v8, 16, v17
	v_lshlrev_b32_e32 v9, 24, v30
	v_or3_b32 v8, v4, v8, v9
	v_lshl_or_b32 v4, v7, 8, v57
	v_lshlrev_b32_e32 v1, 16, v1
	v_lshlrev_b32_e32 v7, 24, v25
	v_or3_b32 v7, v4, v1, v7
	;; [unrolled: 4-line block ×3, first 2 shown]
	v_lshlrev_b32_e32 v1, 24, v15
	v_lshlrev_b32_e32 v4, 16, v38
	v_lshl_or_b32 v10, v34, 8, v21
	v_or3_b32 v10, v10, v4, v1
	v_lshl_or_b32 v1, v39, 8, v20
	v_lshlrev_b32_e32 v4, 16, v14
	v_lshlrev_b32_e32 v11, 24, v52
	v_or3_b32 v14, v1, v4, v11
	v_lshl_or_b32 v1, v48, 8, v35
	v_lshlrev_b32_e32 v4, 16, v49
	v_lshlrev_b32_e32 v11, 24, v51
	;; [unrolled: 4-line block ×3, first 2 shown]
	v_or3_b32 v15, v1, v4, v11
	v_lshlrev_b32_e32 v1, 24, v2
	v_lshlrev_b32_e32 v2, 16, v12
	v_lshl_or_b32 v4, v18, 8, v6
	v_or3_b32 v16, v4, v2, v1
	global_store_dwordx4 v[46:47], v[7:10], off glc slc
	global_store_dwordx4 v[46:47], v[13:16], off offset:1024 glc slc
	buffer_load_dword v2, off, s[0:3], s33 offset:108 ; 4-byte Folded Reload
	buffer_load_dword v1, off, s[0:3], s33 offset:88 ; 4-byte Folded Reload
	s_waitcnt vmcnt(1)
	v_add_co_u32_e32 v42, vcc, v42, v2
	v_addc_co_u32_e32 v43, vcc, 0, v43, vcc
	v_add_co_u32_e32 v44, vcc, v44, v2
	v_addc_co_u32_e32 v45, vcc, 0, v45, vcc
	s_waitcnt vmcnt(0)
	v_sub_u32_e32 v0, v0, v1
	v_cmp_gt_i32_e32 vcc, 1, v0
	s_or_b64 s[42:43], vcc, s[42:43]
	v_add_co_u32_e32 v46, vcc, v46, v2
	v_addc_co_u32_e32 v47, vcc, 0, v47, vcc
	s_andn2_b64 exec, exec, s[42:43]
	s_cbranch_execz .LBB4_11266
.LBB4_9658:                             ;   Parent Loop BB4_47 Depth=1
                                        ;     Parent Loop BB4_6132 Depth=2
                                        ; =>    This Inner Loop Header: Depth=3
	s_cmpk_lt_i32 s44, 0x80
	s_cbranch_scc1 .LBB4_9662
; %bb.9659:                             ;   in Loop: Header=BB4_9658 Depth=3
	s_and_b32 s45, 0xffff, s44
	s_mov_b64 s[28:29], -1
	s_cmpk_eq_i32 s45, 0x80
	s_cbranch_scc0 .LBB4_9661
; %bb.9660:                             ;   in Loop: Header=BB4_9658 Depth=3
	s_mov_b64 s[28:29], 0
.LBB4_9661:                             ;   in Loop: Header=BB4_9658 Depth=3
	s_brev_b32 s45, 1
	s_branch .LBB4_9664
.LBB4_9662:                             ;   in Loop: Header=BB4_9658 Depth=3
	s_mov_b64 s[28:29], 0
	s_brev_b32 s45, 1
	s_cbranch_execz .LBB4_9664
; %bb.9663:                             ;   in Loop: Header=BB4_9658 Depth=3
	s_and_b32 s28, 0xffff, s44
	s_cmp_lg_u32 s28, 0
	s_mov_b32 s45, 0
	s_cselect_b64 s[28:29], -1, 0
.LBB4_9664:                             ;   in Loop: Header=BB4_9658 Depth=3
	s_andn2_b64 vcc, exec, s[28:29]
	v_mov_b32_e32 v7, s45
	s_cbranch_vccnz .LBB4_9666
; %bb.9665:                             ;   in Loop: Header=BB4_9658 Depth=3
	v_mov_b32_e32 v7, v33
.LBB4_9666:                             ;   in Loop: Header=BB4_9658 Depth=3
	global_load_dwordx4 v[8:11], v[42:43], off glc slc
	v_mov_b32_e32 v1, 0
	s_waitcnt vmcnt(0)
	v_cmp_ne_u16_sdwa vcc, v8, v3 src0_sel:BYTE_0 src1_sel:DWORD
	s_and_saveexec_b64 s[28:29], vcc
	s_cbranch_execz .LBB4_9672
; %bb.9667:                             ;   in Loop: Header=BB4_9658 Depth=3
	v_cmp_ne_u16_sdwa vcc, v8, s70 src0_sel:BYTE_0 src1_sel:DWORD
	v_bfrev_b32_e32 v1, 1
	s_and_saveexec_b64 s[30:31], vcc
	s_cbranch_execz .LBB4_9671
; %bb.9668:                             ;   in Loop: Header=BB4_9658 Depth=3
	v_and_b32_e32 v2, 0x7f, v8
	v_cmp_ne_u32_e32 vcc, s68, v2
	v_mov_b32_e32 v1, 0x7f800001
	s_and_saveexec_b64 s[34:35], vcc
	s_cbranch_execz .LBB4_9670
; %bb.9669:                             ;   in Loop: Header=BB4_9658 Depth=3
	v_and_b32_e32 v1, 7, v8
	v_ffbh_u32_e32 v1, v1
	v_min_u32_e32 v1, 32, v1
	v_lshrrev_b32_e32 v4, 3, v2
	v_cmp_gt_u32_e32 vcc, 8, v2
	v_subrev_u32_e32 v2, 28, v1
	v_sub_u32_e32 v1, 29, v1
	v_cndmask_b32_e32 v4, v4, v1, vcc
	v_cndmask_b32_e32 v1, 0, v2, vcc
	v_lshlrev_b64 v[1:2], v1, v[8:9]
	v_lshlrev_b32_e32 v2, 24, v8
	v_lshlrev_b32_e32 v1, 20, v1
	v_and_b32_e32 v1, 0x700000, v1
	v_and_b32_e32 v2, 0x80000000, v2
	v_lshl_add_u32 v4, v4, 23, v5
	v_or3_b32 v1, v2, v4, v1
.LBB4_9670:                             ;   in Loop: Header=BB4_9658 Depth=3
	s_or_b64 exec, exec, s[34:35]
.LBB4_9671:                             ;   in Loop: Header=BB4_9658 Depth=3
	s_or_b64 exec, exec, s[30:31]
.LBB4_9672:                             ;   in Loop: Header=BB4_9658 Depth=3
	s_or_b64 exec, exec, s[28:29]
	v_mul_f32_e32 v6, v7, v1
	v_and_b32_e32 v2, 0x7f800000, v6
	v_cmp_ne_u64_e32 vcc, s[62:63], v[2:3]
                                        ; implicit-def: $vgpr1
	s_and_saveexec_b64 s[28:29], vcc
	s_xor_b64 s[30:31], exec, s[28:29]
	s_cbranch_execz .LBB4_9686
; %bb.9673:                             ;   in Loop: Header=BB4_9658 Depth=3
	v_and_b32_e32 v2, 0x7fffffff, v6
	v_cmp_gt_u64_e32 vcc, s[72:73], v[2:3]
	v_and_b32_sdwa v4, v6, s70 dst_sel:DWORD dst_unused:UNUSED_PAD src0_sel:BYTE_3 src1_sel:DWORD
                                        ; implicit-def: $vgpr1
	s_and_saveexec_b64 s[28:29], vcc
	s_xor_b64 s[34:35], exec, s[28:29]
	s_cbranch_execz .LBB4_9683
; %bb.9674:                             ;   in Loop: Header=BB4_9658 Depth=3
	v_mov_b32_e32 v1, 0
	v_cmp_ne_u32_e32 vcc, 0, v6
	s_and_saveexec_b64 s[36:37], vcc
	s_cbranch_execz .LBB4_9682
; %bb.9675:                             ;   in Loop: Header=BB4_9658 Depth=3
	v_bfe_u32 v1, v6, 23, 8
	v_and_b32_e32 v2, 0x7fffff, v6
	v_cmp_gt_u32_e64 s[28:29], s71, v1
	v_sub_u32_e32 v6, 0x79, v1
	v_cmp_eq_u32_e32 vcc, 0, v1
	v_cndmask_b32_e64 v6, 0, v6, s[28:29]
	v_mov_b32_e32 v13, 0x78
	v_or_b32_e32 v12, 0x800000, v2
	v_cndmask_b32_e32 v6, v6, v13, vcc
	v_cndmask_b32_e32 v2, v12, v2, vcc
	v_add_u32_e32 v12, 20, v6
	v_lshlrev_b64 v[12:13], v12, -1
	v_add_u32_e32 v14, 19, v6
	v_lshlrev_b64 v[14:15], v14, 1
	v_bfi_b32 v13, v13, 0, 0
	v_bfi_b32 v12, v12, 0, v2
	v_cmp_eq_u64_e64 s[28:29], v[12:13], v[14:15]
	v_lshrrev_b64 v[12:13], v6, v[2:3]
	v_mov_b32_e32 v14, v13
	v_mov_b32_e32 v13, v12
	s_and_saveexec_b64 s[38:39], s[28:29]
; %bb.9676:                             ;   in Loop: Header=BB4_9658 Depth=3
	v_bfe_u32 v2, v12, 20, 1
	v_add_co_u32_e64 v2, s[28:29], v12, v2
	v_add_co_u32_e64 v13, s[28:29], -1, v2
; %bb.9677:                             ;   in Loop: Header=BB4_9658 Depth=3
	s_or_b64 exec, exec, s[38:39]
	v_add_u32_e32 v1, 0xffffff81, v1
	v_mov_b32_e32 v2, 0xffffff82
	v_cndmask_b32_e32 v1, v1, v2, vcc
	v_lshrrev_b32_e32 v2, 23, v12
	v_add3_u32 v14, v6, v1, v2
	v_add_u32_e32 v6, 6, v14
	v_and_b32_e32 v1, 0xfffff, v13
	v_add_u32_e32 v2, v1, v12
	v_cmp_ne_u32_e32 vcc, 0, v6
                                        ; implicit-def: $vgpr12_vgpr13
                                        ; implicit-def: $vgpr1
	s_and_saveexec_b64 s[28:29], vcc
	s_xor_b64 s[28:29], exec, s[28:29]
; %bb.9678:                             ;   in Loop: Header=BB4_9658 Depth=3
	v_cmp_lt_u64_e32 vcc, s[74:75], v[2:3]
	v_add_u32_e32 v1, 7, v14
	v_cndmask_b32_e32 v1, v6, v1, vcc
	v_cndmask_b32_e64 v6, 0, 1, vcc
	v_lshrrev_b64 v[12:13], v6, v[2:3]
; %bb.9679:                             ;   in Loop: Header=BB4_9658 Depth=3
	s_andn2_saveexec_b64 s[28:29], s[28:29]
; %bb.9680:                             ;   in Loop: Header=BB4_9658 Depth=3
	v_mov_b32_e32 v13, v3
	v_bfe_u32 v1, v2, 23, 1
	v_mov_b32_e32 v12, v2
; %bb.9681:                             ;   in Loop: Header=BB4_9658 Depth=3
	s_or_b64 exec, exec, s[28:29]
	v_lshrrev_b64 v[12:13], 20, v[12:13]
	v_cmp_gt_i32_e32 vcc, 16, v1
	v_cndmask_b32_e32 v13, 0, v13, vcc
	v_cndmask_b32_e32 v12, 7, v12, vcc
	v_cmp_eq_u32_e32 vcc, 0, v1
	v_min_i32_e32 v1, 15, v1
	v_cmp_eq_u64_e64 s[28:29], 0, v[12:13]
	v_lshlrev_b32_e32 v1, 3, v1
	v_and_b32_e32 v1, 0xf8, v1
	v_and_or_b32 v1, v12, 7, v1
	s_and_b64 s[28:29], vcc, s[28:29]
	v_cndmask_b32_e64 v1, v1, 0, s[28:29]
	v_or_b32_e32 v1, v1, v4
.LBB4_9682:                             ;   in Loop: Header=BB4_9658 Depth=3
	s_or_b64 exec, exec, s[36:37]
                                        ; implicit-def: $vgpr4
.LBB4_9683:                             ;   in Loop: Header=BB4_9658 Depth=3
	s_andn2_saveexec_b64 s[28:29], s[34:35]
; %bb.9684:                             ;   in Loop: Header=BB4_9658 Depth=3
	v_or_b32_e32 v1, 0x7e, v4
; %bb.9685:                             ;   in Loop: Header=BB4_9658 Depth=3
	s_or_b64 exec, exec, s[28:29]
                                        ; implicit-def: $vgpr6
.LBB4_9686:                             ;   in Loop: Header=BB4_9658 Depth=3
	s_andn2_saveexec_b64 s[28:29], s[30:31]
; %bb.9687:                             ;   in Loop: Header=BB4_9658 Depth=3
	v_or_b32_sdwa v1, v6, s68 dst_sel:DWORD dst_unused:UNUSED_PAD src0_sel:BYTE_3 src1_sel:DWORD
; %bb.9688:                             ;   in Loop: Header=BB4_9658 Depth=3
	s_or_b64 exec, exec, s[28:29]
	v_lshrrev_b16_e32 v2, 8, v8
	v_cmp_ne_u16_e32 vcc, 0, v2
	v_mov_b32_e32 v4, 0
	s_and_saveexec_b64 s[28:29], vcc
	s_cbranch_execz .LBB4_9694
; %bb.9689:                             ;   in Loop: Header=BB4_9658 Depth=3
	v_cmp_ne_u16_e32 vcc, s70, v2
	v_bfrev_b32_e32 v4, 1
	s_and_saveexec_b64 s[30:31], vcc
	s_cbranch_execz .LBB4_9693
; %bb.9690:                             ;   in Loop: Header=BB4_9658 Depth=3
	v_and_b32_e32 v6, 0x7f, v2
	v_cmp_ne_u32_e32 vcc, s68, v6
	v_mov_b32_e32 v4, 0x7f800001
	s_and_saveexec_b64 s[34:35], vcc
	s_cbranch_execz .LBB4_9692
; %bb.9691:                             ;   in Loop: Header=BB4_9658 Depth=3
	v_and_b32_e32 v4, 7, v2
	v_lshrrev_b32_e32 v14, 3, v6
	v_cmp_gt_u32_e32 vcc, 8, v6
	v_ffbh_u32_e32 v6, v4
	v_min_u32_e32 v6, 32, v6
	v_subrev_u32_e32 v12, 28, v6
	v_lshlrev_b64 v[12:13], v12, v[2:3]
	v_sub_u32_e32 v2, 29, v6
	v_and_b32_e32 v6, 7, v12
	v_cndmask_b32_e32 v2, v14, v2, vcc
	v_cndmask_b32_e32 v4, v4, v6, vcc
	v_lshlrev_b32_e32 v6, 16, v8
	v_lshlrev_b32_e32 v4, 20, v4
	v_and_b32_e32 v6, 0x80000000, v6
	v_lshl_add_u32 v2, v2, 23, v5
	v_or3_b32 v4, v6, v2, v4
.LBB4_9692:                             ;   in Loop: Header=BB4_9658 Depth=3
	s_or_b64 exec, exec, s[34:35]
.LBB4_9693:                             ;   in Loop: Header=BB4_9658 Depth=3
	s_or_b64 exec, exec, s[30:31]
.LBB4_9694:                             ;   in Loop: Header=BB4_9658 Depth=3
	s_or_b64 exec, exec, s[28:29]
	v_mul_f32_e32 v6, v7, v4
	v_and_b32_e32 v2, 0x7f800000, v6
	v_cmp_ne_u64_e32 vcc, s[62:63], v[2:3]
                                        ; implicit-def: $vgpr25
	s_and_saveexec_b64 s[28:29], vcc
	s_xor_b64 s[30:31], exec, s[28:29]
	s_cbranch_execz .LBB4_9708
; %bb.9695:                             ;   in Loop: Header=BB4_9658 Depth=3
	v_and_b32_e32 v2, 0x7fffffff, v6
	v_cmp_gt_u64_e32 vcc, s[72:73], v[2:3]
	v_and_b32_sdwa v4, v6, s70 dst_sel:DWORD dst_unused:UNUSED_PAD src0_sel:BYTE_3 src1_sel:DWORD
                                        ; implicit-def: $vgpr25
	s_and_saveexec_b64 s[28:29], vcc
	s_xor_b64 s[34:35], exec, s[28:29]
	s_cbranch_execz .LBB4_9705
; %bb.9696:                             ;   in Loop: Header=BB4_9658 Depth=3
	v_mov_b32_e32 v25, 0
	v_cmp_ne_u32_e32 vcc, 0, v6
	s_and_saveexec_b64 s[36:37], vcc
	s_cbranch_execz .LBB4_9704
; %bb.9697:                             ;   in Loop: Header=BB4_9658 Depth=3
	v_and_b32_e32 v2, 0x7fffff, v6
	v_bfe_u32 v6, v6, 23, 8
	v_cmp_gt_u32_e64 s[28:29], s71, v6
	v_sub_u32_e32 v12, 0x79, v6
	v_cmp_eq_u32_e32 vcc, 0, v6
	v_cndmask_b32_e64 v12, 0, v12, s[28:29]
	v_mov_b32_e32 v14, 0x78
	v_cndmask_b32_e32 v15, v12, v14, vcc
	v_or_b32_e32 v13, 0x800000, v2
	v_add_u32_e32 v12, 20, v15
	v_cndmask_b32_e32 v2, v13, v2, vcc
	v_lshlrev_b64 v[12:13], v12, -1
	v_add_u32_e32 v14, 19, v15
	v_lshlrev_b64 v[16:17], v14, 1
	v_bfi_b32 v13, v13, 0, 0
	v_bfi_b32 v12, v12, 0, v2
	v_cmp_eq_u64_e64 s[28:29], v[12:13], v[16:17]
	v_lshrrev_b64 v[12:13], v15, v[2:3]
	v_mov_b32_e32 v14, v13
	v_mov_b32_e32 v13, v12
	s_and_saveexec_b64 s[38:39], s[28:29]
; %bb.9698:                             ;   in Loop: Header=BB4_9658 Depth=3
	v_bfe_u32 v2, v12, 20, 1
	v_add_co_u32_e64 v2, s[28:29], v12, v2
	v_add_co_u32_e64 v13, s[28:29], -1, v2
; %bb.9699:                             ;   in Loop: Header=BB4_9658 Depth=3
	s_or_b64 exec, exec, s[38:39]
	v_add_u32_e32 v2, 0xffffff81, v6
	v_mov_b32_e32 v6, 0xffffff82
	v_cndmask_b32_e32 v2, v2, v6, vcc
	v_lshrrev_b32_e32 v6, 23, v12
	v_add3_u32 v15, v15, v2, v6
	v_add_u32_e32 v14, 6, v15
	v_and_b32_e32 v2, 0xfffff, v13
	v_add_u32_e32 v2, v2, v12
	v_cmp_ne_u32_e32 vcc, 0, v14
                                        ; implicit-def: $vgpr12_vgpr13
                                        ; implicit-def: $vgpr6
	s_and_saveexec_b64 s[28:29], vcc
	s_xor_b64 s[28:29], exec, s[28:29]
; %bb.9700:                             ;   in Loop: Header=BB4_9658 Depth=3
	v_cmp_lt_u64_e32 vcc, s[74:75], v[2:3]
	v_add_u32_e32 v6, 7, v15
	v_cndmask_b32_e64 v12, 0, 1, vcc
	v_cndmask_b32_e32 v6, v14, v6, vcc
	v_lshrrev_b64 v[12:13], v12, v[2:3]
; %bb.9701:                             ;   in Loop: Header=BB4_9658 Depth=3
	s_andn2_saveexec_b64 s[28:29], s[28:29]
; %bb.9702:                             ;   in Loop: Header=BB4_9658 Depth=3
	v_mov_b32_e32 v13, v3
	v_bfe_u32 v6, v2, 23, 1
	v_mov_b32_e32 v12, v2
; %bb.9703:                             ;   in Loop: Header=BB4_9658 Depth=3
	s_or_b64 exec, exec, s[28:29]
	v_lshrrev_b64 v[12:13], 20, v[12:13]
	v_cmp_gt_i32_e32 vcc, 16, v6
	v_cndmask_b32_e32 v13, 0, v13, vcc
	v_cndmask_b32_e32 v12, 7, v12, vcc
	v_min_i32_e32 v2, 15, v6
	v_cmp_eq_u64_e64 s[28:29], 0, v[12:13]
	v_lshlrev_b32_e32 v2, 3, v2
	v_cmp_eq_u32_e32 vcc, 0, v6
	v_and_b32_e32 v2, 0xf8, v2
	v_and_or_b32 v2, v12, 7, v2
	s_and_b64 s[28:29], vcc, s[28:29]
	v_cndmask_b32_e64 v2, v2, 0, s[28:29]
	v_or_b32_e32 v25, v2, v4
.LBB4_9704:                             ;   in Loop: Header=BB4_9658 Depth=3
	s_or_b64 exec, exec, s[36:37]
                                        ; implicit-def: $vgpr4
.LBB4_9705:                             ;   in Loop: Header=BB4_9658 Depth=3
	s_andn2_saveexec_b64 s[28:29], s[34:35]
; %bb.9706:                             ;   in Loop: Header=BB4_9658 Depth=3
	v_or_b32_e32 v25, 0x7e, v4
; %bb.9707:                             ;   in Loop: Header=BB4_9658 Depth=3
	s_or_b64 exec, exec, s[28:29]
                                        ; implicit-def: $vgpr6
.LBB4_9708:                             ;   in Loop: Header=BB4_9658 Depth=3
	s_andn2_saveexec_b64 s[28:29], s[30:31]
; %bb.9709:                             ;   in Loop: Header=BB4_9658 Depth=3
	v_or_b32_sdwa v25, v6, s68 dst_sel:DWORD dst_unused:UNUSED_PAD src0_sel:BYTE_3 src1_sel:DWORD
; %bb.9710:                             ;   in Loop: Header=BB4_9658 Depth=3
	s_or_b64 exec, exec, s[28:29]
	v_lshrrev_b32_e32 v2, 16, v8
	v_cmp_ne_u16_sdwa vcc, v2, v3 src0_sel:BYTE_0 src1_sel:DWORD
	v_mov_b32_e32 v4, 0
	s_and_saveexec_b64 s[28:29], vcc
	s_cbranch_execz .LBB4_9716
; %bb.9711:                             ;   in Loop: Header=BB4_9658 Depth=3
	v_cmp_ne_u16_sdwa vcc, v2, s70 src0_sel:BYTE_0 src1_sel:DWORD
	v_bfrev_b32_e32 v4, 1
	s_and_saveexec_b64 s[30:31], vcc
	s_cbranch_execz .LBB4_9715
; %bb.9712:                             ;   in Loop: Header=BB4_9658 Depth=3
	v_bfe_u32 v6, v8, 16, 7
	v_cmp_ne_u32_e32 vcc, s68, v6
	v_mov_b32_e32 v4, 0x7f800001
	s_and_saveexec_b64 s[34:35], vcc
	s_cbranch_execz .LBB4_9714
; %bb.9713:                             ;   in Loop: Header=BB4_9658 Depth=3
	v_and_b32_e32 v4, 7, v2
	v_lshrrev_b32_e32 v14, 3, v6
	v_cmp_gt_u32_e32 vcc, 8, v6
	v_ffbh_u32_e32 v6, v4
	v_min_u32_e32 v6, 32, v6
	v_subrev_u32_e32 v12, 28, v6
	v_lshlrev_b64 v[12:13], v12, v[2:3]
	v_sub_u32_e32 v6, 29, v6
	v_and_b32_e32 v12, 7, v12
	v_cndmask_b32_e32 v6, v14, v6, vcc
	v_cndmask_b32_e32 v4, v4, v12, vcc
	v_lshlrev_b32_e32 v2, 24, v2
	v_lshlrev_b32_e32 v4, 20, v4
	v_and_b32_e32 v2, 0x80000000, v2
	v_lshl_add_u32 v6, v6, 23, v5
	v_or3_b32 v4, v2, v6, v4
.LBB4_9714:                             ;   in Loop: Header=BB4_9658 Depth=3
	s_or_b64 exec, exec, s[34:35]
.LBB4_9715:                             ;   in Loop: Header=BB4_9658 Depth=3
	s_or_b64 exec, exec, s[30:31]
.LBB4_9716:                             ;   in Loop: Header=BB4_9658 Depth=3
	s_or_b64 exec, exec, s[28:29]
	v_mul_f32_e32 v6, v7, v4
	v_and_b32_e32 v2, 0x7f800000, v6
	v_cmp_ne_u64_e32 vcc, s[62:63], v[2:3]
                                        ; implicit-def: $vgpr26
	s_and_saveexec_b64 s[28:29], vcc
	s_xor_b64 s[30:31], exec, s[28:29]
	s_cbranch_execz .LBB4_9730
; %bb.9717:                             ;   in Loop: Header=BB4_9658 Depth=3
	v_and_b32_e32 v2, 0x7fffffff, v6
	v_cmp_gt_u64_e32 vcc, s[72:73], v[2:3]
	v_and_b32_sdwa v4, v6, s70 dst_sel:DWORD dst_unused:UNUSED_PAD src0_sel:BYTE_3 src1_sel:DWORD
                                        ; implicit-def: $vgpr26
	s_and_saveexec_b64 s[28:29], vcc
	s_xor_b64 s[34:35], exec, s[28:29]
	s_cbranch_execz .LBB4_9727
; %bb.9718:                             ;   in Loop: Header=BB4_9658 Depth=3
	v_mov_b32_e32 v26, 0
	v_cmp_ne_u32_e32 vcc, 0, v6
	s_and_saveexec_b64 s[36:37], vcc
	s_cbranch_execz .LBB4_9726
; %bb.9719:                             ;   in Loop: Header=BB4_9658 Depth=3
	v_and_b32_e32 v2, 0x7fffff, v6
	v_bfe_u32 v6, v6, 23, 8
	v_cmp_gt_u32_e64 s[28:29], s71, v6
	v_sub_u32_e32 v12, 0x79, v6
	v_cmp_eq_u32_e32 vcc, 0, v6
	v_cndmask_b32_e64 v12, 0, v12, s[28:29]
	v_mov_b32_e32 v14, 0x78
	v_cndmask_b32_e32 v15, v12, v14, vcc
	v_or_b32_e32 v13, 0x800000, v2
	v_add_u32_e32 v12, 20, v15
	v_cndmask_b32_e32 v2, v13, v2, vcc
	v_lshlrev_b64 v[12:13], v12, -1
	v_add_u32_e32 v14, 19, v15
	v_lshlrev_b64 v[16:17], v14, 1
	v_bfi_b32 v13, v13, 0, 0
	v_bfi_b32 v12, v12, 0, v2
	v_cmp_eq_u64_e64 s[28:29], v[12:13], v[16:17]
	v_lshrrev_b64 v[12:13], v15, v[2:3]
	v_mov_b32_e32 v14, v13
	v_mov_b32_e32 v13, v12
	s_and_saveexec_b64 s[38:39], s[28:29]
; %bb.9720:                             ;   in Loop: Header=BB4_9658 Depth=3
	v_bfe_u32 v2, v12, 20, 1
	v_add_co_u32_e64 v2, s[28:29], v12, v2
	v_add_co_u32_e64 v13, s[28:29], -1, v2
; %bb.9721:                             ;   in Loop: Header=BB4_9658 Depth=3
	s_or_b64 exec, exec, s[38:39]
	v_add_u32_e32 v2, 0xffffff81, v6
	v_mov_b32_e32 v6, 0xffffff82
	v_cndmask_b32_e32 v2, v2, v6, vcc
	v_lshrrev_b32_e32 v6, 23, v12
	v_add3_u32 v15, v15, v2, v6
	v_add_u32_e32 v14, 6, v15
	v_and_b32_e32 v2, 0xfffff, v13
	v_add_u32_e32 v2, v2, v12
	v_cmp_ne_u32_e32 vcc, 0, v14
                                        ; implicit-def: $vgpr12_vgpr13
                                        ; implicit-def: $vgpr6
	s_and_saveexec_b64 s[28:29], vcc
	s_xor_b64 s[28:29], exec, s[28:29]
; %bb.9722:                             ;   in Loop: Header=BB4_9658 Depth=3
	v_cmp_lt_u64_e32 vcc, s[74:75], v[2:3]
	v_add_u32_e32 v6, 7, v15
	v_cndmask_b32_e64 v12, 0, 1, vcc
	v_cndmask_b32_e32 v6, v14, v6, vcc
	v_lshrrev_b64 v[12:13], v12, v[2:3]
; %bb.9723:                             ;   in Loop: Header=BB4_9658 Depth=3
	s_andn2_saveexec_b64 s[28:29], s[28:29]
; %bb.9724:                             ;   in Loop: Header=BB4_9658 Depth=3
	v_mov_b32_e32 v13, v3
	v_bfe_u32 v6, v2, 23, 1
	v_mov_b32_e32 v12, v2
; %bb.9725:                             ;   in Loop: Header=BB4_9658 Depth=3
	s_or_b64 exec, exec, s[28:29]
	v_lshrrev_b64 v[12:13], 20, v[12:13]
	v_cmp_gt_i32_e32 vcc, 16, v6
	v_cndmask_b32_e32 v13, 0, v13, vcc
	v_cndmask_b32_e32 v12, 7, v12, vcc
	v_min_i32_e32 v2, 15, v6
	v_cmp_eq_u64_e64 s[28:29], 0, v[12:13]
	v_lshlrev_b32_e32 v2, 3, v2
	v_cmp_eq_u32_e32 vcc, 0, v6
	v_and_b32_e32 v2, 0xf8, v2
	v_and_or_b32 v2, v12, 7, v2
	s_and_b64 s[28:29], vcc, s[28:29]
	v_cndmask_b32_e64 v2, v2, 0, s[28:29]
	v_or_b32_e32 v26, v2, v4
.LBB4_9726:                             ;   in Loop: Header=BB4_9658 Depth=3
	s_or_b64 exec, exec, s[36:37]
                                        ; implicit-def: $vgpr4
.LBB4_9727:                             ;   in Loop: Header=BB4_9658 Depth=3
	s_andn2_saveexec_b64 s[28:29], s[34:35]
; %bb.9728:                             ;   in Loop: Header=BB4_9658 Depth=3
	v_or_b32_e32 v26, 0x7e, v4
; %bb.9729:                             ;   in Loop: Header=BB4_9658 Depth=3
	s_or_b64 exec, exec, s[28:29]
                                        ; implicit-def: $vgpr6
.LBB4_9730:                             ;   in Loop: Header=BB4_9658 Depth=3
	s_andn2_saveexec_b64 s[28:29], s[30:31]
; %bb.9731:                             ;   in Loop: Header=BB4_9658 Depth=3
	v_or_b32_sdwa v26, v6, s68 dst_sel:DWORD dst_unused:UNUSED_PAD src0_sel:BYTE_3 src1_sel:DWORD
; %bb.9732:                             ;   in Loop: Header=BB4_9658 Depth=3
	s_or_b64 exec, exec, s[28:29]
	v_cmp_lt_u32_e32 vcc, s57, v8
	v_mov_b32_e32 v4, 0
	s_and_saveexec_b64 s[28:29], vcc
	s_cbranch_execz .LBB4_9738
; %bb.9733:                             ;   in Loop: Header=BB4_9658 Depth=3
	v_lshrrev_b32_e32 v2, 24, v8
	v_cmp_ne_u32_e32 vcc, s70, v2
	v_bfrev_b32_e32 v4, 1
	s_and_saveexec_b64 s[30:31], vcc
	s_cbranch_execz .LBB4_9737
; %bb.9734:                             ;   in Loop: Header=BB4_9658 Depth=3
	v_bfe_u32 v6, v8, 24, 7
	v_cmp_ne_u32_e32 vcc, s68, v6
	v_mov_b32_e32 v4, 0x7f800001
	s_and_saveexec_b64 s[34:35], vcc
	s_cbranch_execz .LBB4_9736
; %bb.9735:                             ;   in Loop: Header=BB4_9658 Depth=3
	v_and_b32_e32 v4, 7, v2
	v_lshrrev_b32_e32 v14, 3, v6
	v_cmp_gt_u32_e32 vcc, 8, v6
	v_ffbh_u32_e32 v6, v4
	v_min_u32_e32 v6, 32, v6
	v_subrev_u32_e32 v12, 28, v6
	v_lshlrev_b64 v[12:13], v12, v[2:3]
	v_sub_u32_e32 v6, 29, v6
	v_and_b32_e32 v12, 7, v12
	v_cndmask_b32_e32 v6, v14, v6, vcc
	v_cndmask_b32_e32 v4, v4, v12, vcc
	v_lshlrev_b32_e32 v2, 24, v2
	v_lshlrev_b32_e32 v4, 20, v4
	v_and_b32_e32 v2, 0x80000000, v2
	v_lshl_add_u32 v6, v6, 23, v5
	v_or3_b32 v4, v2, v6, v4
.LBB4_9736:                             ;   in Loop: Header=BB4_9658 Depth=3
	s_or_b64 exec, exec, s[34:35]
.LBB4_9737:                             ;   in Loop: Header=BB4_9658 Depth=3
	s_or_b64 exec, exec, s[30:31]
.LBB4_9738:                             ;   in Loop: Header=BB4_9658 Depth=3
	s_or_b64 exec, exec, s[28:29]
	v_mul_f32_e32 v6, v7, v4
	v_and_b32_e32 v2, 0x7f800000, v6
	v_cmp_ne_u64_e32 vcc, s[62:63], v[2:3]
                                        ; implicit-def: $vgpr28
	s_and_saveexec_b64 s[28:29], vcc
	s_xor_b64 s[30:31], exec, s[28:29]
	s_cbranch_execz .LBB4_9752
; %bb.9739:                             ;   in Loop: Header=BB4_9658 Depth=3
	v_and_b32_e32 v2, 0x7fffffff, v6
	v_cmp_gt_u64_e32 vcc, s[72:73], v[2:3]
	v_and_b32_sdwa v4, v6, s70 dst_sel:DWORD dst_unused:UNUSED_PAD src0_sel:BYTE_3 src1_sel:DWORD
                                        ; implicit-def: $vgpr28
	s_and_saveexec_b64 s[28:29], vcc
	s_xor_b64 s[34:35], exec, s[28:29]
	s_cbranch_execz .LBB4_9749
; %bb.9740:                             ;   in Loop: Header=BB4_9658 Depth=3
	v_mov_b32_e32 v28, 0
	v_cmp_ne_u32_e32 vcc, 0, v6
	s_and_saveexec_b64 s[36:37], vcc
	s_cbranch_execz .LBB4_9748
; %bb.9741:                             ;   in Loop: Header=BB4_9658 Depth=3
	v_and_b32_e32 v2, 0x7fffff, v6
	v_bfe_u32 v6, v6, 23, 8
	v_cmp_gt_u32_e64 s[28:29], s71, v6
	v_sub_u32_e32 v12, 0x79, v6
	v_cmp_eq_u32_e32 vcc, 0, v6
	v_cndmask_b32_e64 v12, 0, v12, s[28:29]
	v_mov_b32_e32 v14, 0x78
	v_cndmask_b32_e32 v15, v12, v14, vcc
	v_or_b32_e32 v13, 0x800000, v2
	v_add_u32_e32 v12, 20, v15
	v_cndmask_b32_e32 v2, v13, v2, vcc
	v_lshlrev_b64 v[12:13], v12, -1
	v_add_u32_e32 v14, 19, v15
	v_lshlrev_b64 v[16:17], v14, 1
	v_bfi_b32 v13, v13, 0, 0
	v_bfi_b32 v12, v12, 0, v2
	v_cmp_eq_u64_e64 s[28:29], v[12:13], v[16:17]
	v_lshrrev_b64 v[12:13], v15, v[2:3]
	v_mov_b32_e32 v14, v13
	v_mov_b32_e32 v13, v12
	s_and_saveexec_b64 s[38:39], s[28:29]
; %bb.9742:                             ;   in Loop: Header=BB4_9658 Depth=3
	v_bfe_u32 v2, v12, 20, 1
	v_add_co_u32_e64 v2, s[28:29], v12, v2
	v_add_co_u32_e64 v13, s[28:29], -1, v2
; %bb.9743:                             ;   in Loop: Header=BB4_9658 Depth=3
	s_or_b64 exec, exec, s[38:39]
	v_add_u32_e32 v2, 0xffffff81, v6
	v_mov_b32_e32 v6, 0xffffff82
	v_cndmask_b32_e32 v2, v2, v6, vcc
	v_lshrrev_b32_e32 v6, 23, v12
	v_add3_u32 v15, v15, v2, v6
	v_add_u32_e32 v14, 6, v15
	v_and_b32_e32 v2, 0xfffff, v13
	v_add_u32_e32 v2, v2, v12
	v_cmp_ne_u32_e32 vcc, 0, v14
                                        ; implicit-def: $vgpr12_vgpr13
                                        ; implicit-def: $vgpr6
	s_and_saveexec_b64 s[28:29], vcc
	s_xor_b64 s[28:29], exec, s[28:29]
; %bb.9744:                             ;   in Loop: Header=BB4_9658 Depth=3
	v_cmp_lt_u64_e32 vcc, s[74:75], v[2:3]
	v_add_u32_e32 v6, 7, v15
	v_cndmask_b32_e64 v12, 0, 1, vcc
	v_cndmask_b32_e32 v6, v14, v6, vcc
	v_lshrrev_b64 v[12:13], v12, v[2:3]
; %bb.9745:                             ;   in Loop: Header=BB4_9658 Depth=3
	s_andn2_saveexec_b64 s[28:29], s[28:29]
; %bb.9746:                             ;   in Loop: Header=BB4_9658 Depth=3
	v_mov_b32_e32 v13, v3
	v_bfe_u32 v6, v2, 23, 1
	v_mov_b32_e32 v12, v2
; %bb.9747:                             ;   in Loop: Header=BB4_9658 Depth=3
	s_or_b64 exec, exec, s[28:29]
	v_lshrrev_b64 v[12:13], 20, v[12:13]
	v_cmp_gt_i32_e32 vcc, 16, v6
	v_cndmask_b32_e32 v13, 0, v13, vcc
	v_cndmask_b32_e32 v12, 7, v12, vcc
	v_min_i32_e32 v2, 15, v6
	v_cmp_eq_u64_e64 s[28:29], 0, v[12:13]
	v_lshlrev_b32_e32 v2, 3, v2
	v_cmp_eq_u32_e32 vcc, 0, v6
	v_and_b32_e32 v2, 0xf8, v2
	v_and_or_b32 v2, v12, 7, v2
	s_and_b64 s[28:29], vcc, s[28:29]
	v_cndmask_b32_e64 v2, v2, 0, s[28:29]
	v_or_b32_e32 v28, v2, v4
.LBB4_9748:                             ;   in Loop: Header=BB4_9658 Depth=3
	s_or_b64 exec, exec, s[36:37]
                                        ; implicit-def: $vgpr4
.LBB4_9749:                             ;   in Loop: Header=BB4_9658 Depth=3
	s_andn2_saveexec_b64 s[28:29], s[34:35]
; %bb.9750:                             ;   in Loop: Header=BB4_9658 Depth=3
	v_or_b32_e32 v28, 0x7e, v4
; %bb.9751:                             ;   in Loop: Header=BB4_9658 Depth=3
	s_or_b64 exec, exec, s[28:29]
                                        ; implicit-def: $vgpr6
.LBB4_9752:                             ;   in Loop: Header=BB4_9658 Depth=3
	s_andn2_saveexec_b64 s[28:29], s[30:31]
; %bb.9753:                             ;   in Loop: Header=BB4_9658 Depth=3
	v_or_b32_sdwa v28, v6, s68 dst_sel:DWORD dst_unused:UNUSED_PAD src0_sel:BYTE_3 src1_sel:DWORD
; %bb.9754:                             ;   in Loop: Header=BB4_9658 Depth=3
	s_or_b64 exec, exec, s[28:29]
	v_mov_b32_e32 v2, v9
	v_cmp_ne_u16_sdwa vcc, v9, v3 src0_sel:BYTE_0 src1_sel:DWORD
	v_mov_b32_e32 v4, 0
	s_and_saveexec_b64 s[28:29], vcc
	s_cbranch_execz .LBB4_9760
; %bb.9755:                             ;   in Loop: Header=BB4_9658 Depth=3
	v_cmp_ne_u16_sdwa vcc, v9, s70 src0_sel:BYTE_0 src1_sel:DWORD
	v_bfrev_b32_e32 v4, 1
	s_and_saveexec_b64 s[30:31], vcc
	s_cbranch_execz .LBB4_9759
; %bb.9756:                             ;   in Loop: Header=BB4_9658 Depth=3
	v_and_b32_e32 v6, 0x7f, v9
	v_cmp_ne_u32_e32 vcc, s68, v6
	v_mov_b32_e32 v4, 0x7f800001
	s_and_saveexec_b64 s[34:35], vcc
	s_cbranch_execz .LBB4_9758
; %bb.9757:                             ;   in Loop: Header=BB4_9658 Depth=3
	v_and_b32_e32 v4, 7, v9
	v_ffbh_u32_e32 v4, v4
	v_min_u32_e32 v4, 32, v4
	v_lshrrev_b32_e32 v12, 3, v6
	v_cmp_gt_u32_e32 vcc, 8, v6
	v_subrev_u32_e32 v6, 28, v4
	v_sub_u32_e32 v4, 29, v4
	v_cndmask_b32_e32 v6, 0, v6, vcc
	v_cndmask_b32_e32 v4, v12, v4, vcc
	v_lshlrev_b64 v[12:13], v6, v[2:3]
	v_lshl_add_u32 v4, v4, 23, v5
	v_lshlrev_b32_e32 v6, 20, v12
	v_lshlrev_b32_e32 v12, 24, v2
	v_and_b32_e32 v6, 0x700000, v6
	v_and_b32_e32 v12, 0x80000000, v12
	v_or3_b32 v4, v12, v4, v6
.LBB4_9758:                             ;   in Loop: Header=BB4_9658 Depth=3
	s_or_b64 exec, exec, s[34:35]
.LBB4_9759:                             ;   in Loop: Header=BB4_9658 Depth=3
	s_or_b64 exec, exec, s[30:31]
.LBB4_9760:                             ;   in Loop: Header=BB4_9658 Depth=3
	s_or_b64 exec, exec, s[28:29]
	v_mul_f32_e32 v12, v7, v4
	v_and_b32_e32 v13, 0x7f800000, v12
	v_mov_b32_e32 v14, v3
	v_cmp_ne_u64_e32 vcc, s[62:63], v[13:14]
                                        ; implicit-def: $vgpr4
	s_and_saveexec_b64 s[28:29], vcc
	s_xor_b64 s[30:31], exec, s[28:29]
	s_cbranch_execz .LBB4_9774
; %bb.9761:                             ;   in Loop: Header=BB4_9658 Depth=3
	v_and_b32_e32 v13, 0x7fffffff, v12
	v_mov_b32_e32 v14, v3
	v_cmp_gt_u64_e32 vcc, s[72:73], v[13:14]
	v_and_b32_sdwa v6, v12, s70 dst_sel:DWORD dst_unused:UNUSED_PAD src0_sel:BYTE_3 src1_sel:DWORD
                                        ; implicit-def: $vgpr4
	s_and_saveexec_b64 s[28:29], vcc
	s_xor_b64 s[34:35], exec, s[28:29]
	s_cbranch_execz .LBB4_9771
; %bb.9762:                             ;   in Loop: Header=BB4_9658 Depth=3
	v_mov_b32_e32 v4, 0
	v_cmp_ne_u32_e32 vcc, 0, v12
	s_and_saveexec_b64 s[36:37], vcc
	s_cbranch_execz .LBB4_9770
; %bb.9763:                             ;   in Loop: Header=BB4_9658 Depth=3
	v_bfe_u32 v4, v12, 23, 8
	v_and_b32_e32 v13, 0x7fffff, v12
	v_cmp_gt_u32_e64 s[28:29], s71, v4
	v_sub_u32_e32 v12, 0x79, v4
	v_cmp_eq_u32_e32 vcc, 0, v4
	v_cndmask_b32_e64 v12, 0, v12, s[28:29]
	v_mov_b32_e32 v15, 0x78
	v_or_b32_e32 v14, 0x800000, v13
	v_cndmask_b32_e32 v15, v12, v15, vcc
	v_cndmask_b32_e32 v12, v14, v13, vcc
	v_add_u32_e32 v14, 20, v15
	v_lshlrev_b64 v[16:17], v14, -1
	v_mov_b32_e32 v13, v3
	v_add_u32_e32 v14, 19, v15
	v_bfi_b32 v16, v16, 0, v12
	v_lshlrev_b64 v[20:21], v14, 1
	v_lshrrev_b64 v[12:13], v15, v[12:13]
	v_bfi_b32 v17, v17, 0, 0
	v_cmp_eq_u64_e64 s[28:29], v[16:17], v[20:21]
	v_mov_b32_e32 v14, v13
	v_mov_b32_e32 v13, v12
	s_and_saveexec_b64 s[38:39], s[28:29]
; %bb.9764:                             ;   in Loop: Header=BB4_9658 Depth=3
	v_bfe_u32 v13, v12, 20, 1
	v_add_co_u32_e64 v13, s[28:29], v12, v13
	v_add_co_u32_e64 v13, s[28:29], -1, v13
; %bb.9765:                             ;   in Loop: Header=BB4_9658 Depth=3
	s_or_b64 exec, exec, s[38:39]
	v_add_u32_e32 v4, 0xffffff81, v4
	v_mov_b32_e32 v14, 0xffffff82
	v_cndmask_b32_e32 v4, v4, v14, vcc
	v_lshrrev_b32_e32 v14, 23, v12
	v_add3_u32 v15, v15, v4, v14
	v_add_u32_e32 v14, 6, v15
	v_and_b32_e32 v4, 0xfffff, v13
	v_add_u32_e32 v12, v4, v12
	v_mov_b32_e32 v13, v3
	v_cmp_ne_u32_e32 vcc, 0, v14
                                        ; implicit-def: $vgpr4
	s_and_saveexec_b64 s[28:29], vcc
	s_xor_b64 s[28:29], exec, s[28:29]
; %bb.9766:                             ;   in Loop: Header=BB4_9658 Depth=3
	v_cmp_lt_u64_e32 vcc, s[74:75], v[12:13]
	v_add_u32_e32 v4, 7, v15
	v_cndmask_b32_e32 v4, v14, v4, vcc
	v_cndmask_b32_e64 v14, 0, 1, vcc
	v_lshrrev_b64 v[12:13], v14, v[12:13]
; %bb.9767:                             ;   in Loop: Header=BB4_9658 Depth=3
	s_andn2_saveexec_b64 s[28:29], s[28:29]
; %bb.9768:                             ;   in Loop: Header=BB4_9658 Depth=3
	v_bfe_u32 v4, v12, 23, 1
; %bb.9769:                             ;   in Loop: Header=BB4_9658 Depth=3
	s_or_b64 exec, exec, s[28:29]
	v_lshrrev_b64 v[12:13], 20, v[12:13]
	v_cmp_gt_i32_e32 vcc, 16, v4
	v_cndmask_b32_e32 v13, 0, v13, vcc
	v_cndmask_b32_e32 v12, 7, v12, vcc
	v_cmp_eq_u32_e32 vcc, 0, v4
	v_min_i32_e32 v4, 15, v4
	v_cmp_eq_u64_e64 s[28:29], 0, v[12:13]
	v_lshlrev_b32_e32 v4, 3, v4
	v_and_b32_e32 v4, 0xf8, v4
	v_and_or_b32 v4, v12, 7, v4
	s_and_b64 s[28:29], vcc, s[28:29]
	v_cndmask_b32_e64 v4, v4, 0, s[28:29]
	v_or_b32_e32 v4, v4, v6
.LBB4_9770:                             ;   in Loop: Header=BB4_9658 Depth=3
	s_or_b64 exec, exec, s[36:37]
                                        ; implicit-def: $vgpr6
.LBB4_9771:                             ;   in Loop: Header=BB4_9658 Depth=3
	s_andn2_saveexec_b64 s[28:29], s[34:35]
; %bb.9772:                             ;   in Loop: Header=BB4_9658 Depth=3
	v_or_b32_e32 v4, 0x7e, v6
; %bb.9773:                             ;   in Loop: Header=BB4_9658 Depth=3
	s_or_b64 exec, exec, s[28:29]
                                        ; implicit-def: $vgpr12
.LBB4_9774:                             ;   in Loop: Header=BB4_9658 Depth=3
	s_andn2_saveexec_b64 s[28:29], s[30:31]
; %bb.9775:                             ;   in Loop: Header=BB4_9658 Depth=3
	v_or_b32_sdwa v4, v12, s68 dst_sel:DWORD dst_unused:UNUSED_PAD src0_sel:BYTE_3 src1_sel:DWORD
; %bb.9776:                             ;   in Loop: Header=BB4_9658 Depth=3
	s_or_b64 exec, exec, s[28:29]
	v_lshrrev_b16_e32 v12, 8, v2
	v_cmp_ne_u16_e32 vcc, 0, v12
	v_mov_b32_e32 v6, 0
	s_and_saveexec_b64 s[28:29], vcc
	s_cbranch_execz .LBB4_9782
; %bb.9777:                             ;   in Loop: Header=BB4_9658 Depth=3
	v_cmp_ne_u16_e32 vcc, s70, v12
	v_bfrev_b32_e32 v6, 1
	s_and_saveexec_b64 s[30:31], vcc
	s_cbranch_execz .LBB4_9781
; %bb.9778:                             ;   in Loop: Header=BB4_9658 Depth=3
	v_and_b32_e32 v13, 0x7f, v12
	v_cmp_ne_u32_e32 vcc, s68, v13
	v_mov_b32_e32 v6, 0x7f800001
	s_and_saveexec_b64 s[34:35], vcc
	s_cbranch_execz .LBB4_9780
; %bb.9779:                             ;   in Loop: Header=BB4_9658 Depth=3
	v_and_b32_e32 v6, 7, v12
	v_lshrrev_b32_e32 v14, 3, v13
	v_cmp_gt_u32_e32 vcc, 8, v13
	v_ffbh_u32_e32 v13, v6
	v_min_u32_e32 v15, 32, v13
	v_subrev_u32_e32 v13, 28, v15
	v_lshlrev_b64 v[12:13], v13, v[12:13]
	v_sub_u32_e32 v13, 29, v15
	v_and_b32_e32 v12, 7, v12
	v_cndmask_b32_e32 v13, v14, v13, vcc
	v_cndmask_b32_e32 v6, v6, v12, vcc
	v_lshlrev_b32_e32 v2, 16, v2
	v_lshlrev_b32_e32 v6, 20, v6
	v_and_b32_e32 v2, 0x80000000, v2
	v_lshl_add_u32 v12, v13, 23, v5
	v_or3_b32 v6, v2, v12, v6
.LBB4_9780:                             ;   in Loop: Header=BB4_9658 Depth=3
	s_or_b64 exec, exec, s[34:35]
.LBB4_9781:                             ;   in Loop: Header=BB4_9658 Depth=3
	s_or_b64 exec, exec, s[30:31]
.LBB4_9782:                             ;   in Loop: Header=BB4_9658 Depth=3
	s_or_b64 exec, exec, s[28:29]
	v_mul_f32_e32 v12, v7, v6
	v_and_b32_e32 v2, 0x7f800000, v12
	v_cmp_ne_u64_e32 vcc, s[62:63], v[2:3]
                                        ; implicit-def: $vgpr17
	s_and_saveexec_b64 s[28:29], vcc
	s_xor_b64 s[30:31], exec, s[28:29]
	s_cbranch_execz .LBB4_9796
; %bb.9783:                             ;   in Loop: Header=BB4_9658 Depth=3
	v_and_b32_e32 v2, 0x7fffffff, v12
	v_cmp_gt_u64_e32 vcc, s[72:73], v[2:3]
	v_and_b32_sdwa v6, v12, s70 dst_sel:DWORD dst_unused:UNUSED_PAD src0_sel:BYTE_3 src1_sel:DWORD
                                        ; implicit-def: $vgpr17
	s_and_saveexec_b64 s[28:29], vcc
	s_xor_b64 s[34:35], exec, s[28:29]
	s_cbranch_execz .LBB4_9793
; %bb.9784:                             ;   in Loop: Header=BB4_9658 Depth=3
	v_mov_b32_e32 v17, 0
	v_cmp_ne_u32_e32 vcc, 0, v12
	s_and_saveexec_b64 s[36:37], vcc
	s_cbranch_execz .LBB4_9792
; %bb.9785:                             ;   in Loop: Header=BB4_9658 Depth=3
	v_bfe_u32 v15, v12, 23, 8
	v_and_b32_e32 v2, 0x7fffff, v12
	v_cmp_gt_u32_e64 s[28:29], s71, v15
	v_sub_u32_e32 v12, 0x79, v15
	v_cmp_eq_u32_e32 vcc, 0, v15
	v_cndmask_b32_e64 v12, 0, v12, s[28:29]
	v_mov_b32_e32 v14, 0x78
	v_cndmask_b32_e32 v16, v12, v14, vcc
	v_or_b32_e32 v13, 0x800000, v2
	v_add_u32_e32 v12, 20, v16
	v_cndmask_b32_e32 v2, v13, v2, vcc
	v_lshlrev_b64 v[12:13], v12, -1
	v_add_u32_e32 v14, 19, v16
	v_lshlrev_b64 v[17:18], v14, 1
	v_bfi_b32 v13, v13, 0, 0
	v_bfi_b32 v12, v12, 0, v2
	v_cmp_eq_u64_e64 s[28:29], v[12:13], v[17:18]
	v_lshrrev_b64 v[12:13], v16, v[2:3]
	v_mov_b32_e32 v14, v13
	v_mov_b32_e32 v13, v12
	s_and_saveexec_b64 s[38:39], s[28:29]
; %bb.9786:                             ;   in Loop: Header=BB4_9658 Depth=3
	v_bfe_u32 v2, v12, 20, 1
	v_add_co_u32_e64 v2, s[28:29], v12, v2
	v_add_co_u32_e64 v13, s[28:29], -1, v2
; %bb.9787:                             ;   in Loop: Header=BB4_9658 Depth=3
	s_or_b64 exec, exec, s[38:39]
	v_add_u32_e32 v2, 0xffffff81, v15
	v_mov_b32_e32 v14, 0xffffff82
	v_cndmask_b32_e32 v2, v2, v14, vcc
	v_lshrrev_b32_e32 v14, 23, v12
	v_add3_u32 v16, v16, v2, v14
	v_add_u32_e32 v15, 6, v16
	v_and_b32_e32 v2, 0xfffff, v13
	v_add_u32_e32 v2, v2, v12
	v_cmp_ne_u32_e32 vcc, 0, v15
                                        ; implicit-def: $vgpr12_vgpr13
                                        ; implicit-def: $vgpr14
	s_and_saveexec_b64 s[28:29], vcc
	s_xor_b64 s[28:29], exec, s[28:29]
; %bb.9788:                             ;   in Loop: Header=BB4_9658 Depth=3
	v_cmp_lt_u64_e32 vcc, s[74:75], v[2:3]
	v_add_u32_e32 v12, 7, v16
	v_cndmask_b32_e32 v14, v15, v12, vcc
	v_cndmask_b32_e64 v12, 0, 1, vcc
	v_lshrrev_b64 v[12:13], v12, v[2:3]
; %bb.9789:                             ;   in Loop: Header=BB4_9658 Depth=3
	s_andn2_saveexec_b64 s[28:29], s[28:29]
; %bb.9790:                             ;   in Loop: Header=BB4_9658 Depth=3
	v_mov_b32_e32 v13, v3
	v_bfe_u32 v14, v2, 23, 1
	v_mov_b32_e32 v12, v2
; %bb.9791:                             ;   in Loop: Header=BB4_9658 Depth=3
	s_or_b64 exec, exec, s[28:29]
	v_lshrrev_b64 v[12:13], 20, v[12:13]
	v_cmp_gt_i32_e32 vcc, 16, v14
	v_cndmask_b32_e32 v13, 0, v13, vcc
	v_cndmask_b32_e32 v12, 7, v12, vcc
	v_min_i32_e32 v2, 15, v14
	v_cmp_eq_u64_e64 s[28:29], 0, v[12:13]
	v_lshlrev_b32_e32 v2, 3, v2
	v_cmp_eq_u32_e32 vcc, 0, v14
	v_and_b32_e32 v2, 0xf8, v2
	v_and_or_b32 v2, v12, 7, v2
	s_and_b64 s[28:29], vcc, s[28:29]
	v_cndmask_b32_e64 v2, v2, 0, s[28:29]
	v_or_b32_e32 v17, v2, v6
.LBB4_9792:                             ;   in Loop: Header=BB4_9658 Depth=3
	s_or_b64 exec, exec, s[36:37]
                                        ; implicit-def: $vgpr6
.LBB4_9793:                             ;   in Loop: Header=BB4_9658 Depth=3
	s_andn2_saveexec_b64 s[28:29], s[34:35]
; %bb.9794:                             ;   in Loop: Header=BB4_9658 Depth=3
	v_or_b32_e32 v17, 0x7e, v6
; %bb.9795:                             ;   in Loop: Header=BB4_9658 Depth=3
	s_or_b64 exec, exec, s[28:29]
                                        ; implicit-def: $vgpr12
.LBB4_9796:                             ;   in Loop: Header=BB4_9658 Depth=3
	s_andn2_saveexec_b64 s[28:29], s[30:31]
; %bb.9797:                             ;   in Loop: Header=BB4_9658 Depth=3
	v_or_b32_sdwa v17, v12, s68 dst_sel:DWORD dst_unused:UNUSED_PAD src0_sel:BYTE_3 src1_sel:DWORD
; %bb.9798:                             ;   in Loop: Header=BB4_9658 Depth=3
	s_or_b64 exec, exec, s[28:29]
	v_lshrrev_b32_e32 v2, 16, v9
	v_cmp_ne_u16_sdwa vcc, v2, v3 src0_sel:BYTE_0 src1_sel:DWORD
	v_mov_b32_e32 v6, 0
	s_and_saveexec_b64 s[28:29], vcc
	s_cbranch_execz .LBB4_9804
; %bb.9799:                             ;   in Loop: Header=BB4_9658 Depth=3
	v_cmp_ne_u16_sdwa vcc, v2, s70 src0_sel:BYTE_0 src1_sel:DWORD
	v_bfrev_b32_e32 v6, 1
	s_and_saveexec_b64 s[30:31], vcc
	s_cbranch_execz .LBB4_9803
; %bb.9800:                             ;   in Loop: Header=BB4_9658 Depth=3
	v_bfe_u32 v12, v9, 16, 7
	v_cmp_ne_u32_e32 vcc, s68, v12
	v_mov_b32_e32 v6, 0x7f800001
	s_and_saveexec_b64 s[34:35], vcc
	s_cbranch_execz .LBB4_9802
; %bb.9801:                             ;   in Loop: Header=BB4_9658 Depth=3
	v_and_b32_e32 v6, 7, v2
	v_lshrrev_b32_e32 v14, 3, v12
	v_cmp_gt_u32_e32 vcc, 8, v12
	v_ffbh_u32_e32 v12, v6
	v_min_u32_e32 v15, 32, v12
	v_subrev_u32_e32 v12, 28, v15
	v_lshlrev_b64 v[12:13], v12, v[2:3]
	v_sub_u32_e32 v13, 29, v15
	v_and_b32_e32 v12, 7, v12
	v_cndmask_b32_e32 v13, v14, v13, vcc
	v_cndmask_b32_e32 v6, v6, v12, vcc
	v_lshlrev_b32_e32 v2, 24, v2
	v_lshlrev_b32_e32 v6, 20, v6
	v_and_b32_e32 v2, 0x80000000, v2
	v_lshl_add_u32 v12, v13, 23, v5
	v_or3_b32 v6, v2, v12, v6
.LBB4_9802:                             ;   in Loop: Header=BB4_9658 Depth=3
	s_or_b64 exec, exec, s[34:35]
.LBB4_9803:                             ;   in Loop: Header=BB4_9658 Depth=3
	s_or_b64 exec, exec, s[30:31]
.LBB4_9804:                             ;   in Loop: Header=BB4_9658 Depth=3
	s_or_b64 exec, exec, s[28:29]
	v_mul_f32_e32 v12, v7, v6
	v_and_b32_e32 v2, 0x7f800000, v12
	v_cmp_ne_u64_e32 vcc, s[62:63], v[2:3]
                                        ; implicit-def: $vgpr49
	s_and_saveexec_b64 s[28:29], vcc
	s_xor_b64 s[30:31], exec, s[28:29]
	s_cbranch_execz .LBB4_9818
; %bb.9805:                             ;   in Loop: Header=BB4_9658 Depth=3
	v_and_b32_e32 v2, 0x7fffffff, v12
	v_cmp_gt_u64_e32 vcc, s[72:73], v[2:3]
	v_and_b32_sdwa v6, v12, s70 dst_sel:DWORD dst_unused:UNUSED_PAD src0_sel:BYTE_3 src1_sel:DWORD
                                        ; implicit-def: $vgpr49
	s_and_saveexec_b64 s[28:29], vcc
	s_xor_b64 s[34:35], exec, s[28:29]
	s_cbranch_execz .LBB4_9815
; %bb.9806:                             ;   in Loop: Header=BB4_9658 Depth=3
	v_mov_b32_e32 v49, 0
	v_cmp_ne_u32_e32 vcc, 0, v12
	s_and_saveexec_b64 s[36:37], vcc
	s_cbranch_execz .LBB4_9814
; %bb.9807:                             ;   in Loop: Header=BB4_9658 Depth=3
	v_bfe_u32 v15, v12, 23, 8
	v_and_b32_e32 v2, 0x7fffff, v12
	v_cmp_gt_u32_e64 s[28:29], s71, v15
	v_sub_u32_e32 v12, 0x79, v15
	v_cmp_eq_u32_e32 vcc, 0, v15
	v_cndmask_b32_e64 v12, 0, v12, s[28:29]
	v_mov_b32_e32 v14, 0x78
	v_cndmask_b32_e32 v16, v12, v14, vcc
	v_or_b32_e32 v13, 0x800000, v2
	v_add_u32_e32 v12, 20, v16
	v_cndmask_b32_e32 v2, v13, v2, vcc
	v_lshlrev_b64 v[12:13], v12, -1
	v_add_u32_e32 v14, 19, v16
	v_lshlrev_b64 v[20:21], v14, 1
	v_bfi_b32 v13, v13, 0, 0
	v_bfi_b32 v12, v12, 0, v2
	v_cmp_eq_u64_e64 s[28:29], v[12:13], v[20:21]
	v_lshrrev_b64 v[12:13], v16, v[2:3]
	v_mov_b32_e32 v14, v13
	v_mov_b32_e32 v13, v12
	s_and_saveexec_b64 s[38:39], s[28:29]
; %bb.9808:                             ;   in Loop: Header=BB4_9658 Depth=3
	v_bfe_u32 v2, v12, 20, 1
	v_add_co_u32_e64 v2, s[28:29], v12, v2
	v_add_co_u32_e64 v13, s[28:29], -1, v2
; %bb.9809:                             ;   in Loop: Header=BB4_9658 Depth=3
	s_or_b64 exec, exec, s[38:39]
	v_add_u32_e32 v2, 0xffffff81, v15
	v_mov_b32_e32 v14, 0xffffff82
	v_cndmask_b32_e32 v2, v2, v14, vcc
	v_lshrrev_b32_e32 v14, 23, v12
	v_add3_u32 v16, v16, v2, v14
	v_add_u32_e32 v15, 6, v16
	v_and_b32_e32 v2, 0xfffff, v13
	v_add_u32_e32 v2, v2, v12
	v_cmp_ne_u32_e32 vcc, 0, v15
                                        ; implicit-def: $vgpr12_vgpr13
                                        ; implicit-def: $vgpr14
	s_and_saveexec_b64 s[28:29], vcc
	s_xor_b64 s[28:29], exec, s[28:29]
; %bb.9810:                             ;   in Loop: Header=BB4_9658 Depth=3
	v_cmp_lt_u64_e32 vcc, s[74:75], v[2:3]
	v_add_u32_e32 v12, 7, v16
	v_cndmask_b32_e32 v14, v15, v12, vcc
	v_cndmask_b32_e64 v12, 0, 1, vcc
	v_lshrrev_b64 v[12:13], v12, v[2:3]
; %bb.9811:                             ;   in Loop: Header=BB4_9658 Depth=3
	s_andn2_saveexec_b64 s[28:29], s[28:29]
; %bb.9812:                             ;   in Loop: Header=BB4_9658 Depth=3
	v_mov_b32_e32 v13, v3
	v_bfe_u32 v14, v2, 23, 1
	v_mov_b32_e32 v12, v2
; %bb.9813:                             ;   in Loop: Header=BB4_9658 Depth=3
	s_or_b64 exec, exec, s[28:29]
	v_lshrrev_b64 v[12:13], 20, v[12:13]
	v_cmp_gt_i32_e32 vcc, 16, v14
	v_cndmask_b32_e32 v13, 0, v13, vcc
	v_cndmask_b32_e32 v12, 7, v12, vcc
	v_min_i32_e32 v2, 15, v14
	v_cmp_eq_u64_e64 s[28:29], 0, v[12:13]
	v_lshlrev_b32_e32 v2, 3, v2
	v_cmp_eq_u32_e32 vcc, 0, v14
	v_and_b32_e32 v2, 0xf8, v2
	v_and_or_b32 v2, v12, 7, v2
	s_and_b64 s[28:29], vcc, s[28:29]
	v_cndmask_b32_e64 v2, v2, 0, s[28:29]
	v_or_b32_e32 v49, v2, v6
.LBB4_9814:                             ;   in Loop: Header=BB4_9658 Depth=3
	s_or_b64 exec, exec, s[36:37]
                                        ; implicit-def: $vgpr6
.LBB4_9815:                             ;   in Loop: Header=BB4_9658 Depth=3
	s_andn2_saveexec_b64 s[28:29], s[34:35]
; %bb.9816:                             ;   in Loop: Header=BB4_9658 Depth=3
	v_or_b32_e32 v49, 0x7e, v6
; %bb.9817:                             ;   in Loop: Header=BB4_9658 Depth=3
	s_or_b64 exec, exec, s[28:29]
                                        ; implicit-def: $vgpr12
.LBB4_9818:                             ;   in Loop: Header=BB4_9658 Depth=3
	s_andn2_saveexec_b64 s[28:29], s[30:31]
; %bb.9819:                             ;   in Loop: Header=BB4_9658 Depth=3
	v_or_b32_sdwa v49, v12, s68 dst_sel:DWORD dst_unused:UNUSED_PAD src0_sel:BYTE_3 src1_sel:DWORD
; %bb.9820:                             ;   in Loop: Header=BB4_9658 Depth=3
	s_or_b64 exec, exec, s[28:29]
	v_cmp_lt_u64_e32 vcc, s[56:57], v[8:9]
	v_mov_b32_e32 v6, 0
	s_and_saveexec_b64 s[28:29], vcc
	s_cbranch_execz .LBB4_9826
; %bb.9821:                             ;   in Loop: Header=BB4_9658 Depth=3
	v_lshrrev_b32_e32 v2, 24, v9
	v_cmp_ne_u32_e32 vcc, s70, v2
	v_bfrev_b32_e32 v6, 1
	s_and_saveexec_b64 s[30:31], vcc
	s_cbranch_execz .LBB4_9825
; %bb.9822:                             ;   in Loop: Header=BB4_9658 Depth=3
	v_bfe_u32 v8, v9, 24, 7
	v_cmp_ne_u32_e32 vcc, s68, v8
	v_mov_b32_e32 v6, 0x7f800001
	s_and_saveexec_b64 s[34:35], vcc
	s_cbranch_execz .LBB4_9824
; %bb.9823:                             ;   in Loop: Header=BB4_9658 Depth=3
	v_and_b32_e32 v6, 7, v2
	v_lshrrev_b32_e32 v12, 3, v8
	v_cmp_gt_u32_e32 vcc, 8, v8
	v_ffbh_u32_e32 v8, v6
	v_min_u32_e32 v13, 32, v8
	v_subrev_u32_e32 v8, 28, v13
	v_lshlrev_b64 v[8:9], v8, v[2:3]
	v_sub_u32_e32 v9, 29, v13
	v_and_b32_e32 v8, 7, v8
	v_cndmask_b32_e32 v9, v12, v9, vcc
	v_cndmask_b32_e32 v6, v6, v8, vcc
	v_lshlrev_b32_e32 v2, 24, v2
	v_lshlrev_b32_e32 v6, 20, v6
	v_and_b32_e32 v2, 0x80000000, v2
	v_lshl_add_u32 v8, v9, 23, v5
	v_or3_b32 v6, v2, v8, v6
.LBB4_9824:                             ;   in Loop: Header=BB4_9658 Depth=3
	s_or_b64 exec, exec, s[34:35]
.LBB4_9825:                             ;   in Loop: Header=BB4_9658 Depth=3
	s_or_b64 exec, exec, s[30:31]
.LBB4_9826:                             ;   in Loop: Header=BB4_9658 Depth=3
	s_or_b64 exec, exec, s[28:29]
	v_mul_f32_e32 v8, v7, v6
	v_and_b32_e32 v2, 0x7f800000, v8
	v_cmp_ne_u64_e32 vcc, s[62:63], v[2:3]
                                        ; implicit-def: $vgpr37
	s_and_saveexec_b64 s[28:29], vcc
	s_xor_b64 s[30:31], exec, s[28:29]
	s_cbranch_execz .LBB4_9840
; %bb.9827:                             ;   in Loop: Header=BB4_9658 Depth=3
	v_and_b32_e32 v2, 0x7fffffff, v8
	v_cmp_gt_u64_e32 vcc, s[72:73], v[2:3]
	v_and_b32_sdwa v6, v8, s70 dst_sel:DWORD dst_unused:UNUSED_PAD src0_sel:BYTE_3 src1_sel:DWORD
                                        ; implicit-def: $vgpr37
	s_and_saveexec_b64 s[28:29], vcc
	s_xor_b64 s[34:35], exec, s[28:29]
	s_cbranch_execz .LBB4_9837
; %bb.9828:                             ;   in Loop: Header=BB4_9658 Depth=3
	v_mov_b32_e32 v37, 0
	v_cmp_ne_u32_e32 vcc, 0, v8
	s_and_saveexec_b64 s[36:37], vcc
	s_cbranch_execz .LBB4_9836
; %bb.9829:                             ;   in Loop: Header=BB4_9658 Depth=3
	v_bfe_u32 v14, v8, 23, 8
	v_and_b32_e32 v2, 0x7fffff, v8
	v_cmp_gt_u32_e64 s[28:29], s71, v14
	v_sub_u32_e32 v8, 0x79, v14
	v_cmp_eq_u32_e32 vcc, 0, v14
	v_cndmask_b32_e64 v8, 0, v8, s[28:29]
	v_mov_b32_e32 v12, 0x78
	v_cndmask_b32_e32 v15, v8, v12, vcc
	v_or_b32_e32 v9, 0x800000, v2
	v_add_u32_e32 v8, 20, v15
	v_cndmask_b32_e32 v2, v9, v2, vcc
	v_lshlrev_b64 v[8:9], v8, -1
	v_add_u32_e32 v12, 19, v15
	v_lshlrev_b64 v[12:13], v12, 1
	v_bfi_b32 v9, v9, 0, 0
	v_bfi_b32 v8, v8, 0, v2
	v_cmp_eq_u64_e64 s[28:29], v[8:9], v[12:13]
	v_lshrrev_b64 v[8:9], v15, v[2:3]
	v_mov_b32_e32 v13, v9
	v_mov_b32_e32 v12, v8
	s_and_saveexec_b64 s[38:39], s[28:29]
; %bb.9830:                             ;   in Loop: Header=BB4_9658 Depth=3
	v_bfe_u32 v2, v8, 20, 1
	v_add_co_u32_e64 v2, s[28:29], v8, v2
	v_add_co_u32_e64 v12, s[28:29], -1, v2
; %bb.9831:                             ;   in Loop: Header=BB4_9658 Depth=3
	s_or_b64 exec, exec, s[38:39]
	v_add_u32_e32 v2, 0xffffff81, v14
	v_mov_b32_e32 v9, 0xffffff82
	v_cndmask_b32_e32 v2, v2, v9, vcc
	v_lshrrev_b32_e32 v9, 23, v8
	v_add3_u32 v14, v15, v2, v9
	v_add_u32_e32 v13, 6, v14
	v_and_b32_e32 v2, 0xfffff, v12
	v_add_u32_e32 v2, v2, v8
	v_cmp_ne_u32_e32 vcc, 0, v13
                                        ; implicit-def: $vgpr8_vgpr9
                                        ; implicit-def: $vgpr12
	s_and_saveexec_b64 s[28:29], vcc
	s_xor_b64 s[28:29], exec, s[28:29]
; %bb.9832:                             ;   in Loop: Header=BB4_9658 Depth=3
	v_cmp_lt_u64_e32 vcc, s[74:75], v[2:3]
	v_add_u32_e32 v8, 7, v14
	v_cndmask_b32_e32 v12, v13, v8, vcc
	v_cndmask_b32_e64 v8, 0, 1, vcc
	v_lshrrev_b64 v[8:9], v8, v[2:3]
; %bb.9833:                             ;   in Loop: Header=BB4_9658 Depth=3
	s_andn2_saveexec_b64 s[28:29], s[28:29]
; %bb.9834:                             ;   in Loop: Header=BB4_9658 Depth=3
	v_mov_b32_e32 v9, v3
	v_bfe_u32 v12, v2, 23, 1
	v_mov_b32_e32 v8, v2
; %bb.9835:                             ;   in Loop: Header=BB4_9658 Depth=3
	s_or_b64 exec, exec, s[28:29]
	v_lshrrev_b64 v[8:9], 20, v[8:9]
	v_cmp_gt_i32_e32 vcc, 16, v12
	v_cndmask_b32_e32 v9, 0, v9, vcc
	v_cndmask_b32_e32 v8, 7, v8, vcc
	v_min_i32_e32 v2, 15, v12
	v_cmp_eq_u64_e64 s[28:29], 0, v[8:9]
	v_lshlrev_b32_e32 v2, 3, v2
	v_cmp_eq_u32_e32 vcc, 0, v12
	v_and_b32_e32 v2, 0xf8, v2
	v_and_or_b32 v2, v8, 7, v2
	s_and_b64 s[28:29], vcc, s[28:29]
	v_cndmask_b32_e64 v2, v2, 0, s[28:29]
	v_or_b32_e32 v37, v2, v6
.LBB4_9836:                             ;   in Loop: Header=BB4_9658 Depth=3
	s_or_b64 exec, exec, s[36:37]
                                        ; implicit-def: $vgpr6
.LBB4_9837:                             ;   in Loop: Header=BB4_9658 Depth=3
	s_andn2_saveexec_b64 s[28:29], s[34:35]
; %bb.9838:                             ;   in Loop: Header=BB4_9658 Depth=3
	v_or_b32_e32 v37, 0x7e, v6
; %bb.9839:                             ;   in Loop: Header=BB4_9658 Depth=3
	s_or_b64 exec, exec, s[28:29]
                                        ; implicit-def: $vgpr8
.LBB4_9840:                             ;   in Loop: Header=BB4_9658 Depth=3
	s_andn2_saveexec_b64 s[28:29], s[30:31]
; %bb.9841:                             ;   in Loop: Header=BB4_9658 Depth=3
	v_or_b32_sdwa v37, v8, s68 dst_sel:DWORD dst_unused:UNUSED_PAD src0_sel:BYTE_3 src1_sel:DWORD
; %bb.9842:                             ;   in Loop: Header=BB4_9658 Depth=3
	s_or_b64 exec, exec, s[28:29]
	v_cmp_ne_u16_sdwa vcc, v10, v3 src0_sel:BYTE_0 src1_sel:DWORD
	v_mov_b32_e32 v2, 0
	s_and_saveexec_b64 s[28:29], vcc
	s_cbranch_execz .LBB4_9848
; %bb.9843:                             ;   in Loop: Header=BB4_9658 Depth=3
	v_cmp_ne_u16_sdwa vcc, v10, s70 src0_sel:BYTE_0 src1_sel:DWORD
	v_bfrev_b32_e32 v2, 1
	s_and_saveexec_b64 s[30:31], vcc
	s_cbranch_execz .LBB4_9847
; %bb.9844:                             ;   in Loop: Header=BB4_9658 Depth=3
	v_and_b32_e32 v6, 0x7f, v10
	v_cmp_ne_u32_e32 vcc, s68, v6
	v_mov_b32_e32 v2, 0x7f800001
	s_and_saveexec_b64 s[34:35], vcc
	s_cbranch_execz .LBB4_9846
; %bb.9845:                             ;   in Loop: Header=BB4_9658 Depth=3
	v_and_b32_e32 v2, 7, v10
	v_ffbh_u32_e32 v2, v2
	v_min_u32_e32 v2, 32, v2
	v_lshrrev_b32_e32 v8, 3, v6
	v_cmp_gt_u32_e32 vcc, 8, v6
	v_subrev_u32_e32 v6, 28, v2
	v_sub_u32_e32 v2, 29, v2
	v_cndmask_b32_e32 v6, 0, v6, vcc
	v_cndmask_b32_e32 v2, v8, v2, vcc
	v_lshlrev_b64 v[8:9], v6, v[10:11]
	v_lshl_add_u32 v2, v2, 23, v5
	v_lshlrev_b32_e32 v6, 20, v8
	v_lshlrev_b32_e32 v8, 24, v10
	v_and_b32_e32 v6, 0x700000, v6
	v_and_b32_e32 v8, 0x80000000, v8
	v_or3_b32 v2, v8, v2, v6
.LBB4_9846:                             ;   in Loop: Header=BB4_9658 Depth=3
	s_or_b64 exec, exec, s[34:35]
.LBB4_9847:                             ;   in Loop: Header=BB4_9658 Depth=3
	s_or_b64 exec, exec, s[30:31]
.LBB4_9848:                             ;   in Loop: Header=BB4_9658 Depth=3
	s_or_b64 exec, exec, s[28:29]
	v_mul_f32_e32 v8, v7, v2
	v_and_b32_e32 v2, 0x7f800000, v8
	v_cmp_ne_u64_e32 vcc, s[62:63], v[2:3]
                                        ; implicit-def: $vgpr54
	s_and_saveexec_b64 s[28:29], vcc
	s_xor_b64 s[30:31], exec, s[28:29]
	s_cbranch_execz .LBB4_9862
; %bb.9849:                             ;   in Loop: Header=BB4_9658 Depth=3
	v_and_b32_e32 v2, 0x7fffffff, v8
	v_cmp_gt_u64_e32 vcc, s[72:73], v[2:3]
	v_and_b32_sdwa v6, v8, s70 dst_sel:DWORD dst_unused:UNUSED_PAD src0_sel:BYTE_3 src1_sel:DWORD
                                        ; implicit-def: $vgpr54
	s_and_saveexec_b64 s[28:29], vcc
	s_xor_b64 s[34:35], exec, s[28:29]
	s_cbranch_execz .LBB4_9859
; %bb.9850:                             ;   in Loop: Header=BB4_9658 Depth=3
	v_mov_b32_e32 v54, 0
	v_cmp_ne_u32_e32 vcc, 0, v8
	s_and_saveexec_b64 s[36:37], vcc
	s_cbranch_execz .LBB4_9858
; %bb.9851:                             ;   in Loop: Header=BB4_9658 Depth=3
	v_bfe_u32 v14, v8, 23, 8
	v_and_b32_e32 v2, 0x7fffff, v8
	v_cmp_gt_u32_e64 s[28:29], s71, v14
	v_sub_u32_e32 v8, 0x79, v14
	v_cmp_eq_u32_e32 vcc, 0, v14
	v_cndmask_b32_e64 v8, 0, v8, s[28:29]
	v_mov_b32_e32 v12, 0x78
	v_cndmask_b32_e32 v15, v8, v12, vcc
	v_or_b32_e32 v9, 0x800000, v2
	v_add_u32_e32 v8, 20, v15
	v_cndmask_b32_e32 v2, v9, v2, vcc
	v_lshlrev_b64 v[8:9], v8, -1
	v_add_u32_e32 v12, 19, v15
	v_lshlrev_b64 v[12:13], v12, 1
	v_bfi_b32 v9, v9, 0, 0
	v_bfi_b32 v8, v8, 0, v2
	v_cmp_eq_u64_e64 s[28:29], v[8:9], v[12:13]
	v_lshrrev_b64 v[8:9], v15, v[2:3]
	v_mov_b32_e32 v13, v9
	v_mov_b32_e32 v12, v8
	s_and_saveexec_b64 s[38:39], s[28:29]
; %bb.9852:                             ;   in Loop: Header=BB4_9658 Depth=3
	v_bfe_u32 v2, v8, 20, 1
	v_add_co_u32_e64 v2, s[28:29], v8, v2
	v_add_co_u32_e64 v12, s[28:29], -1, v2
; %bb.9853:                             ;   in Loop: Header=BB4_9658 Depth=3
	s_or_b64 exec, exec, s[38:39]
	v_add_u32_e32 v2, 0xffffff81, v14
	v_mov_b32_e32 v9, 0xffffff82
	v_cndmask_b32_e32 v2, v2, v9, vcc
	v_lshrrev_b32_e32 v9, 23, v8
	v_add3_u32 v14, v15, v2, v9
	v_add_u32_e32 v13, 6, v14
	v_and_b32_e32 v2, 0xfffff, v12
	v_add_u32_e32 v2, v2, v8
	v_cmp_ne_u32_e32 vcc, 0, v13
                                        ; implicit-def: $vgpr8_vgpr9
                                        ; implicit-def: $vgpr12
	s_and_saveexec_b64 s[28:29], vcc
	s_xor_b64 s[28:29], exec, s[28:29]
; %bb.9854:                             ;   in Loop: Header=BB4_9658 Depth=3
	v_cmp_lt_u64_e32 vcc, s[74:75], v[2:3]
	v_add_u32_e32 v8, 7, v14
	v_cndmask_b32_e32 v12, v13, v8, vcc
	v_cndmask_b32_e64 v8, 0, 1, vcc
	v_lshrrev_b64 v[8:9], v8, v[2:3]
; %bb.9855:                             ;   in Loop: Header=BB4_9658 Depth=3
	s_andn2_saveexec_b64 s[28:29], s[28:29]
; %bb.9856:                             ;   in Loop: Header=BB4_9658 Depth=3
	v_mov_b32_e32 v9, v3
	v_bfe_u32 v12, v2, 23, 1
	v_mov_b32_e32 v8, v2
; %bb.9857:                             ;   in Loop: Header=BB4_9658 Depth=3
	s_or_b64 exec, exec, s[28:29]
	v_lshrrev_b64 v[8:9], 20, v[8:9]
	v_cmp_gt_i32_e32 vcc, 16, v12
	v_cndmask_b32_e32 v9, 0, v9, vcc
	v_cndmask_b32_e32 v8, 7, v8, vcc
	v_min_i32_e32 v2, 15, v12
	v_cmp_eq_u64_e64 s[28:29], 0, v[8:9]
	v_lshlrev_b32_e32 v2, 3, v2
	v_cmp_eq_u32_e32 vcc, 0, v12
	v_and_b32_e32 v2, 0xf8, v2
	v_and_or_b32 v2, v8, 7, v2
	s_and_b64 s[28:29], vcc, s[28:29]
	v_cndmask_b32_e64 v2, v2, 0, s[28:29]
	v_or_b32_e32 v54, v2, v6
.LBB4_9858:                             ;   in Loop: Header=BB4_9658 Depth=3
	s_or_b64 exec, exec, s[36:37]
                                        ; implicit-def: $vgpr6
.LBB4_9859:                             ;   in Loop: Header=BB4_9658 Depth=3
	s_andn2_saveexec_b64 s[28:29], s[34:35]
; %bb.9860:                             ;   in Loop: Header=BB4_9658 Depth=3
	v_or_b32_e32 v54, 0x7e, v6
; %bb.9861:                             ;   in Loop: Header=BB4_9658 Depth=3
	s_or_b64 exec, exec, s[28:29]
                                        ; implicit-def: $vgpr8
.LBB4_9862:                             ;   in Loop: Header=BB4_9658 Depth=3
	s_andn2_saveexec_b64 s[28:29], s[30:31]
; %bb.9863:                             ;   in Loop: Header=BB4_9658 Depth=3
	v_or_b32_sdwa v54, v8, s68 dst_sel:DWORD dst_unused:UNUSED_PAD src0_sel:BYTE_3 src1_sel:DWORD
; %bb.9864:                             ;   in Loop: Header=BB4_9658 Depth=3
	s_or_b64 exec, exec, s[28:29]
	v_lshrrev_b16_e32 v2, 8, v10
	v_cmp_ne_u16_e32 vcc, 0, v2
	v_mov_b32_e32 v6, 0
	s_and_saveexec_b64 s[28:29], vcc
	s_cbranch_execz .LBB4_9870
; %bb.9865:                             ;   in Loop: Header=BB4_9658 Depth=3
	v_cmp_ne_u16_e32 vcc, s70, v2
	v_bfrev_b32_e32 v6, 1
	s_and_saveexec_b64 s[30:31], vcc
	s_cbranch_execz .LBB4_9869
; %bb.9866:                             ;   in Loop: Header=BB4_9658 Depth=3
	v_and_b32_e32 v8, 0x7f, v2
	v_cmp_ne_u32_e32 vcc, s68, v8
	v_mov_b32_e32 v6, 0x7f800001
	s_and_saveexec_b64 s[34:35], vcc
	s_cbranch_execz .LBB4_9868
; %bb.9867:                             ;   in Loop: Header=BB4_9658 Depth=3
	v_and_b32_e32 v6, 7, v2
	v_lshrrev_b32_e32 v12, 3, v8
	v_cmp_gt_u32_e32 vcc, 8, v8
	v_ffbh_u32_e32 v8, v6
	v_min_u32_e32 v13, 32, v8
	v_subrev_u32_e32 v8, 28, v13
	v_lshlrev_b64 v[8:9], v8, v[2:3]
	v_sub_u32_e32 v2, 29, v13
	v_and_b32_e32 v8, 7, v8
	v_cndmask_b32_e32 v2, v12, v2, vcc
	v_cndmask_b32_e32 v6, v6, v8, vcc
	v_lshlrev_b32_e32 v8, 16, v10
	v_lshlrev_b32_e32 v6, 20, v6
	v_and_b32_e32 v8, 0x80000000, v8
	v_lshl_add_u32 v2, v2, 23, v5
	v_or3_b32 v6, v8, v2, v6
.LBB4_9868:                             ;   in Loop: Header=BB4_9658 Depth=3
	s_or_b64 exec, exec, s[34:35]
.LBB4_9869:                             ;   in Loop: Header=BB4_9658 Depth=3
	s_or_b64 exec, exec, s[30:31]
.LBB4_9870:                             ;   in Loop: Header=BB4_9658 Depth=3
	s_or_b64 exec, exec, s[28:29]
	v_mul_f32_e32 v8, v7, v6
	v_and_b32_e32 v2, 0x7f800000, v8
	v_cmp_ne_u64_e32 vcc, s[62:63], v[2:3]
                                        ; implicit-def: $vgpr51
	s_and_saveexec_b64 s[28:29], vcc
	s_xor_b64 s[30:31], exec, s[28:29]
	s_cbranch_execz .LBB4_9884
; %bb.9871:                             ;   in Loop: Header=BB4_9658 Depth=3
	v_and_b32_e32 v2, 0x7fffffff, v8
	v_cmp_gt_u64_e32 vcc, s[72:73], v[2:3]
	v_and_b32_sdwa v6, v8, s70 dst_sel:DWORD dst_unused:UNUSED_PAD src0_sel:BYTE_3 src1_sel:DWORD
                                        ; implicit-def: $vgpr51
	s_and_saveexec_b64 s[28:29], vcc
	s_xor_b64 s[34:35], exec, s[28:29]
	s_cbranch_execz .LBB4_9881
; %bb.9872:                             ;   in Loop: Header=BB4_9658 Depth=3
	v_mov_b32_e32 v51, 0
	v_cmp_ne_u32_e32 vcc, 0, v8
	s_and_saveexec_b64 s[36:37], vcc
	s_cbranch_execz .LBB4_9880
; %bb.9873:                             ;   in Loop: Header=BB4_9658 Depth=3
	v_bfe_u32 v14, v8, 23, 8
	v_and_b32_e32 v2, 0x7fffff, v8
	v_cmp_gt_u32_e64 s[28:29], s71, v14
	v_sub_u32_e32 v8, 0x79, v14
	v_cmp_eq_u32_e32 vcc, 0, v14
	v_cndmask_b32_e64 v8, 0, v8, s[28:29]
	v_mov_b32_e32 v12, 0x78
	v_cndmask_b32_e32 v15, v8, v12, vcc
	v_or_b32_e32 v9, 0x800000, v2
	v_add_u32_e32 v8, 20, v15
	v_cndmask_b32_e32 v2, v9, v2, vcc
	v_lshlrev_b64 v[8:9], v8, -1
	v_add_u32_e32 v12, 19, v15
	v_lshlrev_b64 v[12:13], v12, 1
	v_bfi_b32 v9, v9, 0, 0
	v_bfi_b32 v8, v8, 0, v2
	v_cmp_eq_u64_e64 s[28:29], v[8:9], v[12:13]
	v_lshrrev_b64 v[8:9], v15, v[2:3]
	v_mov_b32_e32 v13, v9
	v_mov_b32_e32 v12, v8
	s_and_saveexec_b64 s[38:39], s[28:29]
; %bb.9874:                             ;   in Loop: Header=BB4_9658 Depth=3
	v_bfe_u32 v2, v8, 20, 1
	v_add_co_u32_e64 v2, s[28:29], v8, v2
	v_add_co_u32_e64 v12, s[28:29], -1, v2
; %bb.9875:                             ;   in Loop: Header=BB4_9658 Depth=3
	s_or_b64 exec, exec, s[38:39]
	v_add_u32_e32 v2, 0xffffff81, v14
	v_mov_b32_e32 v9, 0xffffff82
	v_cndmask_b32_e32 v2, v2, v9, vcc
	v_lshrrev_b32_e32 v9, 23, v8
	v_add3_u32 v14, v15, v2, v9
	v_add_u32_e32 v13, 6, v14
	v_and_b32_e32 v2, 0xfffff, v12
	v_add_u32_e32 v2, v2, v8
	v_cmp_ne_u32_e32 vcc, 0, v13
                                        ; implicit-def: $vgpr8_vgpr9
                                        ; implicit-def: $vgpr12
	s_and_saveexec_b64 s[28:29], vcc
	s_xor_b64 s[28:29], exec, s[28:29]
; %bb.9876:                             ;   in Loop: Header=BB4_9658 Depth=3
	v_cmp_lt_u64_e32 vcc, s[74:75], v[2:3]
	v_add_u32_e32 v8, 7, v14
	v_cndmask_b32_e32 v12, v13, v8, vcc
	v_cndmask_b32_e64 v8, 0, 1, vcc
	v_lshrrev_b64 v[8:9], v8, v[2:3]
; %bb.9877:                             ;   in Loop: Header=BB4_9658 Depth=3
	s_andn2_saveexec_b64 s[28:29], s[28:29]
; %bb.9878:                             ;   in Loop: Header=BB4_9658 Depth=3
	v_mov_b32_e32 v9, v3
	v_bfe_u32 v12, v2, 23, 1
	v_mov_b32_e32 v8, v2
; %bb.9879:                             ;   in Loop: Header=BB4_9658 Depth=3
	s_or_b64 exec, exec, s[28:29]
	v_lshrrev_b64 v[8:9], 20, v[8:9]
	v_cmp_gt_i32_e32 vcc, 16, v12
	v_cndmask_b32_e32 v9, 0, v9, vcc
	v_cndmask_b32_e32 v8, 7, v8, vcc
	v_min_i32_e32 v2, 15, v12
	v_cmp_eq_u64_e64 s[28:29], 0, v[8:9]
	v_lshlrev_b32_e32 v2, 3, v2
	v_cmp_eq_u32_e32 vcc, 0, v12
	v_and_b32_e32 v2, 0xf8, v2
	v_and_or_b32 v2, v8, 7, v2
	s_and_b64 s[28:29], vcc, s[28:29]
	v_cndmask_b32_e64 v2, v2, 0, s[28:29]
	v_or_b32_e32 v51, v2, v6
.LBB4_9880:                             ;   in Loop: Header=BB4_9658 Depth=3
	s_or_b64 exec, exec, s[36:37]
                                        ; implicit-def: $vgpr6
.LBB4_9881:                             ;   in Loop: Header=BB4_9658 Depth=3
	s_andn2_saveexec_b64 s[28:29], s[34:35]
; %bb.9882:                             ;   in Loop: Header=BB4_9658 Depth=3
	v_or_b32_e32 v51, 0x7e, v6
; %bb.9883:                             ;   in Loop: Header=BB4_9658 Depth=3
	s_or_b64 exec, exec, s[28:29]
                                        ; implicit-def: $vgpr8
.LBB4_9884:                             ;   in Loop: Header=BB4_9658 Depth=3
	s_andn2_saveexec_b64 s[28:29], s[30:31]
; %bb.9885:                             ;   in Loop: Header=BB4_9658 Depth=3
	v_or_b32_sdwa v51, v8, s68 dst_sel:DWORD dst_unused:UNUSED_PAD src0_sel:BYTE_3 src1_sel:DWORD
; %bb.9886:                             ;   in Loop: Header=BB4_9658 Depth=3
	s_or_b64 exec, exec, s[28:29]
	v_lshrrev_b32_e32 v2, 16, v10
	v_cmp_ne_u16_sdwa vcc, v2, v3 src0_sel:BYTE_0 src1_sel:DWORD
	v_mov_b32_e32 v6, 0
	s_and_saveexec_b64 s[28:29], vcc
	s_cbranch_execz .LBB4_9892
; %bb.9887:                             ;   in Loop: Header=BB4_9658 Depth=3
	v_cmp_ne_u16_sdwa vcc, v2, s70 src0_sel:BYTE_0 src1_sel:DWORD
	v_bfrev_b32_e32 v6, 1
	s_and_saveexec_b64 s[30:31], vcc
	s_cbranch_execz .LBB4_9891
; %bb.9888:                             ;   in Loop: Header=BB4_9658 Depth=3
	v_bfe_u32 v8, v10, 16, 7
	v_cmp_ne_u32_e32 vcc, s68, v8
	v_mov_b32_e32 v6, 0x7f800001
	s_and_saveexec_b64 s[34:35], vcc
	s_cbranch_execz .LBB4_9890
; %bb.9889:                             ;   in Loop: Header=BB4_9658 Depth=3
	v_and_b32_e32 v6, 7, v2
	v_lshrrev_b32_e32 v12, 3, v8
	v_cmp_gt_u32_e32 vcc, 8, v8
	v_ffbh_u32_e32 v8, v6
	v_min_u32_e32 v13, 32, v8
	v_subrev_u32_e32 v8, 28, v13
	v_lshlrev_b64 v[8:9], v8, v[2:3]
	v_sub_u32_e32 v9, 29, v13
	v_and_b32_e32 v8, 7, v8
	v_cndmask_b32_e32 v9, v12, v9, vcc
	v_cndmask_b32_e32 v6, v6, v8, vcc
	v_lshlrev_b32_e32 v2, 24, v2
	v_lshlrev_b32_e32 v6, 20, v6
	v_and_b32_e32 v2, 0x80000000, v2
	v_lshl_add_u32 v8, v9, 23, v5
	v_or3_b32 v6, v2, v8, v6
.LBB4_9890:                             ;   in Loop: Header=BB4_9658 Depth=3
	s_or_b64 exec, exec, s[34:35]
.LBB4_9891:                             ;   in Loop: Header=BB4_9658 Depth=3
	s_or_b64 exec, exec, s[30:31]
.LBB4_9892:                             ;   in Loop: Header=BB4_9658 Depth=3
	s_or_b64 exec, exec, s[28:29]
	v_mul_f32_e32 v8, v7, v6
	v_and_b32_e32 v2, 0x7f800000, v8
	v_cmp_ne_u64_e32 vcc, s[62:63], v[2:3]
                                        ; implicit-def: $vgpr38
	s_and_saveexec_b64 s[28:29], vcc
	s_xor_b64 s[30:31], exec, s[28:29]
	s_cbranch_execz .LBB4_9906
; %bb.9893:                             ;   in Loop: Header=BB4_9658 Depth=3
	v_and_b32_e32 v2, 0x7fffffff, v8
	v_cmp_gt_u64_e32 vcc, s[72:73], v[2:3]
	v_and_b32_sdwa v6, v8, s70 dst_sel:DWORD dst_unused:UNUSED_PAD src0_sel:BYTE_3 src1_sel:DWORD
                                        ; implicit-def: $vgpr38
	s_and_saveexec_b64 s[28:29], vcc
	s_xor_b64 s[34:35], exec, s[28:29]
	s_cbranch_execz .LBB4_9903
; %bb.9894:                             ;   in Loop: Header=BB4_9658 Depth=3
	v_mov_b32_e32 v38, 0
	v_cmp_ne_u32_e32 vcc, 0, v8
	s_and_saveexec_b64 s[36:37], vcc
	s_cbranch_execz .LBB4_9902
; %bb.9895:                             ;   in Loop: Header=BB4_9658 Depth=3
	v_bfe_u32 v14, v8, 23, 8
	v_and_b32_e32 v2, 0x7fffff, v8
	v_cmp_gt_u32_e64 s[28:29], s71, v14
	v_sub_u32_e32 v8, 0x79, v14
	v_cmp_eq_u32_e32 vcc, 0, v14
	v_cndmask_b32_e64 v8, 0, v8, s[28:29]
	v_mov_b32_e32 v12, 0x78
	v_cndmask_b32_e32 v15, v8, v12, vcc
	v_or_b32_e32 v9, 0x800000, v2
	v_add_u32_e32 v8, 20, v15
	v_cndmask_b32_e32 v2, v9, v2, vcc
	v_lshlrev_b64 v[8:9], v8, -1
	v_add_u32_e32 v12, 19, v15
	v_lshlrev_b64 v[12:13], v12, 1
	v_bfi_b32 v9, v9, 0, 0
	v_bfi_b32 v8, v8, 0, v2
	v_cmp_eq_u64_e64 s[28:29], v[8:9], v[12:13]
	v_lshrrev_b64 v[8:9], v15, v[2:3]
	v_mov_b32_e32 v13, v9
	v_mov_b32_e32 v12, v8
	s_and_saveexec_b64 s[38:39], s[28:29]
; %bb.9896:                             ;   in Loop: Header=BB4_9658 Depth=3
	v_bfe_u32 v2, v8, 20, 1
	v_add_co_u32_e64 v2, s[28:29], v8, v2
	v_add_co_u32_e64 v12, s[28:29], -1, v2
; %bb.9897:                             ;   in Loop: Header=BB4_9658 Depth=3
	s_or_b64 exec, exec, s[38:39]
	v_add_u32_e32 v2, 0xffffff81, v14
	v_mov_b32_e32 v9, 0xffffff82
	v_cndmask_b32_e32 v2, v2, v9, vcc
	v_lshrrev_b32_e32 v9, 23, v8
	v_add3_u32 v14, v15, v2, v9
	v_add_u32_e32 v13, 6, v14
	v_and_b32_e32 v2, 0xfffff, v12
	v_add_u32_e32 v2, v2, v8
	v_cmp_ne_u32_e32 vcc, 0, v13
                                        ; implicit-def: $vgpr8_vgpr9
                                        ; implicit-def: $vgpr12
	s_and_saveexec_b64 s[28:29], vcc
	s_xor_b64 s[28:29], exec, s[28:29]
; %bb.9898:                             ;   in Loop: Header=BB4_9658 Depth=3
	v_cmp_lt_u64_e32 vcc, s[74:75], v[2:3]
	v_add_u32_e32 v8, 7, v14
	v_cndmask_b32_e32 v12, v13, v8, vcc
	v_cndmask_b32_e64 v8, 0, 1, vcc
	v_lshrrev_b64 v[8:9], v8, v[2:3]
; %bb.9899:                             ;   in Loop: Header=BB4_9658 Depth=3
	s_andn2_saveexec_b64 s[28:29], s[28:29]
; %bb.9900:                             ;   in Loop: Header=BB4_9658 Depth=3
	v_mov_b32_e32 v9, v3
	v_bfe_u32 v12, v2, 23, 1
	v_mov_b32_e32 v8, v2
; %bb.9901:                             ;   in Loop: Header=BB4_9658 Depth=3
	s_or_b64 exec, exec, s[28:29]
	v_lshrrev_b64 v[8:9], 20, v[8:9]
	v_cmp_gt_i32_e32 vcc, 16, v12
	v_cndmask_b32_e32 v9, 0, v9, vcc
	v_cndmask_b32_e32 v8, 7, v8, vcc
	v_min_i32_e32 v2, 15, v12
	v_cmp_eq_u64_e64 s[28:29], 0, v[8:9]
	v_lshlrev_b32_e32 v2, 3, v2
	v_cmp_eq_u32_e32 vcc, 0, v12
	v_and_b32_e32 v2, 0xf8, v2
	v_and_or_b32 v2, v8, 7, v2
	s_and_b64 s[28:29], vcc, s[28:29]
	v_cndmask_b32_e64 v2, v2, 0, s[28:29]
	v_or_b32_e32 v38, v2, v6
.LBB4_9902:                             ;   in Loop: Header=BB4_9658 Depth=3
	s_or_b64 exec, exec, s[36:37]
                                        ; implicit-def: $vgpr6
.LBB4_9903:                             ;   in Loop: Header=BB4_9658 Depth=3
	s_andn2_saveexec_b64 s[28:29], s[34:35]
; %bb.9904:                             ;   in Loop: Header=BB4_9658 Depth=3
	v_or_b32_e32 v38, 0x7e, v6
; %bb.9905:                             ;   in Loop: Header=BB4_9658 Depth=3
	s_or_b64 exec, exec, s[28:29]
                                        ; implicit-def: $vgpr8
.LBB4_9906:                             ;   in Loop: Header=BB4_9658 Depth=3
	s_andn2_saveexec_b64 s[28:29], s[30:31]
; %bb.9907:                             ;   in Loop: Header=BB4_9658 Depth=3
	v_or_b32_sdwa v38, v8, s68 dst_sel:DWORD dst_unused:UNUSED_PAD src0_sel:BYTE_3 src1_sel:DWORD
; %bb.9908:                             ;   in Loop: Header=BB4_9658 Depth=3
	s_or_b64 exec, exec, s[28:29]
	v_cmp_lt_u32_e32 vcc, s57, v10
	v_mov_b32_e32 v6, 0
	s_and_saveexec_b64 s[28:29], vcc
	s_cbranch_execz .LBB4_9914
; %bb.9909:                             ;   in Loop: Header=BB4_9658 Depth=3
	v_lshrrev_b32_e32 v2, 24, v10
	v_cmp_ne_u32_e32 vcc, s70, v2
	v_bfrev_b32_e32 v6, 1
	s_and_saveexec_b64 s[30:31], vcc
	s_cbranch_execz .LBB4_9913
; %bb.9910:                             ;   in Loop: Header=BB4_9658 Depth=3
	v_bfe_u32 v8, v10, 24, 7
	v_cmp_ne_u32_e32 vcc, s68, v8
	v_mov_b32_e32 v6, 0x7f800001
	s_and_saveexec_b64 s[34:35], vcc
	s_cbranch_execz .LBB4_9912
; %bb.9911:                             ;   in Loop: Header=BB4_9658 Depth=3
	v_and_b32_e32 v6, 7, v2
	v_lshrrev_b32_e32 v12, 3, v8
	v_cmp_gt_u32_e32 vcc, 8, v8
	v_ffbh_u32_e32 v8, v6
	v_min_u32_e32 v13, 32, v8
	v_subrev_u32_e32 v8, 28, v13
	v_lshlrev_b64 v[8:9], v8, v[2:3]
	v_sub_u32_e32 v9, 29, v13
	v_and_b32_e32 v8, 7, v8
	v_cndmask_b32_e32 v9, v12, v9, vcc
	v_cndmask_b32_e32 v6, v6, v8, vcc
	v_lshlrev_b32_e32 v2, 24, v2
	v_lshlrev_b32_e32 v6, 20, v6
	v_and_b32_e32 v2, 0x80000000, v2
	v_lshl_add_u32 v8, v9, 23, v5
	v_or3_b32 v6, v2, v8, v6
.LBB4_9912:                             ;   in Loop: Header=BB4_9658 Depth=3
	s_or_b64 exec, exec, s[34:35]
.LBB4_9913:                             ;   in Loop: Header=BB4_9658 Depth=3
	s_or_b64 exec, exec, s[30:31]
.LBB4_9914:                             ;   in Loop: Header=BB4_9658 Depth=3
	s_or_b64 exec, exec, s[28:29]
	v_mul_f32_e32 v8, v7, v6
	v_and_b32_e32 v2, 0x7f800000, v8
	v_cmp_ne_u64_e32 vcc, s[62:63], v[2:3]
                                        ; implicit-def: $vgpr36
	s_and_saveexec_b64 s[28:29], vcc
	s_xor_b64 s[30:31], exec, s[28:29]
	s_cbranch_execz .LBB4_9928
; %bb.9915:                             ;   in Loop: Header=BB4_9658 Depth=3
	v_and_b32_e32 v2, 0x7fffffff, v8
	v_cmp_gt_u64_e32 vcc, s[72:73], v[2:3]
	v_and_b32_sdwa v6, v8, s70 dst_sel:DWORD dst_unused:UNUSED_PAD src0_sel:BYTE_3 src1_sel:DWORD
                                        ; implicit-def: $vgpr36
	s_and_saveexec_b64 s[28:29], vcc
	s_xor_b64 s[34:35], exec, s[28:29]
	s_cbranch_execz .LBB4_9925
; %bb.9916:                             ;   in Loop: Header=BB4_9658 Depth=3
	v_mov_b32_e32 v36, 0
	v_cmp_ne_u32_e32 vcc, 0, v8
	s_and_saveexec_b64 s[36:37], vcc
	s_cbranch_execz .LBB4_9924
; %bb.9917:                             ;   in Loop: Header=BB4_9658 Depth=3
	v_bfe_u32 v14, v8, 23, 8
	v_and_b32_e32 v2, 0x7fffff, v8
	v_cmp_gt_u32_e64 s[28:29], s71, v14
	v_sub_u32_e32 v8, 0x79, v14
	v_cmp_eq_u32_e32 vcc, 0, v14
	v_cndmask_b32_e64 v8, 0, v8, s[28:29]
	v_mov_b32_e32 v12, 0x78
	v_cndmask_b32_e32 v15, v8, v12, vcc
	v_or_b32_e32 v9, 0x800000, v2
	v_add_u32_e32 v8, 20, v15
	v_cndmask_b32_e32 v2, v9, v2, vcc
	v_lshlrev_b64 v[8:9], v8, -1
	v_add_u32_e32 v12, 19, v15
	v_lshlrev_b64 v[12:13], v12, 1
	v_bfi_b32 v9, v9, 0, 0
	v_bfi_b32 v8, v8, 0, v2
	v_cmp_eq_u64_e64 s[28:29], v[8:9], v[12:13]
	v_lshrrev_b64 v[8:9], v15, v[2:3]
	v_mov_b32_e32 v13, v9
	v_mov_b32_e32 v12, v8
	s_and_saveexec_b64 s[38:39], s[28:29]
; %bb.9918:                             ;   in Loop: Header=BB4_9658 Depth=3
	v_bfe_u32 v2, v8, 20, 1
	v_add_co_u32_e64 v2, s[28:29], v8, v2
	v_add_co_u32_e64 v12, s[28:29], -1, v2
; %bb.9919:                             ;   in Loop: Header=BB4_9658 Depth=3
	s_or_b64 exec, exec, s[38:39]
	v_add_u32_e32 v2, 0xffffff81, v14
	v_mov_b32_e32 v9, 0xffffff82
	v_cndmask_b32_e32 v2, v2, v9, vcc
	v_lshrrev_b32_e32 v9, 23, v8
	v_add3_u32 v14, v15, v2, v9
	v_add_u32_e32 v13, 6, v14
	v_and_b32_e32 v2, 0xfffff, v12
	v_add_u32_e32 v2, v2, v8
	v_cmp_ne_u32_e32 vcc, 0, v13
                                        ; implicit-def: $vgpr8_vgpr9
                                        ; implicit-def: $vgpr12
	s_and_saveexec_b64 s[28:29], vcc
	s_xor_b64 s[28:29], exec, s[28:29]
; %bb.9920:                             ;   in Loop: Header=BB4_9658 Depth=3
	v_cmp_lt_u64_e32 vcc, s[74:75], v[2:3]
	v_add_u32_e32 v8, 7, v14
	v_cndmask_b32_e32 v12, v13, v8, vcc
	v_cndmask_b32_e64 v8, 0, 1, vcc
	v_lshrrev_b64 v[8:9], v8, v[2:3]
; %bb.9921:                             ;   in Loop: Header=BB4_9658 Depth=3
	s_andn2_saveexec_b64 s[28:29], s[28:29]
; %bb.9922:                             ;   in Loop: Header=BB4_9658 Depth=3
	v_mov_b32_e32 v9, v3
	v_bfe_u32 v12, v2, 23, 1
	v_mov_b32_e32 v8, v2
; %bb.9923:                             ;   in Loop: Header=BB4_9658 Depth=3
	s_or_b64 exec, exec, s[28:29]
	v_lshrrev_b64 v[8:9], 20, v[8:9]
	v_cmp_gt_i32_e32 vcc, 16, v12
	v_cndmask_b32_e32 v9, 0, v9, vcc
	v_cndmask_b32_e32 v8, 7, v8, vcc
	v_min_i32_e32 v2, 15, v12
	v_cmp_eq_u64_e64 s[28:29], 0, v[8:9]
	v_lshlrev_b32_e32 v2, 3, v2
	v_cmp_eq_u32_e32 vcc, 0, v12
	v_and_b32_e32 v2, 0xf8, v2
	v_and_or_b32 v2, v8, 7, v2
	s_and_b64 s[28:29], vcc, s[28:29]
	v_cndmask_b32_e64 v2, v2, 0, s[28:29]
	v_or_b32_e32 v36, v2, v6
.LBB4_9924:                             ;   in Loop: Header=BB4_9658 Depth=3
	s_or_b64 exec, exec, s[36:37]
                                        ; implicit-def: $vgpr6
.LBB4_9925:                             ;   in Loop: Header=BB4_9658 Depth=3
	s_andn2_saveexec_b64 s[28:29], s[34:35]
; %bb.9926:                             ;   in Loop: Header=BB4_9658 Depth=3
	v_or_b32_e32 v36, 0x7e, v6
; %bb.9927:                             ;   in Loop: Header=BB4_9658 Depth=3
	s_or_b64 exec, exec, s[28:29]
                                        ; implicit-def: $vgpr8
.LBB4_9928:                             ;   in Loop: Header=BB4_9658 Depth=3
	s_andn2_saveexec_b64 s[28:29], s[30:31]
; %bb.9929:                             ;   in Loop: Header=BB4_9658 Depth=3
	v_or_b32_sdwa v36, v8, s68 dst_sel:DWORD dst_unused:UNUSED_PAD src0_sel:BYTE_3 src1_sel:DWORD
; %bb.9930:                             ;   in Loop: Header=BB4_9658 Depth=3
	s_or_b64 exec, exec, s[28:29]
	v_mov_b32_e32 v2, v11
	v_cmp_ne_u16_sdwa vcc, v11, v3 src0_sel:BYTE_0 src1_sel:DWORD
	v_mov_b32_e32 v6, 0
	s_and_saveexec_b64 s[28:29], vcc
	s_cbranch_execz .LBB4_9936
; %bb.9931:                             ;   in Loop: Header=BB4_9658 Depth=3
	v_cmp_ne_u16_sdwa vcc, v11, s70 src0_sel:BYTE_0 src1_sel:DWORD
	v_bfrev_b32_e32 v6, 1
	s_and_saveexec_b64 s[30:31], vcc
	s_cbranch_execz .LBB4_9935
; %bb.9932:                             ;   in Loop: Header=BB4_9658 Depth=3
	v_and_b32_e32 v8, 0x7f, v11
	v_cmp_ne_u32_e32 vcc, s68, v8
	v_mov_b32_e32 v6, 0x7f800001
	s_and_saveexec_b64 s[34:35], vcc
	s_cbranch_execz .LBB4_9934
; %bb.9933:                             ;   in Loop: Header=BB4_9658 Depth=3
	v_and_b32_e32 v6, 7, v11
	v_ffbh_u32_e32 v6, v6
	v_min_u32_e32 v6, 32, v6
	v_lshrrev_b32_e32 v9, 3, v8
	v_cmp_gt_u32_e32 vcc, 8, v8
	v_subrev_u32_e32 v8, 28, v6
	v_sub_u32_e32 v6, 29, v6
	v_cndmask_b32_e32 v8, 0, v8, vcc
	v_cndmask_b32_e32 v6, v9, v6, vcc
	v_lshlrev_b64 v[8:9], v8, v[2:3]
	v_lshlrev_b32_e32 v9, 24, v2
	v_lshlrev_b32_e32 v8, 20, v8
	v_and_b32_e32 v8, 0x700000, v8
	v_and_b32_e32 v9, 0x80000000, v9
	v_lshl_add_u32 v6, v6, 23, v5
	v_or3_b32 v6, v9, v6, v8
.LBB4_9934:                             ;   in Loop: Header=BB4_9658 Depth=3
	s_or_b64 exec, exec, s[34:35]
.LBB4_9935:                             ;   in Loop: Header=BB4_9658 Depth=3
	s_or_b64 exec, exec, s[30:31]
.LBB4_9936:                             ;   in Loop: Header=BB4_9658 Depth=3
	s_or_b64 exec, exec, s[28:29]
	v_mul_f32_e32 v8, v7, v6
	v_and_b32_e32 v12, 0x7f800000, v8
	v_mov_b32_e32 v13, v3
	v_cmp_ne_u64_e32 vcc, s[62:63], v[12:13]
                                        ; implicit-def: $vgpr34
	s_and_saveexec_b64 s[28:29], vcc
	s_xor_b64 s[30:31], exec, s[28:29]
	s_cbranch_execz .LBB4_9950
; %bb.9937:                             ;   in Loop: Header=BB4_9658 Depth=3
	v_and_b32_e32 v12, 0x7fffffff, v8
	v_mov_b32_e32 v13, v3
	v_cmp_gt_u64_e32 vcc, s[72:73], v[12:13]
	v_and_b32_sdwa v6, v8, s70 dst_sel:DWORD dst_unused:UNUSED_PAD src0_sel:BYTE_3 src1_sel:DWORD
                                        ; implicit-def: $vgpr34
	s_and_saveexec_b64 s[28:29], vcc
	s_xor_b64 s[34:35], exec, s[28:29]
	s_cbranch_execz .LBB4_9947
; %bb.9938:                             ;   in Loop: Header=BB4_9658 Depth=3
	v_mov_b32_e32 v34, 0
	v_cmp_ne_u32_e32 vcc, 0, v8
	s_and_saveexec_b64 s[36:37], vcc
	s_cbranch_execz .LBB4_9946
; %bb.9939:                             ;   in Loop: Header=BB4_9658 Depth=3
	v_bfe_u32 v14, v8, 23, 8
	v_and_b32_e32 v9, 0x7fffff, v8
	v_cmp_gt_u32_e64 s[28:29], s71, v14
	v_sub_u32_e32 v8, 0x79, v14
	v_cmp_eq_u32_e32 vcc, 0, v14
	v_cndmask_b32_e64 v8, 0, v8, s[28:29]
	v_mov_b32_e32 v13, 0x78
	v_or_b32_e32 v12, 0x800000, v9
	v_cndmask_b32_e32 v15, v8, v13, vcc
	v_cndmask_b32_e32 v8, v12, v9, vcc
	v_add_u32_e32 v12, 20, v15
	v_lshlrev_b64 v[12:13], v12, -1
	v_mov_b32_e32 v9, v3
	v_add_u32_e32 v16, 19, v15
	v_bfi_b32 v12, v12, 0, v8
	v_lshlrev_b64 v[20:21], v16, 1
	v_lshrrev_b64 v[8:9], v15, v[8:9]
	v_bfi_b32 v13, v13, 0, 0
	v_cmp_eq_u64_e64 s[28:29], v[12:13], v[20:21]
	v_mov_b32_e32 v13, v9
	v_mov_b32_e32 v12, v8
	s_and_saveexec_b64 s[38:39], s[28:29]
; %bb.9940:                             ;   in Loop: Header=BB4_9658 Depth=3
	v_bfe_u32 v9, v8, 20, 1
	v_add_co_u32_e64 v9, s[28:29], v8, v9
	v_add_co_u32_e64 v12, s[28:29], -1, v9
; %bb.9941:                             ;   in Loop: Header=BB4_9658 Depth=3
	s_or_b64 exec, exec, s[38:39]
	v_add_u32_e32 v9, 0xffffff81, v14
	v_mov_b32_e32 v13, 0xffffff82
	v_cndmask_b32_e32 v9, v9, v13, vcc
	v_lshrrev_b32_e32 v13, 23, v8
	v_add3_u32 v14, v15, v9, v13
	v_add_u32_e32 v13, 6, v14
	v_and_b32_e32 v9, 0xfffff, v12
	v_add_u32_e32 v8, v9, v8
	v_mov_b32_e32 v9, v3
	v_cmp_ne_u32_e32 vcc, 0, v13
                                        ; implicit-def: $vgpr12
	s_and_saveexec_b64 s[28:29], vcc
	s_xor_b64 s[28:29], exec, s[28:29]
; %bb.9942:                             ;   in Loop: Header=BB4_9658 Depth=3
	v_cmp_lt_u64_e32 vcc, s[74:75], v[8:9]
	v_add_u32_e32 v12, 7, v14
	v_cndmask_b32_e32 v12, v13, v12, vcc
	v_cndmask_b32_e64 v13, 0, 1, vcc
	v_lshrrev_b64 v[8:9], v13, v[8:9]
; %bb.9943:                             ;   in Loop: Header=BB4_9658 Depth=3
	s_andn2_saveexec_b64 s[28:29], s[28:29]
; %bb.9944:                             ;   in Loop: Header=BB4_9658 Depth=3
	v_bfe_u32 v12, v8, 23, 1
; %bb.9945:                             ;   in Loop: Header=BB4_9658 Depth=3
	s_or_b64 exec, exec, s[28:29]
	v_lshrrev_b64 v[8:9], 20, v[8:9]
	v_cmp_gt_i32_e32 vcc, 16, v12
	v_cndmask_b32_e32 v9, 0, v9, vcc
	v_cndmask_b32_e32 v8, 7, v8, vcc
	v_cmp_eq_u64_e64 s[28:29], 0, v[8:9]
	v_min_i32_e32 v9, 15, v12
	v_lshlrev_b32_e32 v9, 3, v9
	v_cmp_eq_u32_e32 vcc, 0, v12
	v_and_b32_e32 v9, 0xf8, v9
	v_and_or_b32 v8, v8, 7, v9
	s_and_b64 s[28:29], vcc, s[28:29]
	v_cndmask_b32_e64 v8, v8, 0, s[28:29]
	v_or_b32_e32 v34, v8, v6
.LBB4_9946:                             ;   in Loop: Header=BB4_9658 Depth=3
	s_or_b64 exec, exec, s[36:37]
                                        ; implicit-def: $vgpr6
.LBB4_9947:                             ;   in Loop: Header=BB4_9658 Depth=3
	s_andn2_saveexec_b64 s[28:29], s[34:35]
; %bb.9948:                             ;   in Loop: Header=BB4_9658 Depth=3
	v_or_b32_e32 v34, 0x7e, v6
; %bb.9949:                             ;   in Loop: Header=BB4_9658 Depth=3
	s_or_b64 exec, exec, s[28:29]
                                        ; implicit-def: $vgpr8
.LBB4_9950:                             ;   in Loop: Header=BB4_9658 Depth=3
	s_andn2_saveexec_b64 s[28:29], s[30:31]
; %bb.9951:                             ;   in Loop: Header=BB4_9658 Depth=3
	v_or_b32_sdwa v34, v8, s68 dst_sel:DWORD dst_unused:UNUSED_PAD src0_sel:BYTE_3 src1_sel:DWORD
; %bb.9952:                             ;   in Loop: Header=BB4_9658 Depth=3
	s_or_b64 exec, exec, s[28:29]
	v_lshrrev_b16_e32 v8, 8, v2
	v_cmp_ne_u16_e32 vcc, 0, v8
	v_mov_b32_e32 v6, 0
	s_and_saveexec_b64 s[28:29], vcc
	s_cbranch_execz .LBB4_9958
; %bb.9953:                             ;   in Loop: Header=BB4_9658 Depth=3
	v_cmp_ne_u16_e32 vcc, s70, v8
	v_bfrev_b32_e32 v6, 1
	s_and_saveexec_b64 s[30:31], vcc
	s_cbranch_execz .LBB4_9957
; %bb.9954:                             ;   in Loop: Header=BB4_9658 Depth=3
	v_and_b32_e32 v9, 0x7f, v8
	v_cmp_ne_u32_e32 vcc, s68, v9
	v_mov_b32_e32 v6, 0x7f800001
	s_and_saveexec_b64 s[34:35], vcc
	s_cbranch_execz .LBB4_9956
; %bb.9955:                             ;   in Loop: Header=BB4_9658 Depth=3
	v_and_b32_e32 v6, 7, v8
	v_lshrrev_b32_e32 v12, 3, v9
	v_cmp_gt_u32_e32 vcc, 8, v9
	v_ffbh_u32_e32 v9, v6
	v_min_u32_e32 v13, 32, v9
	v_subrev_u32_e32 v9, 28, v13
	v_lshlrev_b64 v[8:9], v9, v[8:9]
	v_sub_u32_e32 v9, 29, v13
	v_and_b32_e32 v8, 7, v8
	v_cndmask_b32_e32 v9, v12, v9, vcc
	v_cndmask_b32_e32 v6, v6, v8, vcc
	v_lshlrev_b32_e32 v2, 16, v2
	v_lshlrev_b32_e32 v6, 20, v6
	v_and_b32_e32 v2, 0x80000000, v2
	v_lshl_add_u32 v8, v9, 23, v5
	v_or3_b32 v6, v2, v8, v6
.LBB4_9956:                             ;   in Loop: Header=BB4_9658 Depth=3
	s_or_b64 exec, exec, s[34:35]
.LBB4_9957:                             ;   in Loop: Header=BB4_9658 Depth=3
	s_or_b64 exec, exec, s[30:31]
.LBB4_9958:                             ;   in Loop: Header=BB4_9658 Depth=3
	s_or_b64 exec, exec, s[28:29]
	v_mul_f32_e32 v8, v7, v6
	v_and_b32_e32 v2, 0x7f800000, v8
	v_cmp_ne_u64_e32 vcc, s[62:63], v[2:3]
                                        ; implicit-def: $vgpr21
	s_and_saveexec_b64 s[28:29], vcc
	s_xor_b64 s[30:31], exec, s[28:29]
	s_cbranch_execz .LBB4_9972
; %bb.9959:                             ;   in Loop: Header=BB4_9658 Depth=3
	v_and_b32_e32 v2, 0x7fffffff, v8
	v_cmp_gt_u64_e32 vcc, s[72:73], v[2:3]
	v_and_b32_sdwa v6, v8, s70 dst_sel:DWORD dst_unused:UNUSED_PAD src0_sel:BYTE_3 src1_sel:DWORD
                                        ; implicit-def: $vgpr21
	s_and_saveexec_b64 s[28:29], vcc
	s_xor_b64 s[34:35], exec, s[28:29]
	s_cbranch_execz .LBB4_9969
; %bb.9960:                             ;   in Loop: Header=BB4_9658 Depth=3
	v_mov_b32_e32 v21, 0
	v_cmp_ne_u32_e32 vcc, 0, v8
	s_and_saveexec_b64 s[36:37], vcc
	s_cbranch_execz .LBB4_9968
; %bb.9961:                             ;   in Loop: Header=BB4_9658 Depth=3
	v_bfe_u32 v14, v8, 23, 8
	v_and_b32_e32 v2, 0x7fffff, v8
	v_cmp_gt_u32_e64 s[28:29], s71, v14
	v_sub_u32_e32 v8, 0x79, v14
	v_cmp_eq_u32_e32 vcc, 0, v14
	v_cndmask_b32_e64 v8, 0, v8, s[28:29]
	v_mov_b32_e32 v12, 0x78
	v_cndmask_b32_e32 v15, v8, v12, vcc
	v_or_b32_e32 v9, 0x800000, v2
	v_add_u32_e32 v8, 20, v15
	v_cndmask_b32_e32 v2, v9, v2, vcc
	v_lshlrev_b64 v[8:9], v8, -1
	v_add_u32_e32 v12, 19, v15
	v_lshlrev_b64 v[12:13], v12, 1
	v_bfi_b32 v9, v9, 0, 0
	v_bfi_b32 v8, v8, 0, v2
	v_cmp_eq_u64_e64 s[28:29], v[8:9], v[12:13]
	v_lshrrev_b64 v[8:9], v15, v[2:3]
	v_mov_b32_e32 v13, v9
	v_mov_b32_e32 v12, v8
	s_and_saveexec_b64 s[38:39], s[28:29]
; %bb.9962:                             ;   in Loop: Header=BB4_9658 Depth=3
	v_bfe_u32 v2, v8, 20, 1
	v_add_co_u32_e64 v2, s[28:29], v8, v2
	v_add_co_u32_e64 v12, s[28:29], -1, v2
; %bb.9963:                             ;   in Loop: Header=BB4_9658 Depth=3
	s_or_b64 exec, exec, s[38:39]
	v_add_u32_e32 v2, 0xffffff81, v14
	v_mov_b32_e32 v9, 0xffffff82
	v_cndmask_b32_e32 v2, v2, v9, vcc
	v_lshrrev_b32_e32 v9, 23, v8
	v_add3_u32 v14, v15, v2, v9
	v_add_u32_e32 v13, 6, v14
	v_and_b32_e32 v2, 0xfffff, v12
	v_add_u32_e32 v2, v2, v8
	v_cmp_ne_u32_e32 vcc, 0, v13
                                        ; implicit-def: $vgpr8_vgpr9
                                        ; implicit-def: $vgpr12
	s_and_saveexec_b64 s[28:29], vcc
	s_xor_b64 s[28:29], exec, s[28:29]
; %bb.9964:                             ;   in Loop: Header=BB4_9658 Depth=3
	v_cmp_lt_u64_e32 vcc, s[74:75], v[2:3]
	v_add_u32_e32 v8, 7, v14
	v_cndmask_b32_e32 v12, v13, v8, vcc
	v_cndmask_b32_e64 v8, 0, 1, vcc
	v_lshrrev_b64 v[8:9], v8, v[2:3]
; %bb.9965:                             ;   in Loop: Header=BB4_9658 Depth=3
	s_andn2_saveexec_b64 s[28:29], s[28:29]
; %bb.9966:                             ;   in Loop: Header=BB4_9658 Depth=3
	v_mov_b32_e32 v9, v3
	v_bfe_u32 v12, v2, 23, 1
	v_mov_b32_e32 v8, v2
; %bb.9967:                             ;   in Loop: Header=BB4_9658 Depth=3
	s_or_b64 exec, exec, s[28:29]
	v_lshrrev_b64 v[8:9], 20, v[8:9]
	v_cmp_gt_i32_e32 vcc, 16, v12
	v_cndmask_b32_e32 v9, 0, v9, vcc
	v_cndmask_b32_e32 v8, 7, v8, vcc
	v_min_i32_e32 v2, 15, v12
	v_cmp_eq_u64_e64 s[28:29], 0, v[8:9]
	v_lshlrev_b32_e32 v2, 3, v2
	v_cmp_eq_u32_e32 vcc, 0, v12
	v_and_b32_e32 v2, 0xf8, v2
	v_and_or_b32 v2, v8, 7, v2
	s_and_b64 s[28:29], vcc, s[28:29]
	v_cndmask_b32_e64 v2, v2, 0, s[28:29]
	v_or_b32_e32 v21, v2, v6
.LBB4_9968:                             ;   in Loop: Header=BB4_9658 Depth=3
	s_or_b64 exec, exec, s[36:37]
                                        ; implicit-def: $vgpr6
.LBB4_9969:                             ;   in Loop: Header=BB4_9658 Depth=3
	s_andn2_saveexec_b64 s[28:29], s[34:35]
; %bb.9970:                             ;   in Loop: Header=BB4_9658 Depth=3
	v_or_b32_e32 v21, 0x7e, v6
; %bb.9971:                             ;   in Loop: Header=BB4_9658 Depth=3
	s_or_b64 exec, exec, s[28:29]
                                        ; implicit-def: $vgpr8
.LBB4_9972:                             ;   in Loop: Header=BB4_9658 Depth=3
	s_andn2_saveexec_b64 s[28:29], s[30:31]
; %bb.9973:                             ;   in Loop: Header=BB4_9658 Depth=3
	v_or_b32_sdwa v21, v8, s68 dst_sel:DWORD dst_unused:UNUSED_PAD src0_sel:BYTE_3 src1_sel:DWORD
; %bb.9974:                             ;   in Loop: Header=BB4_9658 Depth=3
	s_or_b64 exec, exec, s[28:29]
	v_lshrrev_b32_e32 v2, 16, v11
	v_cmp_ne_u16_sdwa vcc, v2, v3 src0_sel:BYTE_0 src1_sel:DWORD
	v_mov_b32_e32 v6, 0
	s_and_saveexec_b64 s[28:29], vcc
	s_cbranch_execz .LBB4_9980
; %bb.9975:                             ;   in Loop: Header=BB4_9658 Depth=3
	v_cmp_ne_u16_sdwa vcc, v2, s70 src0_sel:BYTE_0 src1_sel:DWORD
	v_bfrev_b32_e32 v6, 1
	s_and_saveexec_b64 s[30:31], vcc
	s_cbranch_execz .LBB4_9979
; %bb.9976:                             ;   in Loop: Header=BB4_9658 Depth=3
	v_bfe_u32 v8, v11, 16, 7
	v_cmp_ne_u32_e32 vcc, s68, v8
	v_mov_b32_e32 v6, 0x7f800001
	s_and_saveexec_b64 s[34:35], vcc
	s_cbranch_execz .LBB4_9978
; %bb.9977:                             ;   in Loop: Header=BB4_9658 Depth=3
	v_and_b32_e32 v6, 7, v2
	v_lshrrev_b32_e32 v12, 3, v8
	v_cmp_gt_u32_e32 vcc, 8, v8
	v_ffbh_u32_e32 v8, v6
	v_min_u32_e32 v13, 32, v8
	v_subrev_u32_e32 v8, 28, v13
	v_lshlrev_b64 v[8:9], v8, v[2:3]
	v_sub_u32_e32 v9, 29, v13
	v_and_b32_e32 v8, 7, v8
	v_cndmask_b32_e32 v9, v12, v9, vcc
	v_cndmask_b32_e32 v6, v6, v8, vcc
	v_lshlrev_b32_e32 v2, 24, v2
	v_lshlrev_b32_e32 v6, 20, v6
	v_and_b32_e32 v2, 0x80000000, v2
	v_lshl_add_u32 v8, v9, 23, v5
	v_or3_b32 v6, v2, v8, v6
.LBB4_9978:                             ;   in Loop: Header=BB4_9658 Depth=3
	s_or_b64 exec, exec, s[34:35]
.LBB4_9979:                             ;   in Loop: Header=BB4_9658 Depth=3
	s_or_b64 exec, exec, s[30:31]
.LBB4_9980:                             ;   in Loop: Header=BB4_9658 Depth=3
	s_or_b64 exec, exec, s[28:29]
	v_mul_f32_e32 v8, v7, v6
	v_and_b32_e32 v2, 0x7f800000, v8
	v_cmp_ne_u64_e32 vcc, s[62:63], v[2:3]
                                        ; implicit-def: $vgpr52
	s_and_saveexec_b64 s[28:29], vcc
	s_xor_b64 s[30:31], exec, s[28:29]
	s_cbranch_execz .LBB4_9994
; %bb.9981:                             ;   in Loop: Header=BB4_9658 Depth=3
	v_and_b32_e32 v2, 0x7fffffff, v8
	v_cmp_gt_u64_e32 vcc, s[72:73], v[2:3]
	v_and_b32_sdwa v6, v8, s70 dst_sel:DWORD dst_unused:UNUSED_PAD src0_sel:BYTE_3 src1_sel:DWORD
                                        ; implicit-def: $vgpr52
	s_and_saveexec_b64 s[28:29], vcc
	s_xor_b64 s[34:35], exec, s[28:29]
	s_cbranch_execz .LBB4_9991
; %bb.9982:                             ;   in Loop: Header=BB4_9658 Depth=3
	v_mov_b32_e32 v52, 0
	v_cmp_ne_u32_e32 vcc, 0, v8
	s_and_saveexec_b64 s[36:37], vcc
	s_cbranch_execz .LBB4_9990
; %bb.9983:                             ;   in Loop: Header=BB4_9658 Depth=3
	v_bfe_u32 v14, v8, 23, 8
	v_and_b32_e32 v2, 0x7fffff, v8
	v_cmp_gt_u32_e64 s[28:29], s71, v14
	v_sub_u32_e32 v8, 0x79, v14
	v_cmp_eq_u32_e32 vcc, 0, v14
	v_cndmask_b32_e64 v8, 0, v8, s[28:29]
	v_mov_b32_e32 v12, 0x78
	v_cndmask_b32_e32 v15, v8, v12, vcc
	v_or_b32_e32 v9, 0x800000, v2
	v_add_u32_e32 v8, 20, v15
	v_cndmask_b32_e32 v2, v9, v2, vcc
	v_lshlrev_b64 v[8:9], v8, -1
	v_add_u32_e32 v12, 19, v15
	v_lshlrev_b64 v[12:13], v12, 1
	v_bfi_b32 v9, v9, 0, 0
	v_bfi_b32 v8, v8, 0, v2
	v_cmp_eq_u64_e64 s[28:29], v[8:9], v[12:13]
	v_lshrrev_b64 v[8:9], v15, v[2:3]
	v_mov_b32_e32 v13, v9
	v_mov_b32_e32 v12, v8
	s_and_saveexec_b64 s[38:39], s[28:29]
; %bb.9984:                             ;   in Loop: Header=BB4_9658 Depth=3
	v_bfe_u32 v2, v8, 20, 1
	v_add_co_u32_e64 v2, s[28:29], v8, v2
	v_add_co_u32_e64 v12, s[28:29], -1, v2
; %bb.9985:                             ;   in Loop: Header=BB4_9658 Depth=3
	s_or_b64 exec, exec, s[38:39]
	v_add_u32_e32 v2, 0xffffff81, v14
	v_mov_b32_e32 v9, 0xffffff82
	v_cndmask_b32_e32 v2, v2, v9, vcc
	v_lshrrev_b32_e32 v9, 23, v8
	v_add3_u32 v14, v15, v2, v9
	v_add_u32_e32 v13, 6, v14
	v_and_b32_e32 v2, 0xfffff, v12
	v_add_u32_e32 v2, v2, v8
	v_cmp_ne_u32_e32 vcc, 0, v13
                                        ; implicit-def: $vgpr8_vgpr9
                                        ; implicit-def: $vgpr12
	s_and_saveexec_b64 s[28:29], vcc
	s_xor_b64 s[28:29], exec, s[28:29]
; %bb.9986:                             ;   in Loop: Header=BB4_9658 Depth=3
	v_cmp_lt_u64_e32 vcc, s[74:75], v[2:3]
	v_add_u32_e32 v8, 7, v14
	v_cndmask_b32_e32 v12, v13, v8, vcc
	v_cndmask_b32_e64 v8, 0, 1, vcc
	v_lshrrev_b64 v[8:9], v8, v[2:3]
; %bb.9987:                             ;   in Loop: Header=BB4_9658 Depth=3
	s_andn2_saveexec_b64 s[28:29], s[28:29]
; %bb.9988:                             ;   in Loop: Header=BB4_9658 Depth=3
	v_mov_b32_e32 v9, v3
	v_bfe_u32 v12, v2, 23, 1
	v_mov_b32_e32 v8, v2
; %bb.9989:                             ;   in Loop: Header=BB4_9658 Depth=3
	s_or_b64 exec, exec, s[28:29]
	v_lshrrev_b64 v[8:9], 20, v[8:9]
	v_cmp_gt_i32_e32 vcc, 16, v12
	v_cndmask_b32_e32 v9, 0, v9, vcc
	v_cndmask_b32_e32 v8, 7, v8, vcc
	v_min_i32_e32 v2, 15, v12
	v_cmp_eq_u64_e64 s[28:29], 0, v[8:9]
	v_lshlrev_b32_e32 v2, 3, v2
	v_cmp_eq_u32_e32 vcc, 0, v12
	v_and_b32_e32 v2, 0xf8, v2
	v_and_or_b32 v2, v8, 7, v2
	s_and_b64 s[28:29], vcc, s[28:29]
	v_cndmask_b32_e64 v2, v2, 0, s[28:29]
	v_or_b32_e32 v52, v2, v6
.LBB4_9990:                             ;   in Loop: Header=BB4_9658 Depth=3
	s_or_b64 exec, exec, s[36:37]
                                        ; implicit-def: $vgpr6
.LBB4_9991:                             ;   in Loop: Header=BB4_9658 Depth=3
	s_andn2_saveexec_b64 s[28:29], s[34:35]
; %bb.9992:                             ;   in Loop: Header=BB4_9658 Depth=3
	v_or_b32_e32 v52, 0x7e, v6
; %bb.9993:                             ;   in Loop: Header=BB4_9658 Depth=3
	s_or_b64 exec, exec, s[28:29]
                                        ; implicit-def: $vgpr8
.LBB4_9994:                             ;   in Loop: Header=BB4_9658 Depth=3
	s_andn2_saveexec_b64 s[28:29], s[30:31]
; %bb.9995:                             ;   in Loop: Header=BB4_9658 Depth=3
	v_or_b32_sdwa v52, v8, s68 dst_sel:DWORD dst_unused:UNUSED_PAD src0_sel:BYTE_3 src1_sel:DWORD
; %bb.9996:                             ;   in Loop: Header=BB4_9658 Depth=3
	s_or_b64 exec, exec, s[28:29]
	v_cmp_lt_u64_e32 vcc, s[56:57], v[10:11]
	v_mov_b32_e32 v6, 0
	s_and_saveexec_b64 s[28:29], vcc
	s_cbranch_execz .LBB4_10002
; %bb.9997:                             ;   in Loop: Header=BB4_9658 Depth=3
	v_lshrrev_b32_e32 v2, 24, v11
	v_cmp_ne_u32_e32 vcc, s70, v2
	v_bfrev_b32_e32 v6, 1
	s_and_saveexec_b64 s[30:31], vcc
	s_cbranch_execz .LBB4_10001
; %bb.9998:                             ;   in Loop: Header=BB4_9658 Depth=3
	v_bfe_u32 v8, v11, 24, 7
	v_cmp_ne_u32_e32 vcc, s68, v8
	v_mov_b32_e32 v6, 0x7f800001
	s_and_saveexec_b64 s[34:35], vcc
	s_cbranch_execz .LBB4_10000
; %bb.9999:                             ;   in Loop: Header=BB4_9658 Depth=3
	v_and_b32_e32 v6, 7, v2
	v_lshrrev_b32_e32 v10, 3, v8
	v_cmp_gt_u32_e32 vcc, 8, v8
	v_ffbh_u32_e32 v8, v6
	v_min_u32_e32 v11, 32, v8
	v_subrev_u32_e32 v8, 28, v11
	v_lshlrev_b64 v[8:9], v8, v[2:3]
	v_sub_u32_e32 v9, 29, v11
	v_and_b32_e32 v8, 7, v8
	v_cndmask_b32_e32 v9, v10, v9, vcc
	v_cndmask_b32_e32 v6, v6, v8, vcc
	v_lshlrev_b32_e32 v2, 24, v2
	v_lshlrev_b32_e32 v6, 20, v6
	v_and_b32_e32 v2, 0x80000000, v2
	v_lshl_add_u32 v8, v9, 23, v5
	v_or3_b32 v6, v2, v8, v6
.LBB4_10000:                            ;   in Loop: Header=BB4_9658 Depth=3
	s_or_b64 exec, exec, s[34:35]
.LBB4_10001:                            ;   in Loop: Header=BB4_9658 Depth=3
	s_or_b64 exec, exec, s[30:31]
.LBB4_10002:                            ;   in Loop: Header=BB4_9658 Depth=3
	s_or_b64 exec, exec, s[28:29]
	v_mul_f32_e32 v8, v7, v6
	v_and_b32_e32 v2, 0x7f800000, v8
	v_cmp_ne_u64_e32 vcc, s[62:63], v[2:3]
                                        ; implicit-def: $vgpr48
	s_and_saveexec_b64 s[28:29], vcc
	s_xor_b64 s[30:31], exec, s[28:29]
	s_cbranch_execz .LBB4_10016
; %bb.10003:                            ;   in Loop: Header=BB4_9658 Depth=3
	v_and_b32_e32 v2, 0x7fffffff, v8
	v_cmp_gt_u64_e32 vcc, s[72:73], v[2:3]
	v_and_b32_sdwa v6, v8, s70 dst_sel:DWORD dst_unused:UNUSED_PAD src0_sel:BYTE_3 src1_sel:DWORD
                                        ; implicit-def: $vgpr48
	s_and_saveexec_b64 s[28:29], vcc
	s_xor_b64 s[34:35], exec, s[28:29]
	s_cbranch_execz .LBB4_10013
; %bb.10004:                            ;   in Loop: Header=BB4_9658 Depth=3
	v_mov_b32_e32 v48, 0
	v_cmp_ne_u32_e32 vcc, 0, v8
	s_and_saveexec_b64 s[36:37], vcc
	s_cbranch_execz .LBB4_10012
; %bb.10005:                            ;   in Loop: Header=BB4_9658 Depth=3
	v_bfe_u32 v11, v8, 23, 8
	v_and_b32_e32 v2, 0x7fffff, v8
	v_cmp_gt_u32_e64 s[28:29], s71, v11
	v_sub_u32_e32 v8, 0x79, v11
	v_cmp_eq_u32_e32 vcc, 0, v11
	v_cndmask_b32_e64 v8, 0, v8, s[28:29]
	v_mov_b32_e32 v10, 0x78
	v_cndmask_b32_e32 v12, v8, v10, vcc
	v_or_b32_e32 v9, 0x800000, v2
	v_add_u32_e32 v8, 20, v12
	v_cndmask_b32_e32 v2, v9, v2, vcc
	v_lshlrev_b64 v[8:9], v8, -1
	v_add_u32_e32 v10, 19, v12
	v_lshlrev_b64 v[13:14], v10, 1
	v_bfi_b32 v9, v9, 0, 0
	v_bfi_b32 v8, v8, 0, v2
	v_cmp_eq_u64_e64 s[28:29], v[8:9], v[13:14]
	v_lshrrev_b64 v[8:9], v12, v[2:3]
	v_mov_b32_e32 v10, v9
	v_mov_b32_e32 v9, v8
	s_and_saveexec_b64 s[38:39], s[28:29]
; %bb.10006:                            ;   in Loop: Header=BB4_9658 Depth=3
	v_bfe_u32 v2, v8, 20, 1
	v_add_co_u32_e64 v2, s[28:29], v8, v2
	v_add_co_u32_e64 v9, s[28:29], -1, v2
; %bb.10007:                            ;   in Loop: Header=BB4_9658 Depth=3
	s_or_b64 exec, exec, s[38:39]
	v_add_u32_e32 v2, 0xffffff81, v11
	v_mov_b32_e32 v10, 0xffffff82
	v_cndmask_b32_e32 v2, v2, v10, vcc
	v_lshrrev_b32_e32 v10, 23, v8
	v_add3_u32 v12, v12, v2, v10
	v_add_u32_e32 v11, 6, v12
	v_and_b32_e32 v2, 0xfffff, v9
	v_add_u32_e32 v2, v2, v8
	v_cmp_ne_u32_e32 vcc, 0, v11
                                        ; implicit-def: $vgpr8_vgpr9
                                        ; implicit-def: $vgpr10
	s_and_saveexec_b64 s[28:29], vcc
	s_xor_b64 s[28:29], exec, s[28:29]
; %bb.10008:                            ;   in Loop: Header=BB4_9658 Depth=3
	v_cmp_lt_u64_e32 vcc, s[74:75], v[2:3]
	v_add_u32_e32 v8, 7, v12
	v_cndmask_b32_e32 v10, v11, v8, vcc
	v_cndmask_b32_e64 v8, 0, 1, vcc
	v_lshrrev_b64 v[8:9], v8, v[2:3]
; %bb.10009:                            ;   in Loop: Header=BB4_9658 Depth=3
	s_andn2_saveexec_b64 s[28:29], s[28:29]
; %bb.10010:                            ;   in Loop: Header=BB4_9658 Depth=3
	v_mov_b32_e32 v9, v3
	v_bfe_u32 v10, v2, 23, 1
	v_mov_b32_e32 v8, v2
; %bb.10011:                            ;   in Loop: Header=BB4_9658 Depth=3
	s_or_b64 exec, exec, s[28:29]
	v_lshrrev_b64 v[8:9], 20, v[8:9]
	v_cmp_gt_i32_e32 vcc, 16, v10
	v_cndmask_b32_e32 v9, 0, v9, vcc
	v_cndmask_b32_e32 v8, 7, v8, vcc
	v_min_i32_e32 v2, 15, v10
	v_cmp_eq_u64_e64 s[28:29], 0, v[8:9]
	v_lshlrev_b32_e32 v2, 3, v2
	v_cmp_eq_u32_e32 vcc, 0, v10
	v_and_b32_e32 v2, 0xf8, v2
	v_and_or_b32 v2, v8, 7, v2
	s_and_b64 s[28:29], vcc, s[28:29]
	v_cndmask_b32_e64 v2, v2, 0, s[28:29]
	v_or_b32_e32 v48, v2, v6
.LBB4_10012:                            ;   in Loop: Header=BB4_9658 Depth=3
	s_or_b64 exec, exec, s[36:37]
                                        ; implicit-def: $vgpr6
.LBB4_10013:                            ;   in Loop: Header=BB4_9658 Depth=3
	s_andn2_saveexec_b64 s[28:29], s[34:35]
; %bb.10014:                            ;   in Loop: Header=BB4_9658 Depth=3
	v_or_b32_e32 v48, 0x7e, v6
; %bb.10015:                            ;   in Loop: Header=BB4_9658 Depth=3
	s_or_b64 exec, exec, s[28:29]
                                        ; implicit-def: $vgpr8
.LBB4_10016:                            ;   in Loop: Header=BB4_9658 Depth=3
	s_andn2_saveexec_b64 s[28:29], s[30:31]
; %bb.10017:                            ;   in Loop: Header=BB4_9658 Depth=3
	v_or_b32_sdwa v48, v8, s68 dst_sel:DWORD dst_unused:UNUSED_PAD src0_sel:BYTE_3 src1_sel:DWORD
; %bb.10018:                            ;   in Loop: Header=BB4_9658 Depth=3
	s_or_b64 exec, exec, s[28:29]
	global_load_dwordx4 v[8:11], v[42:43], off offset:1024 glc slc
	v_mov_b32_e32 v2, 0
	s_waitcnt vmcnt(0)
	v_cmp_ne_u16_sdwa vcc, v8, v3 src0_sel:BYTE_0 src1_sel:DWORD
	s_and_saveexec_b64 s[28:29], vcc
	s_cbranch_execz .LBB4_10024
; %bb.10019:                            ;   in Loop: Header=BB4_9658 Depth=3
	v_cmp_ne_u16_sdwa vcc, v8, s70 src0_sel:BYTE_0 src1_sel:DWORD
	v_bfrev_b32_e32 v2, 1
	s_and_saveexec_b64 s[30:31], vcc
	s_cbranch_execz .LBB4_10023
; %bb.10020:                            ;   in Loop: Header=BB4_9658 Depth=3
	v_and_b32_e32 v6, 0x7f, v8
	v_cmp_ne_u32_e32 vcc, s68, v6
	v_mov_b32_e32 v2, 0x7f800001
	s_and_saveexec_b64 s[34:35], vcc
	s_cbranch_execz .LBB4_10022
; %bb.10021:                            ;   in Loop: Header=BB4_9658 Depth=3
	v_and_b32_e32 v2, 7, v8
	v_ffbh_u32_e32 v2, v2
	v_min_u32_e32 v2, 32, v2
	v_lshrrev_b32_e32 v12, 3, v6
	v_cmp_gt_u32_e32 vcc, 8, v6
	v_subrev_u32_e32 v6, 28, v2
	v_sub_u32_e32 v2, 29, v2
	v_cndmask_b32_e32 v6, 0, v6, vcc
	v_cndmask_b32_e32 v2, v12, v2, vcc
	v_lshlrev_b64 v[12:13], v6, v[8:9]
	v_lshl_add_u32 v2, v2, 23, v5
	v_lshlrev_b32_e32 v6, 20, v12
	v_lshlrev_b32_e32 v12, 24, v8
	v_and_b32_e32 v6, 0x700000, v6
	v_and_b32_e32 v12, 0x80000000, v12
	v_or3_b32 v2, v12, v2, v6
.LBB4_10022:                            ;   in Loop: Header=BB4_9658 Depth=3
	s_or_b64 exec, exec, s[34:35]
.LBB4_10023:                            ;   in Loop: Header=BB4_9658 Depth=3
	s_or_b64 exec, exec, s[30:31]
.LBB4_10024:                            ;   in Loop: Header=BB4_9658 Depth=3
	s_or_b64 exec, exec, s[28:29]
	v_mul_f32_e32 v12, v7, v2
	v_and_b32_e32 v2, 0x7f800000, v12
	v_cmp_ne_u64_e32 vcc, s[62:63], v[2:3]
                                        ; implicit-def: $vgpr35
	s_and_saveexec_b64 s[28:29], vcc
	s_xor_b64 s[30:31], exec, s[28:29]
	s_cbranch_execz .LBB4_10038
; %bb.10025:                            ;   in Loop: Header=BB4_9658 Depth=3
	v_and_b32_e32 v2, 0x7fffffff, v12
	v_cmp_gt_u64_e32 vcc, s[72:73], v[2:3]
	v_and_b32_sdwa v6, v12, s70 dst_sel:DWORD dst_unused:UNUSED_PAD src0_sel:BYTE_3 src1_sel:DWORD
                                        ; implicit-def: $vgpr35
	s_and_saveexec_b64 s[28:29], vcc
	s_xor_b64 s[34:35], exec, s[28:29]
	s_cbranch_execz .LBB4_10035
; %bb.10026:                            ;   in Loop: Header=BB4_9658 Depth=3
	v_mov_b32_e32 v35, 0
	v_cmp_ne_u32_e32 vcc, 0, v12
	s_and_saveexec_b64 s[36:37], vcc
	s_cbranch_execz .LBB4_10034
; %bb.10027:                            ;   in Loop: Header=BB4_9658 Depth=3
	v_bfe_u32 v15, v12, 23, 8
	v_and_b32_e32 v2, 0x7fffff, v12
	v_cmp_gt_u32_e64 s[28:29], s71, v15
	v_sub_u32_e32 v12, 0x79, v15
	v_cmp_eq_u32_e32 vcc, 0, v15
	v_cndmask_b32_e64 v12, 0, v12, s[28:29]
	v_mov_b32_e32 v14, 0x78
	v_cndmask_b32_e32 v16, v12, v14, vcc
	v_or_b32_e32 v13, 0x800000, v2
	v_add_u32_e32 v12, 20, v16
	v_cndmask_b32_e32 v2, v13, v2, vcc
	v_lshlrev_b64 v[12:13], v12, -1
	v_add_u32_e32 v14, 19, v16
	v_lshlrev_b64 v[29:30], v14, 1
	v_bfi_b32 v13, v13, 0, 0
	v_bfi_b32 v12, v12, 0, v2
	v_cmp_eq_u64_e64 s[28:29], v[12:13], v[29:30]
	v_lshrrev_b64 v[12:13], v16, v[2:3]
	v_mov_b32_e32 v14, v13
	v_mov_b32_e32 v13, v12
	s_and_saveexec_b64 s[38:39], s[28:29]
; %bb.10028:                            ;   in Loop: Header=BB4_9658 Depth=3
	v_bfe_u32 v2, v12, 20, 1
	v_add_co_u32_e64 v2, s[28:29], v12, v2
	v_add_co_u32_e64 v13, s[28:29], -1, v2
; %bb.10029:                            ;   in Loop: Header=BB4_9658 Depth=3
	s_or_b64 exec, exec, s[38:39]
	v_add_u32_e32 v2, 0xffffff81, v15
	v_mov_b32_e32 v14, 0xffffff82
	v_cndmask_b32_e32 v2, v2, v14, vcc
	v_lshrrev_b32_e32 v14, 23, v12
	v_add3_u32 v16, v16, v2, v14
	v_add_u32_e32 v15, 6, v16
	v_and_b32_e32 v2, 0xfffff, v13
	v_add_u32_e32 v2, v2, v12
	v_cmp_ne_u32_e32 vcc, 0, v15
                                        ; implicit-def: $vgpr12_vgpr13
                                        ; implicit-def: $vgpr14
	s_and_saveexec_b64 s[28:29], vcc
	s_xor_b64 s[28:29], exec, s[28:29]
; %bb.10030:                            ;   in Loop: Header=BB4_9658 Depth=3
	v_cmp_lt_u64_e32 vcc, s[74:75], v[2:3]
	v_add_u32_e32 v12, 7, v16
	v_cndmask_b32_e32 v14, v15, v12, vcc
	v_cndmask_b32_e64 v12, 0, 1, vcc
	v_lshrrev_b64 v[12:13], v12, v[2:3]
; %bb.10031:                            ;   in Loop: Header=BB4_9658 Depth=3
	s_andn2_saveexec_b64 s[28:29], s[28:29]
; %bb.10032:                            ;   in Loop: Header=BB4_9658 Depth=3
	v_mov_b32_e32 v13, v3
	v_bfe_u32 v14, v2, 23, 1
	v_mov_b32_e32 v12, v2
; %bb.10033:                            ;   in Loop: Header=BB4_9658 Depth=3
	s_or_b64 exec, exec, s[28:29]
	v_lshrrev_b64 v[12:13], 20, v[12:13]
	v_cmp_gt_i32_e32 vcc, 16, v14
	v_cndmask_b32_e32 v13, 0, v13, vcc
	v_cndmask_b32_e32 v12, 7, v12, vcc
	v_min_i32_e32 v2, 15, v14
	v_cmp_eq_u64_e64 s[28:29], 0, v[12:13]
	v_lshlrev_b32_e32 v2, 3, v2
	v_cmp_eq_u32_e32 vcc, 0, v14
	v_and_b32_e32 v2, 0xf8, v2
	v_and_or_b32 v2, v12, 7, v2
	s_and_b64 s[28:29], vcc, s[28:29]
	v_cndmask_b32_e64 v2, v2, 0, s[28:29]
	v_or_b32_e32 v35, v2, v6
.LBB4_10034:                            ;   in Loop: Header=BB4_9658 Depth=3
	s_or_b64 exec, exec, s[36:37]
                                        ; implicit-def: $vgpr6
.LBB4_10035:                            ;   in Loop: Header=BB4_9658 Depth=3
	s_andn2_saveexec_b64 s[28:29], s[34:35]
; %bb.10036:                            ;   in Loop: Header=BB4_9658 Depth=3
	v_or_b32_e32 v35, 0x7e, v6
; %bb.10037:                            ;   in Loop: Header=BB4_9658 Depth=3
	s_or_b64 exec, exec, s[28:29]
                                        ; implicit-def: $vgpr12
.LBB4_10038:                            ;   in Loop: Header=BB4_9658 Depth=3
	s_andn2_saveexec_b64 s[28:29], s[30:31]
; %bb.10039:                            ;   in Loop: Header=BB4_9658 Depth=3
	v_or_b32_sdwa v35, v12, s68 dst_sel:DWORD dst_unused:UNUSED_PAD src0_sel:BYTE_3 src1_sel:DWORD
; %bb.10040:                            ;   in Loop: Header=BB4_9658 Depth=3
	s_or_b64 exec, exec, s[28:29]
	v_lshrrev_b16_e32 v2, 8, v8
	v_cmp_ne_u16_e32 vcc, 0, v2
	v_mov_b32_e32 v6, 0
	s_and_saveexec_b64 s[28:29], vcc
	s_cbranch_execz .LBB4_10046
; %bb.10041:                            ;   in Loop: Header=BB4_9658 Depth=3
	v_cmp_ne_u16_e32 vcc, s70, v2
	v_bfrev_b32_e32 v6, 1
	s_and_saveexec_b64 s[30:31], vcc
	s_cbranch_execz .LBB4_10045
; %bb.10042:                            ;   in Loop: Header=BB4_9658 Depth=3
	v_and_b32_e32 v12, 0x7f, v2
	v_cmp_ne_u32_e32 vcc, s68, v12
	v_mov_b32_e32 v6, 0x7f800001
	s_and_saveexec_b64 s[34:35], vcc
	s_cbranch_execz .LBB4_10044
; %bb.10043:                            ;   in Loop: Header=BB4_9658 Depth=3
	v_and_b32_e32 v6, 7, v2
	v_lshrrev_b32_e32 v14, 3, v12
	v_cmp_gt_u32_e32 vcc, 8, v12
	v_ffbh_u32_e32 v12, v6
	v_min_u32_e32 v15, 32, v12
	v_subrev_u32_e32 v12, 28, v15
	v_lshlrev_b64 v[12:13], v12, v[2:3]
	v_sub_u32_e32 v2, 29, v15
	v_and_b32_e32 v12, 7, v12
	v_cndmask_b32_e32 v2, v14, v2, vcc
	v_cndmask_b32_e32 v6, v6, v12, vcc
	v_lshlrev_b32_e32 v12, 16, v8
	v_lshlrev_b32_e32 v6, 20, v6
	v_and_b32_e32 v12, 0x80000000, v12
	v_lshl_add_u32 v2, v2, 23, v5
	v_or3_b32 v6, v12, v2, v6
.LBB4_10044:                            ;   in Loop: Header=BB4_9658 Depth=3
	s_or_b64 exec, exec, s[34:35]
.LBB4_10045:                            ;   in Loop: Header=BB4_9658 Depth=3
	s_or_b64 exec, exec, s[30:31]
.LBB4_10046:                            ;   in Loop: Header=BB4_9658 Depth=3
	s_or_b64 exec, exec, s[28:29]
	v_mul_f32_e32 v12, v7, v6
	v_and_b32_e32 v2, 0x7f800000, v12
	v_cmp_ne_u64_e32 vcc, s[62:63], v[2:3]
                                        ; implicit-def: $vgpr59
	s_and_saveexec_b64 s[28:29], vcc
	s_xor_b64 s[30:31], exec, s[28:29]
	s_cbranch_execz .LBB4_10060
; %bb.10047:                            ;   in Loop: Header=BB4_9658 Depth=3
	v_and_b32_e32 v2, 0x7fffffff, v12
	v_cmp_gt_u64_e32 vcc, s[72:73], v[2:3]
	v_and_b32_sdwa v6, v12, s70 dst_sel:DWORD dst_unused:UNUSED_PAD src0_sel:BYTE_3 src1_sel:DWORD
                                        ; implicit-def: $vgpr59
	s_and_saveexec_b64 s[28:29], vcc
	s_xor_b64 s[34:35], exec, s[28:29]
	s_cbranch_execz .LBB4_10057
; %bb.10048:                            ;   in Loop: Header=BB4_9658 Depth=3
	v_mov_b32_e32 v59, 0
	v_cmp_ne_u32_e32 vcc, 0, v12
	s_and_saveexec_b64 s[36:37], vcc
	s_cbranch_execz .LBB4_10056
; %bb.10049:                            ;   in Loop: Header=BB4_9658 Depth=3
	v_bfe_u32 v15, v12, 23, 8
	v_and_b32_e32 v2, 0x7fffff, v12
	v_cmp_gt_u32_e64 s[28:29], s71, v15
	v_sub_u32_e32 v12, 0x79, v15
	v_cmp_eq_u32_e32 vcc, 0, v15
	v_cndmask_b32_e64 v12, 0, v12, s[28:29]
	v_mov_b32_e32 v14, 0x78
	v_cndmask_b32_e32 v16, v12, v14, vcc
	v_or_b32_e32 v13, 0x800000, v2
	v_add_u32_e32 v12, 20, v16
	v_cndmask_b32_e32 v2, v13, v2, vcc
	v_lshlrev_b64 v[12:13], v12, -1
	v_add_u32_e32 v14, 19, v16
	v_lshlrev_b64 v[29:30], v14, 1
	v_bfi_b32 v13, v13, 0, 0
	v_bfi_b32 v12, v12, 0, v2
	v_cmp_eq_u64_e64 s[28:29], v[12:13], v[29:30]
	v_lshrrev_b64 v[12:13], v16, v[2:3]
	v_mov_b32_e32 v14, v13
	v_mov_b32_e32 v13, v12
	s_and_saveexec_b64 s[38:39], s[28:29]
; %bb.10050:                            ;   in Loop: Header=BB4_9658 Depth=3
	v_bfe_u32 v2, v12, 20, 1
	v_add_co_u32_e64 v2, s[28:29], v12, v2
	v_add_co_u32_e64 v13, s[28:29], -1, v2
; %bb.10051:                            ;   in Loop: Header=BB4_9658 Depth=3
	s_or_b64 exec, exec, s[38:39]
	v_add_u32_e32 v2, 0xffffff81, v15
	v_mov_b32_e32 v14, 0xffffff82
	v_cndmask_b32_e32 v2, v2, v14, vcc
	v_lshrrev_b32_e32 v14, 23, v12
	v_add3_u32 v16, v16, v2, v14
	v_add_u32_e32 v15, 6, v16
	v_and_b32_e32 v2, 0xfffff, v13
	v_add_u32_e32 v2, v2, v12
	v_cmp_ne_u32_e32 vcc, 0, v15
                                        ; implicit-def: $vgpr12_vgpr13
                                        ; implicit-def: $vgpr14
	s_and_saveexec_b64 s[28:29], vcc
	s_xor_b64 s[28:29], exec, s[28:29]
; %bb.10052:                            ;   in Loop: Header=BB4_9658 Depth=3
	v_cmp_lt_u64_e32 vcc, s[74:75], v[2:3]
	v_add_u32_e32 v12, 7, v16
	v_cndmask_b32_e32 v14, v15, v12, vcc
	v_cndmask_b32_e64 v12, 0, 1, vcc
	v_lshrrev_b64 v[12:13], v12, v[2:3]
; %bb.10053:                            ;   in Loop: Header=BB4_9658 Depth=3
	s_andn2_saveexec_b64 s[28:29], s[28:29]
; %bb.10054:                            ;   in Loop: Header=BB4_9658 Depth=3
	v_mov_b32_e32 v13, v3
	v_bfe_u32 v14, v2, 23, 1
	v_mov_b32_e32 v12, v2
; %bb.10055:                            ;   in Loop: Header=BB4_9658 Depth=3
	s_or_b64 exec, exec, s[28:29]
	v_lshrrev_b64 v[12:13], 20, v[12:13]
	v_cmp_gt_i32_e32 vcc, 16, v14
	v_cndmask_b32_e32 v13, 0, v13, vcc
	v_cndmask_b32_e32 v12, 7, v12, vcc
	v_min_i32_e32 v2, 15, v14
	v_cmp_eq_u64_e64 s[28:29], 0, v[12:13]
	v_lshlrev_b32_e32 v2, 3, v2
	v_cmp_eq_u32_e32 vcc, 0, v14
	v_and_b32_e32 v2, 0xf8, v2
	v_and_or_b32 v2, v12, 7, v2
	s_and_b64 s[28:29], vcc, s[28:29]
	v_cndmask_b32_e64 v2, v2, 0, s[28:29]
	v_or_b32_e32 v59, v2, v6
.LBB4_10056:                            ;   in Loop: Header=BB4_9658 Depth=3
	s_or_b64 exec, exec, s[36:37]
                                        ; implicit-def: $vgpr6
.LBB4_10057:                            ;   in Loop: Header=BB4_9658 Depth=3
	s_andn2_saveexec_b64 s[28:29], s[34:35]
; %bb.10058:                            ;   in Loop: Header=BB4_9658 Depth=3
	v_or_b32_e32 v59, 0x7e, v6
; %bb.10059:                            ;   in Loop: Header=BB4_9658 Depth=3
	s_or_b64 exec, exec, s[28:29]
                                        ; implicit-def: $vgpr12
.LBB4_10060:                            ;   in Loop: Header=BB4_9658 Depth=3
	s_andn2_saveexec_b64 s[28:29], s[30:31]
; %bb.10061:                            ;   in Loop: Header=BB4_9658 Depth=3
	v_or_b32_sdwa v59, v12, s68 dst_sel:DWORD dst_unused:UNUSED_PAD src0_sel:BYTE_3 src1_sel:DWORD
; %bb.10062:                            ;   in Loop: Header=BB4_9658 Depth=3
	s_or_b64 exec, exec, s[28:29]
	v_lshrrev_b32_e32 v2, 16, v8
	v_cmp_ne_u16_sdwa vcc, v2, v3 src0_sel:BYTE_0 src1_sel:DWORD
	v_mov_b32_e32 v6, 0
	s_and_saveexec_b64 s[28:29], vcc
	s_cbranch_execz .LBB4_10068
; %bb.10063:                            ;   in Loop: Header=BB4_9658 Depth=3
	v_cmp_ne_u16_sdwa vcc, v2, s70 src0_sel:BYTE_0 src1_sel:DWORD
	v_bfrev_b32_e32 v6, 1
	s_and_saveexec_b64 s[30:31], vcc
	s_cbranch_execz .LBB4_10067
; %bb.10064:                            ;   in Loop: Header=BB4_9658 Depth=3
	v_bfe_u32 v12, v8, 16, 7
	v_cmp_ne_u32_e32 vcc, s68, v12
	v_mov_b32_e32 v6, 0x7f800001
	s_and_saveexec_b64 s[34:35], vcc
	s_cbranch_execz .LBB4_10066
; %bb.10065:                            ;   in Loop: Header=BB4_9658 Depth=3
	v_and_b32_e32 v6, 7, v2
	v_lshrrev_b32_e32 v14, 3, v12
	v_cmp_gt_u32_e32 vcc, 8, v12
	v_ffbh_u32_e32 v12, v6
	v_min_u32_e32 v15, 32, v12
	v_subrev_u32_e32 v12, 28, v15
	v_lshlrev_b64 v[12:13], v12, v[2:3]
	v_sub_u32_e32 v13, 29, v15
	v_and_b32_e32 v12, 7, v12
	v_cndmask_b32_e32 v13, v14, v13, vcc
	v_cndmask_b32_e32 v6, v6, v12, vcc
	v_lshlrev_b32_e32 v2, 24, v2
	v_lshlrev_b32_e32 v6, 20, v6
	v_and_b32_e32 v2, 0x80000000, v2
	v_lshl_add_u32 v12, v13, 23, v5
	v_or3_b32 v6, v2, v12, v6
.LBB4_10066:                            ;   in Loop: Header=BB4_9658 Depth=3
	s_or_b64 exec, exec, s[34:35]
.LBB4_10067:                            ;   in Loop: Header=BB4_9658 Depth=3
	s_or_b64 exec, exec, s[30:31]
.LBB4_10068:                            ;   in Loop: Header=BB4_9658 Depth=3
	s_or_b64 exec, exec, s[28:29]
	v_mul_f32_e32 v12, v7, v6
	v_and_b32_e32 v2, 0x7f800000, v12
	v_cmp_ne_u64_e32 vcc, s[62:63], v[2:3]
                                        ; implicit-def: $vgpr60
	s_and_saveexec_b64 s[28:29], vcc
	s_xor_b64 s[30:31], exec, s[28:29]
	s_cbranch_execz .LBB4_10082
; %bb.10069:                            ;   in Loop: Header=BB4_9658 Depth=3
	v_and_b32_e32 v2, 0x7fffffff, v12
	v_cmp_gt_u64_e32 vcc, s[72:73], v[2:3]
	v_and_b32_sdwa v6, v12, s70 dst_sel:DWORD dst_unused:UNUSED_PAD src0_sel:BYTE_3 src1_sel:DWORD
                                        ; implicit-def: $vgpr60
	s_and_saveexec_b64 s[28:29], vcc
	s_xor_b64 s[34:35], exec, s[28:29]
	s_cbranch_execz .LBB4_10079
; %bb.10070:                            ;   in Loop: Header=BB4_9658 Depth=3
	v_mov_b32_e32 v60, 0
	v_cmp_ne_u32_e32 vcc, 0, v12
	s_and_saveexec_b64 s[36:37], vcc
	s_cbranch_execz .LBB4_10078
; %bb.10071:                            ;   in Loop: Header=BB4_9658 Depth=3
	v_bfe_u32 v15, v12, 23, 8
	v_and_b32_e32 v2, 0x7fffff, v12
	v_cmp_gt_u32_e64 s[28:29], s71, v15
	v_sub_u32_e32 v12, 0x79, v15
	v_cmp_eq_u32_e32 vcc, 0, v15
	v_cndmask_b32_e64 v12, 0, v12, s[28:29]
	v_mov_b32_e32 v14, 0x78
	v_cndmask_b32_e32 v16, v12, v14, vcc
	v_or_b32_e32 v13, 0x800000, v2
	v_add_u32_e32 v12, 20, v16
	v_cndmask_b32_e32 v2, v13, v2, vcc
	v_lshlrev_b64 v[12:13], v12, -1
	v_add_u32_e32 v14, 19, v16
	v_lshlrev_b64 v[29:30], v14, 1
	v_bfi_b32 v13, v13, 0, 0
	v_bfi_b32 v12, v12, 0, v2
	v_cmp_eq_u64_e64 s[28:29], v[12:13], v[29:30]
	v_lshrrev_b64 v[12:13], v16, v[2:3]
	v_mov_b32_e32 v14, v13
	v_mov_b32_e32 v13, v12
	s_and_saveexec_b64 s[38:39], s[28:29]
; %bb.10072:                            ;   in Loop: Header=BB4_9658 Depth=3
	v_bfe_u32 v2, v12, 20, 1
	v_add_co_u32_e64 v2, s[28:29], v12, v2
	v_add_co_u32_e64 v13, s[28:29], -1, v2
; %bb.10073:                            ;   in Loop: Header=BB4_9658 Depth=3
	s_or_b64 exec, exec, s[38:39]
	v_add_u32_e32 v2, 0xffffff81, v15
	v_mov_b32_e32 v14, 0xffffff82
	v_cndmask_b32_e32 v2, v2, v14, vcc
	v_lshrrev_b32_e32 v14, 23, v12
	v_add3_u32 v16, v16, v2, v14
	v_add_u32_e32 v15, 6, v16
	v_and_b32_e32 v2, 0xfffff, v13
	v_add_u32_e32 v2, v2, v12
	v_cmp_ne_u32_e32 vcc, 0, v15
                                        ; implicit-def: $vgpr12_vgpr13
                                        ; implicit-def: $vgpr14
	s_and_saveexec_b64 s[28:29], vcc
	s_xor_b64 s[28:29], exec, s[28:29]
; %bb.10074:                            ;   in Loop: Header=BB4_9658 Depth=3
	v_cmp_lt_u64_e32 vcc, s[74:75], v[2:3]
	v_add_u32_e32 v12, 7, v16
	v_cndmask_b32_e32 v14, v15, v12, vcc
	v_cndmask_b32_e64 v12, 0, 1, vcc
	v_lshrrev_b64 v[12:13], v12, v[2:3]
; %bb.10075:                            ;   in Loop: Header=BB4_9658 Depth=3
	s_andn2_saveexec_b64 s[28:29], s[28:29]
; %bb.10076:                            ;   in Loop: Header=BB4_9658 Depth=3
	v_mov_b32_e32 v13, v3
	v_bfe_u32 v14, v2, 23, 1
	v_mov_b32_e32 v12, v2
; %bb.10077:                            ;   in Loop: Header=BB4_9658 Depth=3
	s_or_b64 exec, exec, s[28:29]
	v_lshrrev_b64 v[12:13], 20, v[12:13]
	v_cmp_gt_i32_e32 vcc, 16, v14
	v_cndmask_b32_e32 v13, 0, v13, vcc
	v_cndmask_b32_e32 v12, 7, v12, vcc
	v_min_i32_e32 v2, 15, v14
	v_cmp_eq_u64_e64 s[28:29], 0, v[12:13]
	v_lshlrev_b32_e32 v2, 3, v2
	v_cmp_eq_u32_e32 vcc, 0, v14
	v_and_b32_e32 v2, 0xf8, v2
	v_and_or_b32 v2, v12, 7, v2
	s_and_b64 s[28:29], vcc, s[28:29]
	v_cndmask_b32_e64 v2, v2, 0, s[28:29]
	v_or_b32_e32 v60, v2, v6
.LBB4_10078:                            ;   in Loop: Header=BB4_9658 Depth=3
	s_or_b64 exec, exec, s[36:37]
                                        ; implicit-def: $vgpr6
.LBB4_10079:                            ;   in Loop: Header=BB4_9658 Depth=3
	s_andn2_saveexec_b64 s[28:29], s[34:35]
; %bb.10080:                            ;   in Loop: Header=BB4_9658 Depth=3
	v_or_b32_e32 v60, 0x7e, v6
; %bb.10081:                            ;   in Loop: Header=BB4_9658 Depth=3
	s_or_b64 exec, exec, s[28:29]
                                        ; implicit-def: $vgpr12
.LBB4_10082:                            ;   in Loop: Header=BB4_9658 Depth=3
	s_andn2_saveexec_b64 s[28:29], s[30:31]
; %bb.10083:                            ;   in Loop: Header=BB4_9658 Depth=3
	v_or_b32_sdwa v60, v12, s68 dst_sel:DWORD dst_unused:UNUSED_PAD src0_sel:BYTE_3 src1_sel:DWORD
; %bb.10084:                            ;   in Loop: Header=BB4_9658 Depth=3
	s_or_b64 exec, exec, s[28:29]
	v_cmp_lt_u32_e32 vcc, s57, v8
	v_mov_b32_e32 v6, 0
	s_and_saveexec_b64 s[28:29], vcc
	s_cbranch_execz .LBB4_10090
; %bb.10085:                            ;   in Loop: Header=BB4_9658 Depth=3
	v_lshrrev_b32_e32 v2, 24, v8
	v_cmp_ne_u32_e32 vcc, s70, v2
	v_bfrev_b32_e32 v6, 1
	s_and_saveexec_b64 s[30:31], vcc
	s_cbranch_execz .LBB4_10089
; %bb.10086:                            ;   in Loop: Header=BB4_9658 Depth=3
	v_bfe_u32 v12, v8, 24, 7
	v_cmp_ne_u32_e32 vcc, s68, v12
	v_mov_b32_e32 v6, 0x7f800001
	s_and_saveexec_b64 s[34:35], vcc
	s_cbranch_execz .LBB4_10088
; %bb.10087:                            ;   in Loop: Header=BB4_9658 Depth=3
	v_and_b32_e32 v6, 7, v2
	v_lshrrev_b32_e32 v14, 3, v12
	v_cmp_gt_u32_e32 vcc, 8, v12
	v_ffbh_u32_e32 v12, v6
	v_min_u32_e32 v15, 32, v12
	v_subrev_u32_e32 v12, 28, v15
	v_lshlrev_b64 v[12:13], v12, v[2:3]
	v_sub_u32_e32 v13, 29, v15
	v_and_b32_e32 v12, 7, v12
	v_cndmask_b32_e32 v13, v14, v13, vcc
	v_cndmask_b32_e32 v6, v6, v12, vcc
	v_lshlrev_b32_e32 v2, 24, v2
	v_lshlrev_b32_e32 v6, 20, v6
	v_and_b32_e32 v2, 0x80000000, v2
	v_lshl_add_u32 v12, v13, 23, v5
	v_or3_b32 v6, v2, v12, v6
.LBB4_10088:                            ;   in Loop: Header=BB4_9658 Depth=3
	s_or_b64 exec, exec, s[34:35]
.LBB4_10089:                            ;   in Loop: Header=BB4_9658 Depth=3
	s_or_b64 exec, exec, s[30:31]
.LBB4_10090:                            ;   in Loop: Header=BB4_9658 Depth=3
	s_or_b64 exec, exec, s[28:29]
	v_mul_f32_e32 v12, v7, v6
	v_and_b32_e32 v2, 0x7f800000, v12
	v_cmp_ne_u64_e32 vcc, s[62:63], v[2:3]
                                        ; implicit-def: $vgpr41
	s_and_saveexec_b64 s[28:29], vcc
	s_xor_b64 s[30:31], exec, s[28:29]
	s_cbranch_execz .LBB4_10104
; %bb.10091:                            ;   in Loop: Header=BB4_9658 Depth=3
	v_and_b32_e32 v2, 0x7fffffff, v12
	v_cmp_gt_u64_e32 vcc, s[72:73], v[2:3]
	v_and_b32_sdwa v6, v12, s70 dst_sel:DWORD dst_unused:UNUSED_PAD src0_sel:BYTE_3 src1_sel:DWORD
                                        ; implicit-def: $vgpr41
	s_and_saveexec_b64 s[28:29], vcc
	s_xor_b64 s[34:35], exec, s[28:29]
	s_cbranch_execz .LBB4_10101
; %bb.10092:                            ;   in Loop: Header=BB4_9658 Depth=3
	v_mov_b32_e32 v41, 0
	v_cmp_ne_u32_e32 vcc, 0, v12
	s_and_saveexec_b64 s[36:37], vcc
	s_cbranch_execz .LBB4_10100
; %bb.10093:                            ;   in Loop: Header=BB4_9658 Depth=3
	v_bfe_u32 v15, v12, 23, 8
	v_and_b32_e32 v2, 0x7fffff, v12
	v_cmp_gt_u32_e64 s[28:29], s71, v15
	v_sub_u32_e32 v12, 0x79, v15
	v_cmp_eq_u32_e32 vcc, 0, v15
	v_cndmask_b32_e64 v12, 0, v12, s[28:29]
	v_mov_b32_e32 v14, 0x78
	v_cndmask_b32_e32 v16, v12, v14, vcc
	v_or_b32_e32 v13, 0x800000, v2
	v_add_u32_e32 v12, 20, v16
	v_cndmask_b32_e32 v2, v13, v2, vcc
	v_lshlrev_b64 v[12:13], v12, -1
	v_add_u32_e32 v14, 19, v16
	v_lshlrev_b64 v[29:30], v14, 1
	v_bfi_b32 v13, v13, 0, 0
	v_bfi_b32 v12, v12, 0, v2
	v_cmp_eq_u64_e64 s[28:29], v[12:13], v[29:30]
	v_lshrrev_b64 v[12:13], v16, v[2:3]
	v_mov_b32_e32 v14, v13
	v_mov_b32_e32 v13, v12
	s_and_saveexec_b64 s[38:39], s[28:29]
; %bb.10094:                            ;   in Loop: Header=BB4_9658 Depth=3
	v_bfe_u32 v2, v12, 20, 1
	v_add_co_u32_e64 v2, s[28:29], v12, v2
	v_add_co_u32_e64 v13, s[28:29], -1, v2
; %bb.10095:                            ;   in Loop: Header=BB4_9658 Depth=3
	s_or_b64 exec, exec, s[38:39]
	v_add_u32_e32 v2, 0xffffff81, v15
	v_mov_b32_e32 v14, 0xffffff82
	v_cndmask_b32_e32 v2, v2, v14, vcc
	v_lshrrev_b32_e32 v14, 23, v12
	v_add3_u32 v16, v16, v2, v14
	v_add_u32_e32 v15, 6, v16
	v_and_b32_e32 v2, 0xfffff, v13
	v_add_u32_e32 v2, v2, v12
	v_cmp_ne_u32_e32 vcc, 0, v15
                                        ; implicit-def: $vgpr12_vgpr13
                                        ; implicit-def: $vgpr14
	s_and_saveexec_b64 s[28:29], vcc
	s_xor_b64 s[28:29], exec, s[28:29]
; %bb.10096:                            ;   in Loop: Header=BB4_9658 Depth=3
	v_cmp_lt_u64_e32 vcc, s[74:75], v[2:3]
	v_add_u32_e32 v12, 7, v16
	v_cndmask_b32_e32 v14, v15, v12, vcc
	v_cndmask_b32_e64 v12, 0, 1, vcc
	v_lshrrev_b64 v[12:13], v12, v[2:3]
; %bb.10097:                            ;   in Loop: Header=BB4_9658 Depth=3
	s_andn2_saveexec_b64 s[28:29], s[28:29]
; %bb.10098:                            ;   in Loop: Header=BB4_9658 Depth=3
	v_mov_b32_e32 v13, v3
	v_bfe_u32 v14, v2, 23, 1
	v_mov_b32_e32 v12, v2
; %bb.10099:                            ;   in Loop: Header=BB4_9658 Depth=3
	s_or_b64 exec, exec, s[28:29]
	v_lshrrev_b64 v[12:13], 20, v[12:13]
	v_cmp_gt_i32_e32 vcc, 16, v14
	v_cndmask_b32_e32 v13, 0, v13, vcc
	v_cndmask_b32_e32 v12, 7, v12, vcc
	v_min_i32_e32 v2, 15, v14
	v_cmp_eq_u64_e64 s[28:29], 0, v[12:13]
	v_lshlrev_b32_e32 v2, 3, v2
	v_cmp_eq_u32_e32 vcc, 0, v14
	v_and_b32_e32 v2, 0xf8, v2
	v_and_or_b32 v2, v12, 7, v2
	s_and_b64 s[28:29], vcc, s[28:29]
	v_cndmask_b32_e64 v2, v2, 0, s[28:29]
	v_or_b32_e32 v41, v2, v6
.LBB4_10100:                            ;   in Loop: Header=BB4_9658 Depth=3
	s_or_b64 exec, exec, s[36:37]
                                        ; implicit-def: $vgpr6
.LBB4_10101:                            ;   in Loop: Header=BB4_9658 Depth=3
	s_andn2_saveexec_b64 s[28:29], s[34:35]
; %bb.10102:                            ;   in Loop: Header=BB4_9658 Depth=3
	v_or_b32_e32 v41, 0x7e, v6
; %bb.10103:                            ;   in Loop: Header=BB4_9658 Depth=3
	s_or_b64 exec, exec, s[28:29]
                                        ; implicit-def: $vgpr12
.LBB4_10104:                            ;   in Loop: Header=BB4_9658 Depth=3
	s_andn2_saveexec_b64 s[28:29], s[30:31]
; %bb.10105:                            ;   in Loop: Header=BB4_9658 Depth=3
	v_or_b32_sdwa v41, v12, s68 dst_sel:DWORD dst_unused:UNUSED_PAD src0_sel:BYTE_3 src1_sel:DWORD
; %bb.10106:                            ;   in Loop: Header=BB4_9658 Depth=3
	s_or_b64 exec, exec, s[28:29]
	v_mov_b32_e32 v2, v9
	v_cmp_ne_u16_sdwa vcc, v9, v3 src0_sel:BYTE_0 src1_sel:DWORD
	v_mov_b32_e32 v6, 0
	s_and_saveexec_b64 s[28:29], vcc
	s_cbranch_execz .LBB4_10112
; %bb.10107:                            ;   in Loop: Header=BB4_9658 Depth=3
	v_cmp_ne_u16_sdwa vcc, v9, s70 src0_sel:BYTE_0 src1_sel:DWORD
	v_bfrev_b32_e32 v6, 1
	s_and_saveexec_b64 s[30:31], vcc
	s_cbranch_execz .LBB4_10111
; %bb.10108:                            ;   in Loop: Header=BB4_9658 Depth=3
	v_and_b32_e32 v12, 0x7f, v9
	v_cmp_ne_u32_e32 vcc, s68, v12
	v_mov_b32_e32 v6, 0x7f800001
	s_and_saveexec_b64 s[34:35], vcc
	s_cbranch_execz .LBB4_10110
; %bb.10109:                            ;   in Loop: Header=BB4_9658 Depth=3
	v_and_b32_e32 v6, 7, v9
	v_ffbh_u32_e32 v6, v6
	v_min_u32_e32 v6, 32, v6
	v_lshrrev_b32_e32 v13, 3, v12
	v_cmp_gt_u32_e32 vcc, 8, v12
	v_subrev_u32_e32 v12, 28, v6
	v_sub_u32_e32 v6, 29, v6
	v_cndmask_b32_e32 v12, 0, v12, vcc
	v_cndmask_b32_e32 v6, v13, v6, vcc
	v_lshlrev_b64 v[12:13], v12, v[2:3]
	v_lshlrev_b32_e32 v13, 24, v2
	v_lshlrev_b32_e32 v12, 20, v12
	v_and_b32_e32 v12, 0x700000, v12
	v_and_b32_e32 v13, 0x80000000, v13
	v_lshl_add_u32 v6, v6, 23, v5
	v_or3_b32 v6, v13, v6, v12
.LBB4_10110:                            ;   in Loop: Header=BB4_9658 Depth=3
	s_or_b64 exec, exec, s[34:35]
.LBB4_10111:                            ;   in Loop: Header=BB4_9658 Depth=3
	s_or_b64 exec, exec, s[30:31]
.LBB4_10112:                            ;   in Loop: Header=BB4_9658 Depth=3
	s_or_b64 exec, exec, s[28:29]
	v_mul_f32_e32 v12, v7, v6
	v_and_b32_e32 v13, 0x7f800000, v12
	v_mov_b32_e32 v14, v3
	v_cmp_ne_u64_e32 vcc, s[62:63], v[13:14]
                                        ; implicit-def: $vgpr20
	s_and_saveexec_b64 s[28:29], vcc
	s_xor_b64 s[30:31], exec, s[28:29]
	s_cbranch_execz .LBB4_10126
; %bb.10113:                            ;   in Loop: Header=BB4_9658 Depth=3
	v_and_b32_e32 v13, 0x7fffffff, v12
	v_mov_b32_e32 v14, v3
	v_cmp_gt_u64_e32 vcc, s[72:73], v[13:14]
	v_and_b32_sdwa v6, v12, s70 dst_sel:DWORD dst_unused:UNUSED_PAD src0_sel:BYTE_3 src1_sel:DWORD
                                        ; implicit-def: $vgpr20
	s_and_saveexec_b64 s[28:29], vcc
	s_xor_b64 s[34:35], exec, s[28:29]
	s_cbranch_execz .LBB4_10123
; %bb.10114:                            ;   in Loop: Header=BB4_9658 Depth=3
	v_mov_b32_e32 v20, 0
	v_cmp_ne_u32_e32 vcc, 0, v12
	s_and_saveexec_b64 s[36:37], vcc
	s_cbranch_execz .LBB4_10122
; %bb.10115:                            ;   in Loop: Header=BB4_9658 Depth=3
	v_bfe_u32 v15, v12, 23, 8
	v_and_b32_e32 v13, 0x7fffff, v12
	v_cmp_gt_u32_e64 s[28:29], s71, v15
	v_sub_u32_e32 v12, 0x79, v15
	v_cmp_eq_u32_e32 vcc, 0, v15
	v_cndmask_b32_e64 v12, 0, v12, s[28:29]
	v_mov_b32_e32 v16, 0x78
	v_or_b32_e32 v14, 0x800000, v13
	v_cndmask_b32_e32 v16, v12, v16, vcc
	v_cndmask_b32_e32 v12, v14, v13, vcc
	v_add_u32_e32 v14, 20, v16
	v_lshlrev_b64 v[29:30], v14, -1
	v_mov_b32_e32 v13, v3
	v_add_u32_e32 v14, 19, v16
	v_bfi_b32 v29, v29, 0, v12
	v_lshlrev_b64 v[39:40], v14, 1
	v_lshrrev_b64 v[12:13], v16, v[12:13]
	v_bfi_b32 v30, v30, 0, 0
	v_cmp_eq_u64_e64 s[28:29], v[29:30], v[39:40]
	v_mov_b32_e32 v14, v13
	v_mov_b32_e32 v13, v12
	s_and_saveexec_b64 s[38:39], s[28:29]
; %bb.10116:                            ;   in Loop: Header=BB4_9658 Depth=3
	v_bfe_u32 v13, v12, 20, 1
	v_add_co_u32_e64 v13, s[28:29], v12, v13
	v_add_co_u32_e64 v13, s[28:29], -1, v13
; %bb.10117:                            ;   in Loop: Header=BB4_9658 Depth=3
	s_or_b64 exec, exec, s[38:39]
	v_add_u32_e32 v14, 0xffffff81, v15
	v_mov_b32_e32 v15, 0xffffff82
	v_cndmask_b32_e32 v14, v14, v15, vcc
	v_lshrrev_b32_e32 v15, 23, v12
	v_add3_u32 v16, v16, v14, v15
	v_add_u32_e32 v15, 6, v16
	v_and_b32_e32 v13, 0xfffff, v13
	v_add_u32_e32 v12, v13, v12
	v_mov_b32_e32 v13, v3
	v_cmp_ne_u32_e32 vcc, 0, v15
                                        ; implicit-def: $vgpr14
	s_and_saveexec_b64 s[28:29], vcc
	s_xor_b64 s[28:29], exec, s[28:29]
; %bb.10118:                            ;   in Loop: Header=BB4_9658 Depth=3
	v_cmp_lt_u64_e32 vcc, s[74:75], v[12:13]
	v_add_u32_e32 v14, 7, v16
	v_cndmask_b32_e32 v14, v15, v14, vcc
	v_cndmask_b32_e64 v15, 0, 1, vcc
	v_lshrrev_b64 v[12:13], v15, v[12:13]
; %bb.10119:                            ;   in Loop: Header=BB4_9658 Depth=3
	s_andn2_saveexec_b64 s[28:29], s[28:29]
; %bb.10120:                            ;   in Loop: Header=BB4_9658 Depth=3
	v_bfe_u32 v14, v12, 23, 1
; %bb.10121:                            ;   in Loop: Header=BB4_9658 Depth=3
	s_or_b64 exec, exec, s[28:29]
	v_lshrrev_b64 v[12:13], 20, v[12:13]
	v_cmp_gt_i32_e32 vcc, 16, v14
	v_cndmask_b32_e32 v13, 0, v13, vcc
	v_cndmask_b32_e32 v12, 7, v12, vcc
	v_cmp_eq_u64_e64 s[28:29], 0, v[12:13]
	v_min_i32_e32 v13, 15, v14
	v_lshlrev_b32_e32 v13, 3, v13
	v_cmp_eq_u32_e32 vcc, 0, v14
	v_and_b32_e32 v13, 0xf8, v13
	v_and_or_b32 v12, v12, 7, v13
	s_and_b64 s[28:29], vcc, s[28:29]
	v_cndmask_b32_e64 v12, v12, 0, s[28:29]
	v_or_b32_e32 v20, v12, v6
.LBB4_10122:                            ;   in Loop: Header=BB4_9658 Depth=3
	s_or_b64 exec, exec, s[36:37]
                                        ; implicit-def: $vgpr6
.LBB4_10123:                            ;   in Loop: Header=BB4_9658 Depth=3
	s_andn2_saveexec_b64 s[28:29], s[34:35]
; %bb.10124:                            ;   in Loop: Header=BB4_9658 Depth=3
	v_or_b32_e32 v20, 0x7e, v6
; %bb.10125:                            ;   in Loop: Header=BB4_9658 Depth=3
	s_or_b64 exec, exec, s[28:29]
                                        ; implicit-def: $vgpr12
.LBB4_10126:                            ;   in Loop: Header=BB4_9658 Depth=3
	s_andn2_saveexec_b64 s[28:29], s[30:31]
; %bb.10127:                            ;   in Loop: Header=BB4_9658 Depth=3
	v_or_b32_sdwa v20, v12, s68 dst_sel:DWORD dst_unused:UNUSED_PAD src0_sel:BYTE_3 src1_sel:DWORD
; %bb.10128:                            ;   in Loop: Header=BB4_9658 Depth=3
	s_or_b64 exec, exec, s[28:29]
	v_lshrrev_b16_e32 v12, 8, v2
	v_cmp_ne_u16_e32 vcc, 0, v12
	v_mov_b32_e32 v6, 0
	s_and_saveexec_b64 s[28:29], vcc
	s_cbranch_execz .LBB4_10134
; %bb.10129:                            ;   in Loop: Header=BB4_9658 Depth=3
	v_cmp_ne_u16_e32 vcc, s70, v12
	v_bfrev_b32_e32 v6, 1
	s_and_saveexec_b64 s[30:31], vcc
	s_cbranch_execz .LBB4_10133
; %bb.10130:                            ;   in Loop: Header=BB4_9658 Depth=3
	v_and_b32_e32 v13, 0x7f, v12
	v_cmp_ne_u32_e32 vcc, s68, v13
	v_mov_b32_e32 v6, 0x7f800001
	s_and_saveexec_b64 s[34:35], vcc
	s_cbranch_execz .LBB4_10132
; %bb.10131:                            ;   in Loop: Header=BB4_9658 Depth=3
	v_and_b32_e32 v6, 7, v12
	v_lshrrev_b32_e32 v14, 3, v13
	v_cmp_gt_u32_e32 vcc, 8, v13
	v_ffbh_u32_e32 v13, v6
	v_min_u32_e32 v15, 32, v13
	v_subrev_u32_e32 v13, 28, v15
	v_lshlrev_b64 v[12:13], v13, v[12:13]
	v_sub_u32_e32 v13, 29, v15
	v_and_b32_e32 v12, 7, v12
	v_cndmask_b32_e32 v13, v14, v13, vcc
	v_cndmask_b32_e32 v6, v6, v12, vcc
	v_lshlrev_b32_e32 v2, 16, v2
	v_lshlrev_b32_e32 v6, 20, v6
	v_and_b32_e32 v2, 0x80000000, v2
	v_lshl_add_u32 v12, v13, 23, v5
	v_or3_b32 v6, v2, v12, v6
.LBB4_10132:                            ;   in Loop: Header=BB4_9658 Depth=3
	s_or_b64 exec, exec, s[34:35]
.LBB4_10133:                            ;   in Loop: Header=BB4_9658 Depth=3
	s_or_b64 exec, exec, s[30:31]
.LBB4_10134:                            ;   in Loop: Header=BB4_9658 Depth=3
	s_or_b64 exec, exec, s[28:29]
	v_mul_f32_e32 v12, v7, v6
	v_and_b32_e32 v2, 0x7f800000, v12
	v_cmp_ne_u64_e32 vcc, s[62:63], v[2:3]
                                        ; implicit-def: $vgpr32
	s_and_saveexec_b64 s[28:29], vcc
	s_xor_b64 s[30:31], exec, s[28:29]
	s_cbranch_execz .LBB4_10148
; %bb.10135:                            ;   in Loop: Header=BB4_9658 Depth=3
	v_and_b32_e32 v2, 0x7fffffff, v12
	v_cmp_gt_u64_e32 vcc, s[72:73], v[2:3]
	v_and_b32_sdwa v6, v12, s70 dst_sel:DWORD dst_unused:UNUSED_PAD src0_sel:BYTE_3 src1_sel:DWORD
                                        ; implicit-def: $vgpr32
	s_and_saveexec_b64 s[28:29], vcc
	s_xor_b64 s[34:35], exec, s[28:29]
	s_cbranch_execz .LBB4_10145
; %bb.10136:                            ;   in Loop: Header=BB4_9658 Depth=3
	v_mov_b32_e32 v32, 0
	v_cmp_ne_u32_e32 vcc, 0, v12
	s_and_saveexec_b64 s[36:37], vcc
	s_cbranch_execz .LBB4_10144
; %bb.10137:                            ;   in Loop: Header=BB4_9658 Depth=3
	v_bfe_u32 v15, v12, 23, 8
	v_and_b32_e32 v2, 0x7fffff, v12
	v_cmp_gt_u32_e64 s[28:29], s71, v15
	v_sub_u32_e32 v12, 0x79, v15
	v_cmp_eq_u32_e32 vcc, 0, v15
	v_cndmask_b32_e64 v12, 0, v12, s[28:29]
	v_mov_b32_e32 v14, 0x78
	v_cndmask_b32_e32 v16, v12, v14, vcc
	v_or_b32_e32 v13, 0x800000, v2
	v_add_u32_e32 v12, 20, v16
	v_cndmask_b32_e32 v2, v13, v2, vcc
	v_lshlrev_b64 v[12:13], v12, -1
	v_add_u32_e32 v14, 19, v16
	v_lshlrev_b64 v[29:30], v14, 1
	v_bfi_b32 v13, v13, 0, 0
	v_bfi_b32 v12, v12, 0, v2
	v_cmp_eq_u64_e64 s[28:29], v[12:13], v[29:30]
	v_lshrrev_b64 v[12:13], v16, v[2:3]
	v_mov_b32_e32 v14, v13
	v_mov_b32_e32 v13, v12
	s_and_saveexec_b64 s[38:39], s[28:29]
; %bb.10138:                            ;   in Loop: Header=BB4_9658 Depth=3
	v_bfe_u32 v2, v12, 20, 1
	v_add_co_u32_e64 v2, s[28:29], v12, v2
	v_add_co_u32_e64 v13, s[28:29], -1, v2
; %bb.10139:                            ;   in Loop: Header=BB4_9658 Depth=3
	s_or_b64 exec, exec, s[38:39]
	v_add_u32_e32 v2, 0xffffff81, v15
	v_mov_b32_e32 v14, 0xffffff82
	v_cndmask_b32_e32 v2, v2, v14, vcc
	v_lshrrev_b32_e32 v14, 23, v12
	v_add3_u32 v16, v16, v2, v14
	v_add_u32_e32 v15, 6, v16
	v_and_b32_e32 v2, 0xfffff, v13
	v_add_u32_e32 v2, v2, v12
	v_cmp_ne_u32_e32 vcc, 0, v15
                                        ; implicit-def: $vgpr12_vgpr13
                                        ; implicit-def: $vgpr14
	s_and_saveexec_b64 s[28:29], vcc
	s_xor_b64 s[28:29], exec, s[28:29]
; %bb.10140:                            ;   in Loop: Header=BB4_9658 Depth=3
	v_cmp_lt_u64_e32 vcc, s[74:75], v[2:3]
	v_add_u32_e32 v12, 7, v16
	v_cndmask_b32_e32 v14, v15, v12, vcc
	v_cndmask_b32_e64 v12, 0, 1, vcc
	v_lshrrev_b64 v[12:13], v12, v[2:3]
; %bb.10141:                            ;   in Loop: Header=BB4_9658 Depth=3
	s_andn2_saveexec_b64 s[28:29], s[28:29]
; %bb.10142:                            ;   in Loop: Header=BB4_9658 Depth=3
	v_mov_b32_e32 v13, v3
	v_bfe_u32 v14, v2, 23, 1
	v_mov_b32_e32 v12, v2
; %bb.10143:                            ;   in Loop: Header=BB4_9658 Depth=3
	s_or_b64 exec, exec, s[28:29]
	v_lshrrev_b64 v[12:13], 20, v[12:13]
	v_cmp_gt_i32_e32 vcc, 16, v14
	v_cndmask_b32_e32 v13, 0, v13, vcc
	v_cndmask_b32_e32 v12, 7, v12, vcc
	v_min_i32_e32 v2, 15, v14
	v_cmp_eq_u64_e64 s[28:29], 0, v[12:13]
	v_lshlrev_b32_e32 v2, 3, v2
	v_cmp_eq_u32_e32 vcc, 0, v14
	v_and_b32_e32 v2, 0xf8, v2
	v_and_or_b32 v2, v12, 7, v2
	s_and_b64 s[28:29], vcc, s[28:29]
	v_cndmask_b32_e64 v2, v2, 0, s[28:29]
	v_or_b32_e32 v32, v2, v6
.LBB4_10144:                            ;   in Loop: Header=BB4_9658 Depth=3
	s_or_b64 exec, exec, s[36:37]
                                        ; implicit-def: $vgpr6
.LBB4_10145:                            ;   in Loop: Header=BB4_9658 Depth=3
	s_andn2_saveexec_b64 s[28:29], s[34:35]
; %bb.10146:                            ;   in Loop: Header=BB4_9658 Depth=3
	v_or_b32_e32 v32, 0x7e, v6
; %bb.10147:                            ;   in Loop: Header=BB4_9658 Depth=3
	s_or_b64 exec, exec, s[28:29]
                                        ; implicit-def: $vgpr12
.LBB4_10148:                            ;   in Loop: Header=BB4_9658 Depth=3
	s_andn2_saveexec_b64 s[28:29], s[30:31]
; %bb.10149:                            ;   in Loop: Header=BB4_9658 Depth=3
	v_or_b32_sdwa v32, v12, s68 dst_sel:DWORD dst_unused:UNUSED_PAD src0_sel:BYTE_3 src1_sel:DWORD
; %bb.10150:                            ;   in Loop: Header=BB4_9658 Depth=3
	s_or_b64 exec, exec, s[28:29]
	v_lshrrev_b32_e32 v2, 16, v9
	v_cmp_ne_u16_sdwa vcc, v2, v3 src0_sel:BYTE_0 src1_sel:DWORD
	v_mov_b32_e32 v6, 0
	s_and_saveexec_b64 s[28:29], vcc
	s_cbranch_execz .LBB4_10156
; %bb.10151:                            ;   in Loop: Header=BB4_9658 Depth=3
	v_cmp_ne_u16_sdwa vcc, v2, s70 src0_sel:BYTE_0 src1_sel:DWORD
	v_bfrev_b32_e32 v6, 1
	s_and_saveexec_b64 s[30:31], vcc
	s_cbranch_execz .LBB4_10155
; %bb.10152:                            ;   in Loop: Header=BB4_9658 Depth=3
	v_bfe_u32 v12, v9, 16, 7
	v_cmp_ne_u32_e32 vcc, s68, v12
	v_mov_b32_e32 v6, 0x7f800001
	s_and_saveexec_b64 s[34:35], vcc
	s_cbranch_execz .LBB4_10154
; %bb.10153:                            ;   in Loop: Header=BB4_9658 Depth=3
	v_and_b32_e32 v6, 7, v2
	v_lshrrev_b32_e32 v14, 3, v12
	v_cmp_gt_u32_e32 vcc, 8, v12
	v_ffbh_u32_e32 v12, v6
	v_min_u32_e32 v15, 32, v12
	v_subrev_u32_e32 v12, 28, v15
	v_lshlrev_b64 v[12:13], v12, v[2:3]
	v_sub_u32_e32 v13, 29, v15
	v_and_b32_e32 v12, 7, v12
	v_cndmask_b32_e32 v13, v14, v13, vcc
	v_cndmask_b32_e32 v6, v6, v12, vcc
	v_lshlrev_b32_e32 v2, 24, v2
	v_lshlrev_b32_e32 v6, 20, v6
	v_and_b32_e32 v2, 0x80000000, v2
	v_lshl_add_u32 v12, v13, 23, v5
	v_or3_b32 v6, v2, v12, v6
.LBB4_10154:                            ;   in Loop: Header=BB4_9658 Depth=3
	s_or_b64 exec, exec, s[34:35]
.LBB4_10155:                            ;   in Loop: Header=BB4_9658 Depth=3
	s_or_b64 exec, exec, s[30:31]
.LBB4_10156:                            ;   in Loop: Header=BB4_9658 Depth=3
	s_or_b64 exec, exec, s[28:29]
	v_mul_f32_e32 v12, v7, v6
	v_and_b32_e32 v2, 0x7f800000, v12
	v_cmp_ne_u64_e32 vcc, s[62:63], v[2:3]
                                        ; implicit-def: $vgpr53
	s_and_saveexec_b64 s[28:29], vcc
	s_xor_b64 s[30:31], exec, s[28:29]
	s_cbranch_execz .LBB4_10170
; %bb.10157:                            ;   in Loop: Header=BB4_9658 Depth=3
	v_and_b32_e32 v2, 0x7fffffff, v12
	v_cmp_gt_u64_e32 vcc, s[72:73], v[2:3]
	v_and_b32_sdwa v6, v12, s70 dst_sel:DWORD dst_unused:UNUSED_PAD src0_sel:BYTE_3 src1_sel:DWORD
                                        ; implicit-def: $vgpr53
	s_and_saveexec_b64 s[28:29], vcc
	s_xor_b64 s[34:35], exec, s[28:29]
	s_cbranch_execz .LBB4_10167
; %bb.10158:                            ;   in Loop: Header=BB4_9658 Depth=3
	v_mov_b32_e32 v53, 0
	v_cmp_ne_u32_e32 vcc, 0, v12
	s_and_saveexec_b64 s[36:37], vcc
	s_cbranch_execz .LBB4_10166
; %bb.10159:                            ;   in Loop: Header=BB4_9658 Depth=3
	v_bfe_u32 v15, v12, 23, 8
	v_and_b32_e32 v2, 0x7fffff, v12
	v_cmp_gt_u32_e64 s[28:29], s71, v15
	v_sub_u32_e32 v12, 0x79, v15
	v_cmp_eq_u32_e32 vcc, 0, v15
	v_cndmask_b32_e64 v12, 0, v12, s[28:29]
	v_mov_b32_e32 v14, 0x78
	v_cndmask_b32_e32 v16, v12, v14, vcc
	v_or_b32_e32 v13, 0x800000, v2
	v_add_u32_e32 v12, 20, v16
	v_cndmask_b32_e32 v2, v13, v2, vcc
	v_lshlrev_b64 v[12:13], v12, -1
	v_add_u32_e32 v14, 19, v16
	v_lshlrev_b64 v[29:30], v14, 1
	v_bfi_b32 v13, v13, 0, 0
	v_bfi_b32 v12, v12, 0, v2
	v_cmp_eq_u64_e64 s[28:29], v[12:13], v[29:30]
	v_lshrrev_b64 v[12:13], v16, v[2:3]
	v_mov_b32_e32 v14, v13
	v_mov_b32_e32 v13, v12
	s_and_saveexec_b64 s[38:39], s[28:29]
; %bb.10160:                            ;   in Loop: Header=BB4_9658 Depth=3
	v_bfe_u32 v2, v12, 20, 1
	v_add_co_u32_e64 v2, s[28:29], v12, v2
	v_add_co_u32_e64 v13, s[28:29], -1, v2
; %bb.10161:                            ;   in Loop: Header=BB4_9658 Depth=3
	s_or_b64 exec, exec, s[38:39]
	v_add_u32_e32 v2, 0xffffff81, v15
	v_mov_b32_e32 v14, 0xffffff82
	v_cndmask_b32_e32 v2, v2, v14, vcc
	v_lshrrev_b32_e32 v14, 23, v12
	v_add3_u32 v16, v16, v2, v14
	v_add_u32_e32 v15, 6, v16
	v_and_b32_e32 v2, 0xfffff, v13
	v_add_u32_e32 v2, v2, v12
	v_cmp_ne_u32_e32 vcc, 0, v15
                                        ; implicit-def: $vgpr12_vgpr13
                                        ; implicit-def: $vgpr14
	s_and_saveexec_b64 s[28:29], vcc
	s_xor_b64 s[28:29], exec, s[28:29]
; %bb.10162:                            ;   in Loop: Header=BB4_9658 Depth=3
	v_cmp_lt_u64_e32 vcc, s[74:75], v[2:3]
	v_add_u32_e32 v12, 7, v16
	v_cndmask_b32_e32 v14, v15, v12, vcc
	v_cndmask_b32_e64 v12, 0, 1, vcc
	v_lshrrev_b64 v[12:13], v12, v[2:3]
; %bb.10163:                            ;   in Loop: Header=BB4_9658 Depth=3
	s_andn2_saveexec_b64 s[28:29], s[28:29]
; %bb.10164:                            ;   in Loop: Header=BB4_9658 Depth=3
	v_mov_b32_e32 v13, v3
	v_bfe_u32 v14, v2, 23, 1
	v_mov_b32_e32 v12, v2
; %bb.10165:                            ;   in Loop: Header=BB4_9658 Depth=3
	s_or_b64 exec, exec, s[28:29]
	v_lshrrev_b64 v[12:13], 20, v[12:13]
	v_cmp_gt_i32_e32 vcc, 16, v14
	v_cndmask_b32_e32 v13, 0, v13, vcc
	v_cndmask_b32_e32 v12, 7, v12, vcc
	v_min_i32_e32 v2, 15, v14
	v_cmp_eq_u64_e64 s[28:29], 0, v[12:13]
	v_lshlrev_b32_e32 v2, 3, v2
	v_cmp_eq_u32_e32 vcc, 0, v14
	v_and_b32_e32 v2, 0xf8, v2
	v_and_or_b32 v2, v12, 7, v2
	s_and_b64 s[28:29], vcc, s[28:29]
	v_cndmask_b32_e64 v2, v2, 0, s[28:29]
	v_or_b32_e32 v53, v2, v6
.LBB4_10166:                            ;   in Loop: Header=BB4_9658 Depth=3
	s_or_b64 exec, exec, s[36:37]
                                        ; implicit-def: $vgpr6
.LBB4_10167:                            ;   in Loop: Header=BB4_9658 Depth=3
	s_andn2_saveexec_b64 s[28:29], s[34:35]
; %bb.10168:                            ;   in Loop: Header=BB4_9658 Depth=3
	v_or_b32_e32 v53, 0x7e, v6
; %bb.10169:                            ;   in Loop: Header=BB4_9658 Depth=3
	s_or_b64 exec, exec, s[28:29]
                                        ; implicit-def: $vgpr12
.LBB4_10170:                            ;   in Loop: Header=BB4_9658 Depth=3
	s_andn2_saveexec_b64 s[28:29], s[30:31]
; %bb.10171:                            ;   in Loop: Header=BB4_9658 Depth=3
	v_or_b32_sdwa v53, v12, s68 dst_sel:DWORD dst_unused:UNUSED_PAD src0_sel:BYTE_3 src1_sel:DWORD
; %bb.10172:                            ;   in Loop: Header=BB4_9658 Depth=3
	s_or_b64 exec, exec, s[28:29]
	v_cmp_lt_u64_e32 vcc, s[56:57], v[8:9]
	v_mov_b32_e32 v6, 0
	s_and_saveexec_b64 s[28:29], vcc
	s_cbranch_execz .LBB4_10178
; %bb.10173:                            ;   in Loop: Header=BB4_9658 Depth=3
	v_lshrrev_b32_e32 v2, 24, v9
	v_cmp_ne_u32_e32 vcc, s70, v2
	v_bfrev_b32_e32 v6, 1
	s_and_saveexec_b64 s[30:31], vcc
	s_cbranch_execz .LBB4_10177
; %bb.10174:                            ;   in Loop: Header=BB4_9658 Depth=3
	v_bfe_u32 v8, v9, 24, 7
	v_cmp_ne_u32_e32 vcc, s68, v8
	v_mov_b32_e32 v6, 0x7f800001
	s_and_saveexec_b64 s[34:35], vcc
	s_cbranch_execz .LBB4_10176
; %bb.10175:                            ;   in Loop: Header=BB4_9658 Depth=3
	v_and_b32_e32 v6, 7, v2
	v_lshrrev_b32_e32 v12, 3, v8
	v_cmp_gt_u32_e32 vcc, 8, v8
	v_ffbh_u32_e32 v8, v6
	v_min_u32_e32 v13, 32, v8
	v_subrev_u32_e32 v8, 28, v13
	v_lshlrev_b64 v[8:9], v8, v[2:3]
	v_sub_u32_e32 v9, 29, v13
	v_and_b32_e32 v8, 7, v8
	v_cndmask_b32_e32 v9, v12, v9, vcc
	v_cndmask_b32_e32 v6, v6, v8, vcc
	v_lshlrev_b32_e32 v2, 24, v2
	v_lshlrev_b32_e32 v6, 20, v6
	v_and_b32_e32 v2, 0x80000000, v2
	v_lshl_add_u32 v8, v9, 23, v5
	v_or3_b32 v6, v2, v8, v6
.LBB4_10176:                            ;   in Loop: Header=BB4_9658 Depth=3
	s_or_b64 exec, exec, s[34:35]
.LBB4_10177:                            ;   in Loop: Header=BB4_9658 Depth=3
	s_or_b64 exec, exec, s[30:31]
.LBB4_10178:                            ;   in Loop: Header=BB4_9658 Depth=3
	s_or_b64 exec, exec, s[28:29]
	v_mul_f32_e32 v8, v7, v6
	v_and_b32_e32 v2, 0x7f800000, v8
	v_cmp_ne_u64_e32 vcc, s[62:63], v[2:3]
                                        ; implicit-def: $vgpr61
	s_and_saveexec_b64 s[28:29], vcc
	s_xor_b64 s[30:31], exec, s[28:29]
	s_cbranch_execz .LBB4_10192
; %bb.10179:                            ;   in Loop: Header=BB4_9658 Depth=3
	v_and_b32_e32 v2, 0x7fffffff, v8
	v_cmp_gt_u64_e32 vcc, s[72:73], v[2:3]
	v_and_b32_sdwa v6, v8, s70 dst_sel:DWORD dst_unused:UNUSED_PAD src0_sel:BYTE_3 src1_sel:DWORD
                                        ; implicit-def: $vgpr61
	s_and_saveexec_b64 s[28:29], vcc
	s_xor_b64 s[34:35], exec, s[28:29]
	s_cbranch_execz .LBB4_10189
; %bb.10180:                            ;   in Loop: Header=BB4_9658 Depth=3
	v_mov_b32_e32 v61, 0
	v_cmp_ne_u32_e32 vcc, 0, v8
	s_and_saveexec_b64 s[36:37], vcc
	s_cbranch_execz .LBB4_10188
; %bb.10181:                            ;   in Loop: Header=BB4_9658 Depth=3
	v_bfe_u32 v14, v8, 23, 8
	v_and_b32_e32 v2, 0x7fffff, v8
	v_cmp_gt_u32_e64 s[28:29], s71, v14
	v_sub_u32_e32 v8, 0x79, v14
	v_cmp_eq_u32_e32 vcc, 0, v14
	v_cndmask_b32_e64 v8, 0, v8, s[28:29]
	v_mov_b32_e32 v12, 0x78
	v_cndmask_b32_e32 v15, v8, v12, vcc
	v_or_b32_e32 v9, 0x800000, v2
	v_add_u32_e32 v8, 20, v15
	v_cndmask_b32_e32 v2, v9, v2, vcc
	v_lshlrev_b64 v[8:9], v8, -1
	v_add_u32_e32 v12, 19, v15
	v_lshlrev_b64 v[12:13], v12, 1
	v_bfi_b32 v9, v9, 0, 0
	v_bfi_b32 v8, v8, 0, v2
	v_cmp_eq_u64_e64 s[28:29], v[8:9], v[12:13]
	v_lshrrev_b64 v[8:9], v15, v[2:3]
	v_mov_b32_e32 v13, v9
	v_mov_b32_e32 v12, v8
	s_and_saveexec_b64 s[38:39], s[28:29]
; %bb.10182:                            ;   in Loop: Header=BB4_9658 Depth=3
	v_bfe_u32 v2, v8, 20, 1
	v_add_co_u32_e64 v2, s[28:29], v8, v2
	v_add_co_u32_e64 v12, s[28:29], -1, v2
; %bb.10183:                            ;   in Loop: Header=BB4_9658 Depth=3
	s_or_b64 exec, exec, s[38:39]
	v_add_u32_e32 v2, 0xffffff81, v14
	v_mov_b32_e32 v9, 0xffffff82
	v_cndmask_b32_e32 v2, v2, v9, vcc
	v_lshrrev_b32_e32 v9, 23, v8
	v_add3_u32 v14, v15, v2, v9
	v_add_u32_e32 v13, 6, v14
	v_and_b32_e32 v2, 0xfffff, v12
	v_add_u32_e32 v2, v2, v8
	v_cmp_ne_u32_e32 vcc, 0, v13
                                        ; implicit-def: $vgpr8_vgpr9
                                        ; implicit-def: $vgpr12
	s_and_saveexec_b64 s[28:29], vcc
	s_xor_b64 s[28:29], exec, s[28:29]
; %bb.10184:                            ;   in Loop: Header=BB4_9658 Depth=3
	v_cmp_lt_u64_e32 vcc, s[74:75], v[2:3]
	v_add_u32_e32 v8, 7, v14
	v_cndmask_b32_e32 v12, v13, v8, vcc
	v_cndmask_b32_e64 v8, 0, 1, vcc
	v_lshrrev_b64 v[8:9], v8, v[2:3]
; %bb.10185:                            ;   in Loop: Header=BB4_9658 Depth=3
	s_andn2_saveexec_b64 s[28:29], s[28:29]
; %bb.10186:                            ;   in Loop: Header=BB4_9658 Depth=3
	v_mov_b32_e32 v9, v3
	v_bfe_u32 v12, v2, 23, 1
	v_mov_b32_e32 v8, v2
; %bb.10187:                            ;   in Loop: Header=BB4_9658 Depth=3
	s_or_b64 exec, exec, s[28:29]
	v_lshrrev_b64 v[8:9], 20, v[8:9]
	v_cmp_gt_i32_e32 vcc, 16, v12
	v_cndmask_b32_e32 v9, 0, v9, vcc
	v_cndmask_b32_e32 v8, 7, v8, vcc
	v_min_i32_e32 v2, 15, v12
	v_cmp_eq_u64_e64 s[28:29], 0, v[8:9]
	v_lshlrev_b32_e32 v2, 3, v2
	v_cmp_eq_u32_e32 vcc, 0, v12
	v_and_b32_e32 v2, 0xf8, v2
	v_and_or_b32 v2, v8, 7, v2
	s_and_b64 s[28:29], vcc, s[28:29]
	v_cndmask_b32_e64 v2, v2, 0, s[28:29]
	v_or_b32_e32 v61, v2, v6
.LBB4_10188:                            ;   in Loop: Header=BB4_9658 Depth=3
	s_or_b64 exec, exec, s[36:37]
                                        ; implicit-def: $vgpr6
.LBB4_10189:                            ;   in Loop: Header=BB4_9658 Depth=3
	s_andn2_saveexec_b64 s[28:29], s[34:35]
; %bb.10190:                            ;   in Loop: Header=BB4_9658 Depth=3
	v_or_b32_e32 v61, 0x7e, v6
; %bb.10191:                            ;   in Loop: Header=BB4_9658 Depth=3
	s_or_b64 exec, exec, s[28:29]
                                        ; implicit-def: $vgpr8
.LBB4_10192:                            ;   in Loop: Header=BB4_9658 Depth=3
	s_andn2_saveexec_b64 s[28:29], s[30:31]
; %bb.10193:                            ;   in Loop: Header=BB4_9658 Depth=3
	v_or_b32_sdwa v61, v8, s68 dst_sel:DWORD dst_unused:UNUSED_PAD src0_sel:BYTE_3 src1_sel:DWORD
; %bb.10194:                            ;   in Loop: Header=BB4_9658 Depth=3
	s_or_b64 exec, exec, s[28:29]
	v_cmp_ne_u16_sdwa vcc, v10, v3 src0_sel:BYTE_0 src1_sel:DWORD
	v_mov_b32_e32 v2, 0
	s_and_saveexec_b64 s[28:29], vcc
	s_cbranch_execz .LBB4_10200
; %bb.10195:                            ;   in Loop: Header=BB4_9658 Depth=3
	v_cmp_ne_u16_sdwa vcc, v10, s70 src0_sel:BYTE_0 src1_sel:DWORD
	v_bfrev_b32_e32 v2, 1
	s_and_saveexec_b64 s[30:31], vcc
	s_cbranch_execz .LBB4_10199
; %bb.10196:                            ;   in Loop: Header=BB4_9658 Depth=3
	v_and_b32_e32 v6, 0x7f, v10
	v_cmp_ne_u32_e32 vcc, s68, v6
	v_mov_b32_e32 v2, 0x7f800001
	s_and_saveexec_b64 s[34:35], vcc
	s_cbranch_execz .LBB4_10198
; %bb.10197:                            ;   in Loop: Header=BB4_9658 Depth=3
	v_and_b32_e32 v2, 7, v10
	v_ffbh_u32_e32 v2, v2
	v_min_u32_e32 v2, 32, v2
	v_lshrrev_b32_e32 v8, 3, v6
	v_cmp_gt_u32_e32 vcc, 8, v6
	v_subrev_u32_e32 v6, 28, v2
	v_sub_u32_e32 v2, 29, v2
	v_cndmask_b32_e32 v6, 0, v6, vcc
	v_cndmask_b32_e32 v2, v8, v2, vcc
	v_lshlrev_b64 v[8:9], v6, v[10:11]
	v_lshl_add_u32 v2, v2, 23, v5
	v_lshlrev_b32_e32 v6, 20, v8
	v_lshlrev_b32_e32 v8, 24, v10
	v_and_b32_e32 v6, 0x700000, v6
	v_and_b32_e32 v8, 0x80000000, v8
	v_or3_b32 v2, v8, v2, v6
.LBB4_10198:                            ;   in Loop: Header=BB4_9658 Depth=3
	s_or_b64 exec, exec, s[34:35]
.LBB4_10199:                            ;   in Loop: Header=BB4_9658 Depth=3
	s_or_b64 exec, exec, s[30:31]
.LBB4_10200:                            ;   in Loop: Header=BB4_9658 Depth=3
	s_or_b64 exec, exec, s[28:29]
	v_mul_f32_e32 v8, v7, v2
	v_and_b32_e32 v2, 0x7f800000, v8
	v_cmp_ne_u64_e32 vcc, s[62:63], v[2:3]
                                        ; implicit-def: $vgpr16
	s_and_saveexec_b64 s[28:29], vcc
	s_xor_b64 s[30:31], exec, s[28:29]
	s_cbranch_execz .LBB4_10214
; %bb.10201:                            ;   in Loop: Header=BB4_9658 Depth=3
	v_and_b32_e32 v2, 0x7fffffff, v8
	v_cmp_gt_u64_e32 vcc, s[72:73], v[2:3]
	v_and_b32_sdwa v6, v8, s70 dst_sel:DWORD dst_unused:UNUSED_PAD src0_sel:BYTE_3 src1_sel:DWORD
                                        ; implicit-def: $vgpr16
	s_and_saveexec_b64 s[28:29], vcc
	s_xor_b64 s[34:35], exec, s[28:29]
	s_cbranch_execz .LBB4_10211
; %bb.10202:                            ;   in Loop: Header=BB4_9658 Depth=3
	v_mov_b32_e32 v16, 0
	v_cmp_ne_u32_e32 vcc, 0, v8
	s_and_saveexec_b64 s[36:37], vcc
	s_cbranch_execz .LBB4_10210
; %bb.10203:                            ;   in Loop: Header=BB4_9658 Depth=3
	v_bfe_u32 v14, v8, 23, 8
	v_and_b32_e32 v2, 0x7fffff, v8
	v_cmp_gt_u32_e64 s[28:29], s71, v14
	v_sub_u32_e32 v8, 0x79, v14
	v_cmp_eq_u32_e32 vcc, 0, v14
	v_cndmask_b32_e64 v8, 0, v8, s[28:29]
	v_mov_b32_e32 v12, 0x78
	v_cndmask_b32_e32 v15, v8, v12, vcc
	v_or_b32_e32 v9, 0x800000, v2
	v_add_u32_e32 v8, 20, v15
	v_cndmask_b32_e32 v2, v9, v2, vcc
	v_lshlrev_b64 v[8:9], v8, -1
	v_add_u32_e32 v12, 19, v15
	v_lshlrev_b64 v[12:13], v12, 1
	v_bfi_b32 v9, v9, 0, 0
	v_bfi_b32 v8, v8, 0, v2
	v_cmp_eq_u64_e64 s[28:29], v[8:9], v[12:13]
	v_lshrrev_b64 v[8:9], v15, v[2:3]
	v_mov_b32_e32 v13, v9
	v_mov_b32_e32 v12, v8
	s_and_saveexec_b64 s[38:39], s[28:29]
; %bb.10204:                            ;   in Loop: Header=BB4_9658 Depth=3
	v_bfe_u32 v2, v8, 20, 1
	v_add_co_u32_e64 v2, s[28:29], v8, v2
	v_add_co_u32_e64 v12, s[28:29], -1, v2
; %bb.10205:                            ;   in Loop: Header=BB4_9658 Depth=3
	s_or_b64 exec, exec, s[38:39]
	v_add_u32_e32 v2, 0xffffff81, v14
	v_mov_b32_e32 v9, 0xffffff82
	v_cndmask_b32_e32 v2, v2, v9, vcc
	v_lshrrev_b32_e32 v9, 23, v8
	v_add3_u32 v14, v15, v2, v9
	v_add_u32_e32 v13, 6, v14
	v_and_b32_e32 v2, 0xfffff, v12
	v_add_u32_e32 v2, v2, v8
	v_cmp_ne_u32_e32 vcc, 0, v13
                                        ; implicit-def: $vgpr8_vgpr9
                                        ; implicit-def: $vgpr12
	s_and_saveexec_b64 s[28:29], vcc
	s_xor_b64 s[28:29], exec, s[28:29]
; %bb.10206:                            ;   in Loop: Header=BB4_9658 Depth=3
	v_cmp_lt_u64_e32 vcc, s[74:75], v[2:3]
	v_add_u32_e32 v8, 7, v14
	v_cndmask_b32_e32 v12, v13, v8, vcc
	v_cndmask_b32_e64 v8, 0, 1, vcc
	v_lshrrev_b64 v[8:9], v8, v[2:3]
; %bb.10207:                            ;   in Loop: Header=BB4_9658 Depth=3
	s_andn2_saveexec_b64 s[28:29], s[28:29]
; %bb.10208:                            ;   in Loop: Header=BB4_9658 Depth=3
	v_mov_b32_e32 v9, v3
	v_bfe_u32 v12, v2, 23, 1
	v_mov_b32_e32 v8, v2
; %bb.10209:                            ;   in Loop: Header=BB4_9658 Depth=3
	s_or_b64 exec, exec, s[28:29]
	v_lshrrev_b64 v[8:9], 20, v[8:9]
	v_cmp_gt_i32_e32 vcc, 16, v12
	v_cndmask_b32_e32 v9, 0, v9, vcc
	v_cndmask_b32_e32 v8, 7, v8, vcc
	v_min_i32_e32 v2, 15, v12
	v_cmp_eq_u64_e64 s[28:29], 0, v[8:9]
	v_lshlrev_b32_e32 v2, 3, v2
	v_cmp_eq_u32_e32 vcc, 0, v12
	v_and_b32_e32 v2, 0xf8, v2
	v_and_or_b32 v2, v8, 7, v2
	s_and_b64 s[28:29], vcc, s[28:29]
	v_cndmask_b32_e64 v2, v2, 0, s[28:29]
	v_or_b32_e32 v16, v2, v6
.LBB4_10210:                            ;   in Loop: Header=BB4_9658 Depth=3
	s_or_b64 exec, exec, s[36:37]
                                        ; implicit-def: $vgpr6
.LBB4_10211:                            ;   in Loop: Header=BB4_9658 Depth=3
	s_andn2_saveexec_b64 s[28:29], s[34:35]
; %bb.10212:                            ;   in Loop: Header=BB4_9658 Depth=3
	v_or_b32_e32 v16, 0x7e, v6
; %bb.10213:                            ;   in Loop: Header=BB4_9658 Depth=3
	s_or_b64 exec, exec, s[28:29]
                                        ; implicit-def: $vgpr8
.LBB4_10214:                            ;   in Loop: Header=BB4_9658 Depth=3
	s_andn2_saveexec_b64 s[28:29], s[30:31]
; %bb.10215:                            ;   in Loop: Header=BB4_9658 Depth=3
	v_or_b32_sdwa v16, v8, s68 dst_sel:DWORD dst_unused:UNUSED_PAD src0_sel:BYTE_3 src1_sel:DWORD
; %bb.10216:                            ;   in Loop: Header=BB4_9658 Depth=3
	s_or_b64 exec, exec, s[28:29]
	v_lshrrev_b16_e32 v2, 8, v10
	v_cmp_ne_u16_e32 vcc, 0, v2
	v_mov_b32_e32 v6, 0
	s_and_saveexec_b64 s[28:29], vcc
	s_cbranch_execz .LBB4_10222
; %bb.10217:                            ;   in Loop: Header=BB4_9658 Depth=3
	v_cmp_ne_u16_e32 vcc, s70, v2
	v_bfrev_b32_e32 v6, 1
	s_and_saveexec_b64 s[30:31], vcc
	s_cbranch_execz .LBB4_10221
; %bb.10218:                            ;   in Loop: Header=BB4_9658 Depth=3
	v_and_b32_e32 v8, 0x7f, v2
	v_cmp_ne_u32_e32 vcc, s68, v8
	v_mov_b32_e32 v6, 0x7f800001
	s_and_saveexec_b64 s[34:35], vcc
	s_cbranch_execz .LBB4_10220
; %bb.10219:                            ;   in Loop: Header=BB4_9658 Depth=3
	v_and_b32_e32 v6, 7, v2
	v_lshrrev_b32_e32 v12, 3, v8
	v_cmp_gt_u32_e32 vcc, 8, v8
	v_ffbh_u32_e32 v8, v6
	v_min_u32_e32 v13, 32, v8
	v_subrev_u32_e32 v8, 28, v13
	v_lshlrev_b64 v[8:9], v8, v[2:3]
	v_sub_u32_e32 v2, 29, v13
	v_and_b32_e32 v8, 7, v8
	v_cndmask_b32_e32 v2, v12, v2, vcc
	v_cndmask_b32_e32 v6, v6, v8, vcc
	v_lshlrev_b32_e32 v8, 16, v10
	v_lshlrev_b32_e32 v6, 20, v6
	v_and_b32_e32 v8, 0x80000000, v8
	v_lshl_add_u32 v2, v2, 23, v5
	v_or3_b32 v6, v8, v2, v6
.LBB4_10220:                            ;   in Loop: Header=BB4_9658 Depth=3
	s_or_b64 exec, exec, s[34:35]
.LBB4_10221:                            ;   in Loop: Header=BB4_9658 Depth=3
	s_or_b64 exec, exec, s[30:31]
.LBB4_10222:                            ;   in Loop: Header=BB4_9658 Depth=3
	s_or_b64 exec, exec, s[28:29]
	v_mul_f32_e32 v8, v7, v6
	v_and_b32_e32 v2, 0x7f800000, v8
	v_cmp_ne_u64_e32 vcc, s[62:63], v[2:3]
                                        ; implicit-def: $vgpr2
                                        ; kill: killed $vgpr2
	s_and_saveexec_b64 s[28:29], vcc
	s_xor_b64 s[30:31], exec, s[28:29]
	s_cbranch_execz .LBB4_10236
; %bb.10223:                            ;   in Loop: Header=BB4_9658 Depth=3
	v_and_b32_e32 v2, 0x7fffffff, v8
	v_cmp_gt_u64_e32 vcc, s[72:73], v[2:3]
	v_and_b32_sdwa v6, v8, s70 dst_sel:DWORD dst_unused:UNUSED_PAD src0_sel:BYTE_3 src1_sel:DWORD
                                        ; implicit-def: $vgpr2
                                        ; kill: killed $vgpr2
	s_and_saveexec_b64 s[28:29], vcc
	s_xor_b64 s[34:35], exec, s[28:29]
	s_cbranch_execz .LBB4_10233
; %bb.10224:                            ;   in Loop: Header=BB4_9658 Depth=3
	v_mov_b32_e32 v2, 0
	v_cmp_ne_u32_e32 vcc, 0, v8
	buffer_store_dword v2, off, s[0:3], s33 offset:204 ; 4-byte Folded Spill
	s_and_saveexec_b64 s[36:37], vcc
	s_cbranch_execz .LBB4_10232
; %bb.10225:                            ;   in Loop: Header=BB4_9658 Depth=3
	v_bfe_u32 v14, v8, 23, 8
	v_and_b32_e32 v2, 0x7fffff, v8
	v_cmp_gt_u32_e64 s[28:29], s71, v14
	v_sub_u32_e32 v8, 0x79, v14
	v_cmp_eq_u32_e32 vcc, 0, v14
	v_cndmask_b32_e64 v8, 0, v8, s[28:29]
	v_mov_b32_e32 v12, 0x78
	v_cndmask_b32_e32 v15, v8, v12, vcc
	v_or_b32_e32 v9, 0x800000, v2
	v_add_u32_e32 v8, 20, v15
	v_cndmask_b32_e32 v2, v9, v2, vcc
	v_lshlrev_b64 v[8:9], v8, -1
	v_add_u32_e32 v12, 19, v15
	v_lshlrev_b64 v[12:13], v12, 1
	v_bfi_b32 v9, v9, 0, 0
	v_bfi_b32 v8, v8, 0, v2
	v_cmp_eq_u64_e64 s[28:29], v[8:9], v[12:13]
	v_lshrrev_b64 v[8:9], v15, v[2:3]
	v_mov_b32_e32 v13, v9
	v_mov_b32_e32 v12, v8
	s_and_saveexec_b64 s[38:39], s[28:29]
; %bb.10226:                            ;   in Loop: Header=BB4_9658 Depth=3
	v_bfe_u32 v2, v8, 20, 1
	v_add_co_u32_e64 v2, s[28:29], v8, v2
	v_add_co_u32_e64 v12, s[28:29], -1, v2
; %bb.10227:                            ;   in Loop: Header=BB4_9658 Depth=3
	s_or_b64 exec, exec, s[38:39]
	v_add_u32_e32 v2, 0xffffff81, v14
	v_mov_b32_e32 v9, 0xffffff82
	v_cndmask_b32_e32 v2, v2, v9, vcc
	v_lshrrev_b32_e32 v9, 23, v8
	v_add3_u32 v14, v15, v2, v9
	v_add_u32_e32 v13, 6, v14
	v_and_b32_e32 v2, 0xfffff, v12
	v_add_u32_e32 v2, v2, v8
	v_cmp_ne_u32_e32 vcc, 0, v13
                                        ; implicit-def: $vgpr8_vgpr9
                                        ; implicit-def: $vgpr12
	s_and_saveexec_b64 s[28:29], vcc
	s_xor_b64 s[28:29], exec, s[28:29]
; %bb.10228:                            ;   in Loop: Header=BB4_9658 Depth=3
	v_cmp_lt_u64_e32 vcc, s[74:75], v[2:3]
	v_add_u32_e32 v8, 7, v14
	v_cndmask_b32_e32 v12, v13, v8, vcc
	v_cndmask_b32_e64 v8, 0, 1, vcc
	v_lshrrev_b64 v[8:9], v8, v[2:3]
; %bb.10229:                            ;   in Loop: Header=BB4_9658 Depth=3
	s_andn2_saveexec_b64 s[28:29], s[28:29]
; %bb.10230:                            ;   in Loop: Header=BB4_9658 Depth=3
	v_mov_b32_e32 v9, v3
	v_bfe_u32 v12, v2, 23, 1
	v_mov_b32_e32 v8, v2
; %bb.10231:                            ;   in Loop: Header=BB4_9658 Depth=3
	s_or_b64 exec, exec, s[28:29]
	v_lshrrev_b64 v[8:9], 20, v[8:9]
	v_cmp_gt_i32_e32 vcc, 16, v12
	v_cndmask_b32_e32 v9, 0, v9, vcc
	v_cndmask_b32_e32 v8, 7, v8, vcc
	v_min_i32_e32 v2, 15, v12
	v_cmp_eq_u64_e64 s[28:29], 0, v[8:9]
	v_lshlrev_b32_e32 v2, 3, v2
	v_cmp_eq_u32_e32 vcc, 0, v12
	v_and_b32_e32 v2, 0xf8, v2
	v_and_or_b32 v2, v8, 7, v2
	s_and_b64 s[28:29], vcc, s[28:29]
	v_cndmask_b32_e64 v2, v2, 0, s[28:29]
	v_or_b32_e32 v2, v2, v6
	buffer_store_dword v2, off, s[0:3], s33 offset:204 ; 4-byte Folded Spill
.LBB4_10232:                            ;   in Loop: Header=BB4_9658 Depth=3
	s_or_b64 exec, exec, s[36:37]
                                        ; implicit-def: $vgpr6
.LBB4_10233:                            ;   in Loop: Header=BB4_9658 Depth=3
	s_andn2_saveexec_b64 s[28:29], s[34:35]
	s_cbranch_execz .LBB4_10235
; %bb.10234:                            ;   in Loop: Header=BB4_9658 Depth=3
	v_or_b32_e32 v2, 0x7e, v6
	buffer_store_dword v2, off, s[0:3], s33 offset:204 ; 4-byte Folded Spill
.LBB4_10235:                            ;   in Loop: Header=BB4_9658 Depth=3
	s_or_b64 exec, exec, s[28:29]
                                        ; implicit-def: $vgpr8
.LBB4_10236:                            ;   in Loop: Header=BB4_9658 Depth=3
	s_andn2_saveexec_b64 s[28:29], s[30:31]
	s_cbranch_execz .LBB4_10238
; %bb.10237:                            ;   in Loop: Header=BB4_9658 Depth=3
	v_or_b32_sdwa v2, v8, s68 dst_sel:DWORD dst_unused:UNUSED_PAD src0_sel:BYTE_3 src1_sel:DWORD
	buffer_store_dword v2, off, s[0:3], s33 offset:204 ; 4-byte Folded Spill
.LBB4_10238:                            ;   in Loop: Header=BB4_9658 Depth=3
	s_or_b64 exec, exec, s[28:29]
	v_lshrrev_b32_e32 v2, 16, v10
	v_cmp_ne_u16_sdwa vcc, v2, v3 src0_sel:BYTE_0 src1_sel:DWORD
	v_mov_b32_e32 v6, 0
	s_and_saveexec_b64 s[28:29], vcc
	s_cbranch_execz .LBB4_10244
; %bb.10239:                            ;   in Loop: Header=BB4_9658 Depth=3
	v_cmp_ne_u16_sdwa vcc, v2, s70 src0_sel:BYTE_0 src1_sel:DWORD
	v_bfrev_b32_e32 v6, 1
	s_and_saveexec_b64 s[30:31], vcc
	s_cbranch_execz .LBB4_10243
; %bb.10240:                            ;   in Loop: Header=BB4_9658 Depth=3
	v_bfe_u32 v8, v10, 16, 7
	v_cmp_ne_u32_e32 vcc, s68, v8
	v_mov_b32_e32 v6, 0x7f800001
	s_and_saveexec_b64 s[34:35], vcc
	s_cbranch_execz .LBB4_10242
; %bb.10241:                            ;   in Loop: Header=BB4_9658 Depth=3
	v_and_b32_e32 v6, 7, v2
	v_lshrrev_b32_e32 v12, 3, v8
	v_cmp_gt_u32_e32 vcc, 8, v8
	v_ffbh_u32_e32 v8, v6
	v_min_u32_e32 v13, 32, v8
	v_subrev_u32_e32 v8, 28, v13
	v_lshlrev_b64 v[8:9], v8, v[2:3]
	v_sub_u32_e32 v9, 29, v13
	v_and_b32_e32 v8, 7, v8
	v_cndmask_b32_e32 v9, v12, v9, vcc
	v_cndmask_b32_e32 v6, v6, v8, vcc
	v_lshlrev_b32_e32 v2, 24, v2
	v_lshlrev_b32_e32 v6, 20, v6
	v_and_b32_e32 v2, 0x80000000, v2
	v_lshl_add_u32 v8, v9, 23, v5
	v_or3_b32 v6, v2, v8, v6
.LBB4_10242:                            ;   in Loop: Header=BB4_9658 Depth=3
	s_or_b64 exec, exec, s[34:35]
.LBB4_10243:                            ;   in Loop: Header=BB4_9658 Depth=3
	s_or_b64 exec, exec, s[30:31]
.LBB4_10244:                            ;   in Loop: Header=BB4_9658 Depth=3
	s_or_b64 exec, exec, s[28:29]
	v_mul_f32_e32 v8, v7, v6
	v_and_b32_e32 v2, 0x7f800000, v8
	v_cmp_ne_u64_e32 vcc, s[62:63], v[2:3]
                                        ; implicit-def: $vgpr58
	s_and_saveexec_b64 s[28:29], vcc
	s_xor_b64 s[30:31], exec, s[28:29]
	s_cbranch_execz .LBB4_10258
; %bb.10245:                            ;   in Loop: Header=BB4_9658 Depth=3
	v_and_b32_e32 v2, 0x7fffffff, v8
	v_cmp_gt_u64_e32 vcc, s[72:73], v[2:3]
	v_and_b32_sdwa v6, v8, s70 dst_sel:DWORD dst_unused:UNUSED_PAD src0_sel:BYTE_3 src1_sel:DWORD
                                        ; implicit-def: $vgpr58
	s_and_saveexec_b64 s[28:29], vcc
	s_xor_b64 s[34:35], exec, s[28:29]
	s_cbranch_execz .LBB4_10255
; %bb.10246:                            ;   in Loop: Header=BB4_9658 Depth=3
	v_mov_b32_e32 v58, 0
	v_cmp_ne_u32_e32 vcc, 0, v8
	s_and_saveexec_b64 s[36:37], vcc
	s_cbranch_execz .LBB4_10254
; %bb.10247:                            ;   in Loop: Header=BB4_9658 Depth=3
	v_bfe_u32 v14, v8, 23, 8
	v_and_b32_e32 v2, 0x7fffff, v8
	v_cmp_gt_u32_e64 s[28:29], s71, v14
	v_sub_u32_e32 v8, 0x79, v14
	v_cmp_eq_u32_e32 vcc, 0, v14
	v_cndmask_b32_e64 v8, 0, v8, s[28:29]
	v_mov_b32_e32 v12, 0x78
	v_cndmask_b32_e32 v15, v8, v12, vcc
	v_or_b32_e32 v9, 0x800000, v2
	v_add_u32_e32 v8, 20, v15
	v_cndmask_b32_e32 v2, v9, v2, vcc
	v_lshlrev_b64 v[8:9], v8, -1
	v_add_u32_e32 v12, 19, v15
	v_lshlrev_b64 v[12:13], v12, 1
	v_bfi_b32 v9, v9, 0, 0
	v_bfi_b32 v8, v8, 0, v2
	v_cmp_eq_u64_e64 s[28:29], v[8:9], v[12:13]
	v_lshrrev_b64 v[8:9], v15, v[2:3]
	v_mov_b32_e32 v13, v9
	v_mov_b32_e32 v12, v8
	s_and_saveexec_b64 s[38:39], s[28:29]
; %bb.10248:                            ;   in Loop: Header=BB4_9658 Depth=3
	v_bfe_u32 v2, v8, 20, 1
	v_add_co_u32_e64 v2, s[28:29], v8, v2
	v_add_co_u32_e64 v12, s[28:29], -1, v2
; %bb.10249:                            ;   in Loop: Header=BB4_9658 Depth=3
	s_or_b64 exec, exec, s[38:39]
	v_add_u32_e32 v2, 0xffffff81, v14
	v_mov_b32_e32 v9, 0xffffff82
	v_cndmask_b32_e32 v2, v2, v9, vcc
	v_lshrrev_b32_e32 v9, 23, v8
	v_add3_u32 v14, v15, v2, v9
	v_add_u32_e32 v13, 6, v14
	v_and_b32_e32 v2, 0xfffff, v12
	v_add_u32_e32 v2, v2, v8
	v_cmp_ne_u32_e32 vcc, 0, v13
                                        ; implicit-def: $vgpr8_vgpr9
                                        ; implicit-def: $vgpr12
	s_and_saveexec_b64 s[28:29], vcc
	s_xor_b64 s[28:29], exec, s[28:29]
; %bb.10250:                            ;   in Loop: Header=BB4_9658 Depth=3
	v_cmp_lt_u64_e32 vcc, s[74:75], v[2:3]
	v_add_u32_e32 v8, 7, v14
	v_cndmask_b32_e32 v12, v13, v8, vcc
	v_cndmask_b32_e64 v8, 0, 1, vcc
	v_lshrrev_b64 v[8:9], v8, v[2:3]
; %bb.10251:                            ;   in Loop: Header=BB4_9658 Depth=3
	s_andn2_saveexec_b64 s[28:29], s[28:29]
; %bb.10252:                            ;   in Loop: Header=BB4_9658 Depth=3
	v_mov_b32_e32 v9, v3
	v_bfe_u32 v12, v2, 23, 1
	v_mov_b32_e32 v8, v2
; %bb.10253:                            ;   in Loop: Header=BB4_9658 Depth=3
	s_or_b64 exec, exec, s[28:29]
	v_lshrrev_b64 v[8:9], 20, v[8:9]
	v_cmp_gt_i32_e32 vcc, 16, v12
	v_cndmask_b32_e32 v9, 0, v9, vcc
	v_cndmask_b32_e32 v8, 7, v8, vcc
	v_min_i32_e32 v2, 15, v12
	v_cmp_eq_u64_e64 s[28:29], 0, v[8:9]
	v_lshlrev_b32_e32 v2, 3, v2
	v_cmp_eq_u32_e32 vcc, 0, v12
	v_and_b32_e32 v2, 0xf8, v2
	v_and_or_b32 v2, v8, 7, v2
	s_and_b64 s[28:29], vcc, s[28:29]
	v_cndmask_b32_e64 v2, v2, 0, s[28:29]
	v_or_b32_e32 v58, v2, v6
.LBB4_10254:                            ;   in Loop: Header=BB4_9658 Depth=3
	s_or_b64 exec, exec, s[36:37]
                                        ; implicit-def: $vgpr6
.LBB4_10255:                            ;   in Loop: Header=BB4_9658 Depth=3
	s_andn2_saveexec_b64 s[28:29], s[34:35]
; %bb.10256:                            ;   in Loop: Header=BB4_9658 Depth=3
	v_or_b32_e32 v58, 0x7e, v6
; %bb.10257:                            ;   in Loop: Header=BB4_9658 Depth=3
	s_or_b64 exec, exec, s[28:29]
                                        ; implicit-def: $vgpr8
.LBB4_10258:                            ;   in Loop: Header=BB4_9658 Depth=3
	s_andn2_saveexec_b64 s[28:29], s[30:31]
; %bb.10259:                            ;   in Loop: Header=BB4_9658 Depth=3
	v_or_b32_sdwa v58, v8, s68 dst_sel:DWORD dst_unused:UNUSED_PAD src0_sel:BYTE_3 src1_sel:DWORD
; %bb.10260:                            ;   in Loop: Header=BB4_9658 Depth=3
	s_or_b64 exec, exec, s[28:29]
	v_cmp_lt_u32_e32 vcc, s57, v10
	v_mov_b32_e32 v6, 0
	s_and_saveexec_b64 s[28:29], vcc
	s_cbranch_execz .LBB4_10266
; %bb.10261:                            ;   in Loop: Header=BB4_9658 Depth=3
	v_lshrrev_b32_e32 v2, 24, v10
	v_cmp_ne_u32_e32 vcc, s70, v2
	v_bfrev_b32_e32 v6, 1
	s_and_saveexec_b64 s[30:31], vcc
	s_cbranch_execz .LBB4_10265
; %bb.10262:                            ;   in Loop: Header=BB4_9658 Depth=3
	v_bfe_u32 v8, v10, 24, 7
	v_cmp_ne_u32_e32 vcc, s68, v8
	v_mov_b32_e32 v6, 0x7f800001
	s_and_saveexec_b64 s[34:35], vcc
	s_cbranch_execz .LBB4_10264
; %bb.10263:                            ;   in Loop: Header=BB4_9658 Depth=3
	v_and_b32_e32 v6, 7, v2
	v_lshrrev_b32_e32 v12, 3, v8
	v_cmp_gt_u32_e32 vcc, 8, v8
	v_ffbh_u32_e32 v8, v6
	v_min_u32_e32 v13, 32, v8
	v_subrev_u32_e32 v8, 28, v13
	v_lshlrev_b64 v[8:9], v8, v[2:3]
	v_sub_u32_e32 v9, 29, v13
	v_and_b32_e32 v8, 7, v8
	v_cndmask_b32_e32 v9, v12, v9, vcc
	v_cndmask_b32_e32 v6, v6, v8, vcc
	v_lshlrev_b32_e32 v2, 24, v2
	v_lshlrev_b32_e32 v6, 20, v6
	v_and_b32_e32 v2, 0x80000000, v2
	v_lshl_add_u32 v8, v9, 23, v5
	v_or3_b32 v6, v2, v8, v6
.LBB4_10264:                            ;   in Loop: Header=BB4_9658 Depth=3
	s_or_b64 exec, exec, s[34:35]
.LBB4_10265:                            ;   in Loop: Header=BB4_9658 Depth=3
	s_or_b64 exec, exec, s[30:31]
.LBB4_10266:                            ;   in Loop: Header=BB4_9658 Depth=3
	s_or_b64 exec, exec, s[28:29]
	v_mul_f32_e32 v8, v7, v6
	v_and_b32_e32 v2, 0x7f800000, v8
	v_cmp_ne_u64_e32 vcc, s[62:63], v[2:3]
                                        ; implicit-def: $vgpr50
	s_and_saveexec_b64 s[28:29], vcc
	s_xor_b64 s[30:31], exec, s[28:29]
	s_cbranch_execz .LBB4_10280
; %bb.10267:                            ;   in Loop: Header=BB4_9658 Depth=3
	v_and_b32_e32 v2, 0x7fffffff, v8
	v_cmp_gt_u64_e32 vcc, s[72:73], v[2:3]
	v_and_b32_sdwa v6, v8, s70 dst_sel:DWORD dst_unused:UNUSED_PAD src0_sel:BYTE_3 src1_sel:DWORD
                                        ; implicit-def: $vgpr50
	s_and_saveexec_b64 s[28:29], vcc
	s_xor_b64 s[34:35], exec, s[28:29]
	s_cbranch_execz .LBB4_10277
; %bb.10268:                            ;   in Loop: Header=BB4_9658 Depth=3
	v_mov_b32_e32 v50, 0
	v_cmp_ne_u32_e32 vcc, 0, v8
	s_and_saveexec_b64 s[36:37], vcc
	s_cbranch_execz .LBB4_10276
; %bb.10269:                            ;   in Loop: Header=BB4_9658 Depth=3
	v_bfe_u32 v14, v8, 23, 8
	v_and_b32_e32 v2, 0x7fffff, v8
	v_cmp_gt_u32_e64 s[28:29], s71, v14
	v_sub_u32_e32 v8, 0x79, v14
	v_cmp_eq_u32_e32 vcc, 0, v14
	v_cndmask_b32_e64 v8, 0, v8, s[28:29]
	v_mov_b32_e32 v12, 0x78
	v_cndmask_b32_e32 v15, v8, v12, vcc
	v_or_b32_e32 v9, 0x800000, v2
	v_add_u32_e32 v8, 20, v15
	v_cndmask_b32_e32 v2, v9, v2, vcc
	v_lshlrev_b64 v[8:9], v8, -1
	v_add_u32_e32 v12, 19, v15
	v_lshlrev_b64 v[12:13], v12, 1
	v_bfi_b32 v9, v9, 0, 0
	v_bfi_b32 v8, v8, 0, v2
	v_cmp_eq_u64_e64 s[28:29], v[8:9], v[12:13]
	v_lshrrev_b64 v[8:9], v15, v[2:3]
	v_mov_b32_e32 v13, v9
	v_mov_b32_e32 v12, v8
	s_and_saveexec_b64 s[38:39], s[28:29]
; %bb.10270:                            ;   in Loop: Header=BB4_9658 Depth=3
	v_bfe_u32 v2, v8, 20, 1
	v_add_co_u32_e64 v2, s[28:29], v8, v2
	v_add_co_u32_e64 v12, s[28:29], -1, v2
; %bb.10271:                            ;   in Loop: Header=BB4_9658 Depth=3
	s_or_b64 exec, exec, s[38:39]
	v_add_u32_e32 v2, 0xffffff81, v14
	v_mov_b32_e32 v9, 0xffffff82
	v_cndmask_b32_e32 v2, v2, v9, vcc
	v_lshrrev_b32_e32 v9, 23, v8
	v_add3_u32 v14, v15, v2, v9
	v_add_u32_e32 v13, 6, v14
	v_and_b32_e32 v2, 0xfffff, v12
	v_add_u32_e32 v2, v2, v8
	v_cmp_ne_u32_e32 vcc, 0, v13
                                        ; implicit-def: $vgpr8_vgpr9
                                        ; implicit-def: $vgpr12
	s_and_saveexec_b64 s[28:29], vcc
	s_xor_b64 s[28:29], exec, s[28:29]
; %bb.10272:                            ;   in Loop: Header=BB4_9658 Depth=3
	v_cmp_lt_u64_e32 vcc, s[74:75], v[2:3]
	v_add_u32_e32 v8, 7, v14
	v_cndmask_b32_e32 v12, v13, v8, vcc
	v_cndmask_b32_e64 v8, 0, 1, vcc
	v_lshrrev_b64 v[8:9], v8, v[2:3]
; %bb.10273:                            ;   in Loop: Header=BB4_9658 Depth=3
	s_andn2_saveexec_b64 s[28:29], s[28:29]
; %bb.10274:                            ;   in Loop: Header=BB4_9658 Depth=3
	v_mov_b32_e32 v9, v3
	v_bfe_u32 v12, v2, 23, 1
	v_mov_b32_e32 v8, v2
; %bb.10275:                            ;   in Loop: Header=BB4_9658 Depth=3
	s_or_b64 exec, exec, s[28:29]
	v_lshrrev_b64 v[8:9], 20, v[8:9]
	v_cmp_gt_i32_e32 vcc, 16, v12
	v_cndmask_b32_e32 v9, 0, v9, vcc
	v_cndmask_b32_e32 v8, 7, v8, vcc
	v_min_i32_e32 v2, 15, v12
	v_cmp_eq_u64_e64 s[28:29], 0, v[8:9]
	v_lshlrev_b32_e32 v2, 3, v2
	v_cmp_eq_u32_e32 vcc, 0, v12
	v_and_b32_e32 v2, 0xf8, v2
	v_and_or_b32 v2, v8, 7, v2
	s_and_b64 s[28:29], vcc, s[28:29]
	v_cndmask_b32_e64 v2, v2, 0, s[28:29]
	v_or_b32_e32 v50, v2, v6
.LBB4_10276:                            ;   in Loop: Header=BB4_9658 Depth=3
	s_or_b64 exec, exec, s[36:37]
                                        ; implicit-def: $vgpr6
.LBB4_10277:                            ;   in Loop: Header=BB4_9658 Depth=3
	s_andn2_saveexec_b64 s[28:29], s[34:35]
; %bb.10278:                            ;   in Loop: Header=BB4_9658 Depth=3
	v_or_b32_e32 v50, 0x7e, v6
; %bb.10279:                            ;   in Loop: Header=BB4_9658 Depth=3
	s_or_b64 exec, exec, s[28:29]
                                        ; implicit-def: $vgpr8
.LBB4_10280:                            ;   in Loop: Header=BB4_9658 Depth=3
	s_andn2_saveexec_b64 s[28:29], s[30:31]
; %bb.10281:                            ;   in Loop: Header=BB4_9658 Depth=3
	v_or_b32_sdwa v50, v8, s68 dst_sel:DWORD dst_unused:UNUSED_PAD src0_sel:BYTE_3 src1_sel:DWORD
; %bb.10282:                            ;   in Loop: Header=BB4_9658 Depth=3
	s_or_b64 exec, exec, s[28:29]
	v_mov_b32_e32 v2, v11
	v_cmp_ne_u16_sdwa vcc, v11, v3 src0_sel:BYTE_0 src1_sel:DWORD
	v_mov_b32_e32 v6, 0
	s_and_saveexec_b64 s[28:29], vcc
	s_cbranch_execz .LBB4_10288
; %bb.10283:                            ;   in Loop: Header=BB4_9658 Depth=3
	v_cmp_ne_u16_sdwa vcc, v11, s70 src0_sel:BYTE_0 src1_sel:DWORD
	v_bfrev_b32_e32 v6, 1
	s_and_saveexec_b64 s[30:31], vcc
	s_cbranch_execz .LBB4_10287
; %bb.10284:                            ;   in Loop: Header=BB4_9658 Depth=3
	v_and_b32_e32 v8, 0x7f, v11
	v_cmp_ne_u32_e32 vcc, s68, v8
	v_mov_b32_e32 v6, 0x7f800001
	s_and_saveexec_b64 s[34:35], vcc
	s_cbranch_execz .LBB4_10286
; %bb.10285:                            ;   in Loop: Header=BB4_9658 Depth=3
	v_and_b32_e32 v6, 7, v11
	v_ffbh_u32_e32 v6, v6
	v_min_u32_e32 v6, 32, v6
	v_lshrrev_b32_e32 v9, 3, v8
	v_cmp_gt_u32_e32 vcc, 8, v8
	v_subrev_u32_e32 v8, 28, v6
	v_sub_u32_e32 v6, 29, v6
	v_cndmask_b32_e32 v8, 0, v8, vcc
	v_cndmask_b32_e32 v6, v9, v6, vcc
	v_lshlrev_b64 v[8:9], v8, v[2:3]
	v_lshlrev_b32_e32 v9, 24, v2
	v_lshlrev_b32_e32 v8, 20, v8
	v_and_b32_e32 v8, 0x700000, v8
	v_and_b32_e32 v9, 0x80000000, v9
	v_lshl_add_u32 v6, v6, 23, v5
	v_or3_b32 v6, v9, v6, v8
.LBB4_10286:                            ;   in Loop: Header=BB4_9658 Depth=3
	s_or_b64 exec, exec, s[34:35]
.LBB4_10287:                            ;   in Loop: Header=BB4_9658 Depth=3
	s_or_b64 exec, exec, s[30:31]
.LBB4_10288:                            ;   in Loop: Header=BB4_9658 Depth=3
	s_or_b64 exec, exec, s[28:29]
	v_mul_f32_e32 v8, v7, v6
	v_and_b32_e32 v12, 0x7f800000, v8
	v_mov_b32_e32 v13, v3
	v_cmp_ne_u64_e32 vcc, s[62:63], v[12:13]
                                        ; implicit-def: $vgpr6
	s_and_saveexec_b64 s[28:29], vcc
	s_xor_b64 s[30:31], exec, s[28:29]
	s_cbranch_execz .LBB4_10302
; %bb.10289:                            ;   in Loop: Header=BB4_9658 Depth=3
	v_and_b32_e32 v12, 0x7fffffff, v8
	v_mov_b32_e32 v13, v3
	v_cmp_gt_u64_e32 vcc, s[72:73], v[12:13]
	v_and_b32_sdwa v14, v8, s70 dst_sel:DWORD dst_unused:UNUSED_PAD src0_sel:BYTE_3 src1_sel:DWORD
                                        ; implicit-def: $vgpr6
	s_and_saveexec_b64 s[28:29], vcc
	s_xor_b64 s[34:35], exec, s[28:29]
	s_cbranch_execz .LBB4_10299
; %bb.10290:                            ;   in Loop: Header=BB4_9658 Depth=3
	v_mov_b32_e32 v6, 0
	v_cmp_ne_u32_e32 vcc, 0, v8
	s_and_saveexec_b64 s[36:37], vcc
	s_cbranch_execz .LBB4_10298
; %bb.10291:                            ;   in Loop: Header=BB4_9658 Depth=3
	v_bfe_u32 v6, v8, 23, 8
	v_and_b32_e32 v9, 0x7fffff, v8
	v_cmp_gt_u32_e64 s[28:29], s71, v6
	v_sub_u32_e32 v8, 0x79, v6
	v_cmp_eq_u32_e32 vcc, 0, v6
	v_cndmask_b32_e64 v8, 0, v8, s[28:29]
	v_mov_b32_e32 v13, 0x78
	v_or_b32_e32 v12, 0x800000, v9
	v_cndmask_b32_e32 v15, v8, v13, vcc
	v_cndmask_b32_e32 v8, v12, v9, vcc
	v_add_u32_e32 v12, 20, v15
	v_lshlrev_b64 v[12:13], v12, -1
	v_mov_b32_e32 v9, v3
	v_add_u32_e32 v18, 19, v15
	v_bfi_b32 v12, v12, 0, v8
	v_lshlrev_b64 v[29:30], v18, 1
	v_lshrrev_b64 v[8:9], v15, v[8:9]
	v_bfi_b32 v13, v13, 0, 0
	v_cmp_eq_u64_e64 s[28:29], v[12:13], v[29:30]
	v_mov_b32_e32 v13, v9
	v_mov_b32_e32 v12, v8
	s_and_saveexec_b64 s[38:39], s[28:29]
; %bb.10292:                            ;   in Loop: Header=BB4_9658 Depth=3
	v_bfe_u32 v9, v8, 20, 1
	v_add_co_u32_e64 v9, s[28:29], v8, v9
	v_add_co_u32_e64 v12, s[28:29], -1, v9
; %bb.10293:                            ;   in Loop: Header=BB4_9658 Depth=3
	s_or_b64 exec, exec, s[38:39]
	v_add_u32_e32 v6, 0xffffff81, v6
	v_mov_b32_e32 v9, 0xffffff82
	v_cndmask_b32_e32 v6, v6, v9, vcc
	v_lshrrev_b32_e32 v9, 23, v8
	v_add3_u32 v15, v15, v6, v9
	v_add_u32_e32 v13, 6, v15
	v_and_b32_e32 v6, 0xfffff, v12
	v_add_u32_e32 v8, v6, v8
	v_mov_b32_e32 v9, v3
	v_cmp_ne_u32_e32 vcc, 0, v13
                                        ; implicit-def: $vgpr6
	s_and_saveexec_b64 s[28:29], vcc
	s_xor_b64 s[28:29], exec, s[28:29]
; %bb.10294:                            ;   in Loop: Header=BB4_9658 Depth=3
	v_cmp_lt_u64_e32 vcc, s[74:75], v[8:9]
	v_add_u32_e32 v6, 7, v15
	v_cndmask_b32_e64 v12, 0, 1, vcc
	v_lshrrev_b64 v[8:9], v12, v[8:9]
	v_cndmask_b32_e32 v6, v13, v6, vcc
; %bb.10295:                            ;   in Loop: Header=BB4_9658 Depth=3
	s_andn2_saveexec_b64 s[28:29], s[28:29]
; %bb.10296:                            ;   in Loop: Header=BB4_9658 Depth=3
	v_bfe_u32 v6, v8, 23, 1
; %bb.10297:                            ;   in Loop: Header=BB4_9658 Depth=3
	s_or_b64 exec, exec, s[28:29]
	v_lshrrev_b64 v[8:9], 20, v[8:9]
	v_cmp_gt_i32_e32 vcc, 16, v6
	v_cndmask_b32_e32 v9, 0, v9, vcc
	v_cndmask_b32_e32 v8, 7, v8, vcc
	v_cmp_eq_u32_e32 vcc, 0, v6
	v_min_i32_e32 v6, 15, v6
	v_cmp_eq_u64_e64 s[28:29], 0, v[8:9]
	v_lshlrev_b32_e32 v6, 3, v6
	v_and_b32_e32 v6, 0xf8, v6
	v_and_or_b32 v6, v8, 7, v6
	s_and_b64 s[28:29], vcc, s[28:29]
	v_cndmask_b32_e64 v6, v6, 0, s[28:29]
	v_or_b32_e32 v6, v6, v14
.LBB4_10298:                            ;   in Loop: Header=BB4_9658 Depth=3
	s_or_b64 exec, exec, s[36:37]
                                        ; implicit-def: $vgpr14
.LBB4_10299:                            ;   in Loop: Header=BB4_9658 Depth=3
	s_andn2_saveexec_b64 s[28:29], s[34:35]
; %bb.10300:                            ;   in Loop: Header=BB4_9658 Depth=3
	v_or_b32_e32 v6, 0x7e, v14
; %bb.10301:                            ;   in Loop: Header=BB4_9658 Depth=3
	s_or_b64 exec, exec, s[28:29]
                                        ; implicit-def: $vgpr8
.LBB4_10302:                            ;   in Loop: Header=BB4_9658 Depth=3
	s_andn2_saveexec_b64 s[28:29], s[30:31]
; %bb.10303:                            ;   in Loop: Header=BB4_9658 Depth=3
	v_or_b32_sdwa v6, v8, s68 dst_sel:DWORD dst_unused:UNUSED_PAD src0_sel:BYTE_3 src1_sel:DWORD
; %bb.10304:                            ;   in Loop: Header=BB4_9658 Depth=3
	s_or_b64 exec, exec, s[28:29]
	v_lshrrev_b16_e32 v8, 8, v2
	v_cmp_ne_u16_e32 vcc, 0, v8
	v_mov_b32_e32 v9, 0
	s_and_saveexec_b64 s[28:29], vcc
	s_cbranch_execz .LBB4_10310
; %bb.10305:                            ;   in Loop: Header=BB4_9658 Depth=3
	v_cmp_ne_u16_e32 vcc, s70, v8
	v_bfrev_b32_e32 v9, 1
	s_and_saveexec_b64 s[30:31], vcc
	s_cbranch_execz .LBB4_10309
; %bb.10306:                            ;   in Loop: Header=BB4_9658 Depth=3
	v_and_b32_e32 v12, 0x7f, v8
	v_cmp_ne_u32_e32 vcc, s68, v12
	v_mov_b32_e32 v9, 0x7f800001
	s_and_saveexec_b64 s[34:35], vcc
	s_cbranch_execz .LBB4_10308
; %bb.10307:                            ;   in Loop: Header=BB4_9658 Depth=3
	v_and_b32_e32 v13, 7, v8
	v_ffbh_u32_e32 v9, v13
	v_lshrrev_b32_e32 v14, 3, v12
	v_cmp_gt_u32_e32 vcc, 8, v12
	v_min_u32_e32 v12, 32, v9
	v_subrev_u32_e32 v9, 28, v12
	v_lshlrev_b64 v[8:9], v9, v[8:9]
	v_sub_u32_e32 v9, 29, v12
	v_and_b32_e32 v8, 7, v8
	v_cndmask_b32_e32 v9, v14, v9, vcc
	v_cndmask_b32_e32 v8, v13, v8, vcc
	v_lshlrev_b32_e32 v2, 16, v2
	v_lshlrev_b32_e32 v8, 20, v8
	v_and_b32_e32 v2, 0x80000000, v2
	v_lshl_add_u32 v9, v9, 23, v5
	v_or3_b32 v9, v2, v9, v8
.LBB4_10308:                            ;   in Loop: Header=BB4_9658 Depth=3
	s_or_b64 exec, exec, s[34:35]
.LBB4_10309:                            ;   in Loop: Header=BB4_9658 Depth=3
	s_or_b64 exec, exec, s[30:31]
.LBB4_10310:                            ;   in Loop: Header=BB4_9658 Depth=3
	s_or_b64 exec, exec, s[28:29]
	v_mul_f32_e32 v8, v7, v9
	v_and_b32_e32 v2, 0x7f800000, v8
	v_cmp_ne_u64_e32 vcc, s[62:63], v[2:3]
                                        ; implicit-def: $vgpr2
                                        ; kill: killed $vgpr2
	s_and_saveexec_b64 s[28:29], vcc
	s_xor_b64 s[30:31], exec, s[28:29]
	s_cbranch_execz .LBB4_10324
; %bb.10311:                            ;   in Loop: Header=BB4_9658 Depth=3
	v_and_b32_e32 v2, 0x7fffffff, v8
	v_cmp_gt_u64_e32 vcc, s[72:73], v[2:3]
	v_and_b32_sdwa v14, v8, s70 dst_sel:DWORD dst_unused:UNUSED_PAD src0_sel:BYTE_3 src1_sel:DWORD
                                        ; implicit-def: $vgpr2
                                        ; kill: killed $vgpr2
	s_and_saveexec_b64 s[28:29], vcc
	s_xor_b64 s[34:35], exec, s[28:29]
	s_cbranch_execz .LBB4_10321
; %bb.10312:                            ;   in Loop: Header=BB4_9658 Depth=3
	v_mov_b32_e32 v2, 0
	v_cmp_ne_u32_e32 vcc, 0, v8
	buffer_store_dword v2, off, s[0:3], s33 offset:148 ; 4-byte Folded Spill
	s_and_saveexec_b64 s[36:37], vcc
	s_cbranch_execz .LBB4_10320
; %bb.10313:                            ;   in Loop: Header=BB4_9658 Depth=3
	v_bfe_u32 v15, v8, 23, 8
	v_and_b32_e32 v2, 0x7fffff, v8
	v_cmp_gt_u32_e64 s[28:29], s71, v15
	v_sub_u32_e32 v8, 0x79, v15
	v_cmp_eq_u32_e32 vcc, 0, v15
	v_cndmask_b32_e64 v8, 0, v8, s[28:29]
	v_mov_b32_e32 v12, 0x78
	v_cndmask_b32_e32 v18, v8, v12, vcc
	v_or_b32_e32 v9, 0x800000, v2
	v_add_u32_e32 v8, 20, v18
	v_cndmask_b32_e32 v2, v9, v2, vcc
	v_lshlrev_b64 v[8:9], v8, -1
	v_add_u32_e32 v12, 19, v18
	v_lshlrev_b64 v[12:13], v12, 1
	v_bfi_b32 v9, v9, 0, 0
	v_bfi_b32 v8, v8, 0, v2
	v_cmp_eq_u64_e64 s[28:29], v[8:9], v[12:13]
	v_lshrrev_b64 v[8:9], v18, v[2:3]
	v_mov_b32_e32 v13, v9
	v_mov_b32_e32 v12, v8
	s_and_saveexec_b64 s[38:39], s[28:29]
; %bb.10314:                            ;   in Loop: Header=BB4_9658 Depth=3
	v_bfe_u32 v2, v8, 20, 1
	v_add_co_u32_e64 v2, s[28:29], v8, v2
	v_add_co_u32_e64 v12, s[28:29], -1, v2
; %bb.10315:                            ;   in Loop: Header=BB4_9658 Depth=3
	s_or_b64 exec, exec, s[38:39]
	v_add_u32_e32 v2, 0xffffff81, v15
	v_mov_b32_e32 v9, 0xffffff82
	v_cndmask_b32_e32 v2, v2, v9, vcc
	v_lshrrev_b32_e32 v9, 23, v8
	v_add3_u32 v15, v18, v2, v9
	v_add_u32_e32 v13, 6, v15
	v_and_b32_e32 v2, 0xfffff, v12
	v_add_u32_e32 v2, v2, v8
	v_cmp_ne_u32_e32 vcc, 0, v13
                                        ; implicit-def: $vgpr8_vgpr9
                                        ; implicit-def: $vgpr12
	s_and_saveexec_b64 s[28:29], vcc
	s_xor_b64 s[28:29], exec, s[28:29]
; %bb.10316:                            ;   in Loop: Header=BB4_9658 Depth=3
	v_cmp_lt_u64_e32 vcc, s[74:75], v[2:3]
	v_add_u32_e32 v8, 7, v15
	v_cndmask_b32_e32 v12, v13, v8, vcc
	v_cndmask_b32_e64 v8, 0, 1, vcc
	v_lshrrev_b64 v[8:9], v8, v[2:3]
; %bb.10317:                            ;   in Loop: Header=BB4_9658 Depth=3
	s_andn2_saveexec_b64 s[28:29], s[28:29]
; %bb.10318:                            ;   in Loop: Header=BB4_9658 Depth=3
	v_mov_b32_e32 v9, v3
	v_bfe_u32 v12, v2, 23, 1
	v_mov_b32_e32 v8, v2
; %bb.10319:                            ;   in Loop: Header=BB4_9658 Depth=3
	s_or_b64 exec, exec, s[28:29]
	v_lshrrev_b64 v[8:9], 20, v[8:9]
	v_cmp_gt_i32_e32 vcc, 16, v12
	v_cndmask_b32_e32 v9, 0, v9, vcc
	v_cndmask_b32_e32 v8, 7, v8, vcc
	v_min_i32_e32 v2, 15, v12
	v_cmp_eq_u64_e64 s[28:29], 0, v[8:9]
	v_lshlrev_b32_e32 v2, 3, v2
	v_cmp_eq_u32_e32 vcc, 0, v12
	v_and_b32_e32 v2, 0xf8, v2
	v_and_or_b32 v2, v8, 7, v2
	s_and_b64 s[28:29], vcc, s[28:29]
	v_cndmask_b32_e64 v2, v2, 0, s[28:29]
	v_or_b32_e32 v2, v2, v14
	buffer_store_dword v2, off, s[0:3], s33 offset:148 ; 4-byte Folded Spill
.LBB4_10320:                            ;   in Loop: Header=BB4_9658 Depth=3
	s_or_b64 exec, exec, s[36:37]
                                        ; implicit-def: $vgpr14
.LBB4_10321:                            ;   in Loop: Header=BB4_9658 Depth=3
	s_andn2_saveexec_b64 s[28:29], s[34:35]
	s_cbranch_execz .LBB4_10323
; %bb.10322:                            ;   in Loop: Header=BB4_9658 Depth=3
	v_or_b32_e32 v2, 0x7e, v14
	buffer_store_dword v2, off, s[0:3], s33 offset:148 ; 4-byte Folded Spill
.LBB4_10323:                            ;   in Loop: Header=BB4_9658 Depth=3
	s_or_b64 exec, exec, s[28:29]
                                        ; implicit-def: $vgpr8
.LBB4_10324:                            ;   in Loop: Header=BB4_9658 Depth=3
	s_andn2_saveexec_b64 s[28:29], s[30:31]
	s_cbranch_execz .LBB4_10326
; %bb.10325:                            ;   in Loop: Header=BB4_9658 Depth=3
	v_or_b32_sdwa v2, v8, s68 dst_sel:DWORD dst_unused:UNUSED_PAD src0_sel:BYTE_3 src1_sel:DWORD
	buffer_store_dword v2, off, s[0:3], s33 offset:148 ; 4-byte Folded Spill
.LBB4_10326:                            ;   in Loop: Header=BB4_9658 Depth=3
	s_or_b64 exec, exec, s[28:29]
	v_lshrrev_b32_e32 v2, 16, v11
	v_cmp_ne_u16_sdwa vcc, v2, v3 src0_sel:BYTE_0 src1_sel:DWORD
	v_mov_b32_e32 v8, 0
	s_and_saveexec_b64 s[28:29], vcc
	s_cbranch_execz .LBB4_10332
; %bb.10327:                            ;   in Loop: Header=BB4_9658 Depth=3
	v_cmp_ne_u16_sdwa vcc, v2, s70 src0_sel:BYTE_0 src1_sel:DWORD
	v_bfrev_b32_e32 v8, 1
	s_and_saveexec_b64 s[30:31], vcc
	s_cbranch_execz .LBB4_10331
; %bb.10328:                            ;   in Loop: Header=BB4_9658 Depth=3
	v_bfe_u32 v9, v11, 16, 7
	v_cmp_ne_u32_e32 vcc, s68, v9
	v_mov_b32_e32 v8, 0x7f800001
	s_and_saveexec_b64 s[34:35], vcc
	s_cbranch_execz .LBB4_10330
; %bb.10329:                            ;   in Loop: Header=BB4_9658 Depth=3
	v_and_b32_e32 v12, 7, v2
	v_ffbh_u32_e32 v8, v12
	v_min_u32_e32 v14, 32, v8
	v_subrev_u32_e32 v8, 28, v14
	v_lshrrev_b32_e32 v13, 3, v9
	v_cmp_gt_u32_e32 vcc, 8, v9
	v_lshlrev_b64 v[8:9], v8, v[2:3]
	v_sub_u32_e32 v9, 29, v14
	v_and_b32_e32 v8, 7, v8
	v_cndmask_b32_e32 v9, v13, v9, vcc
	v_cndmask_b32_e32 v8, v12, v8, vcc
	v_lshlrev_b32_e32 v2, 24, v2
	v_lshlrev_b32_e32 v8, 20, v8
	v_and_b32_e32 v2, 0x80000000, v2
	v_lshl_add_u32 v9, v9, 23, v5
	v_or3_b32 v8, v2, v9, v8
.LBB4_10330:                            ;   in Loop: Header=BB4_9658 Depth=3
	s_or_b64 exec, exec, s[34:35]
.LBB4_10331:                            ;   in Loop: Header=BB4_9658 Depth=3
	s_or_b64 exec, exec, s[30:31]
.LBB4_10332:                            ;   in Loop: Header=BB4_9658 Depth=3
	s_or_b64 exec, exec, s[28:29]
	v_mul_f32_e32 v8, v7, v8
	v_and_b32_e32 v2, 0x7f800000, v8
	v_cmp_ne_u64_e32 vcc, s[62:63], v[2:3]
                                        ; implicit-def: $vgpr18
	s_and_saveexec_b64 s[28:29], vcc
	s_xor_b64 s[30:31], exec, s[28:29]
	s_cbranch_execz .LBB4_10346
; %bb.10333:                            ;   in Loop: Header=BB4_9658 Depth=3
	v_and_b32_e32 v2, 0x7fffffff, v8
	v_cmp_gt_u64_e32 vcc, s[72:73], v[2:3]
	v_and_b32_sdwa v14, v8, s70 dst_sel:DWORD dst_unused:UNUSED_PAD src0_sel:BYTE_3 src1_sel:DWORD
                                        ; implicit-def: $vgpr18
	s_and_saveexec_b64 s[28:29], vcc
	s_xor_b64 s[34:35], exec, s[28:29]
	s_cbranch_execz .LBB4_10343
; %bb.10334:                            ;   in Loop: Header=BB4_9658 Depth=3
	v_mov_b32_e32 v18, 0
	v_cmp_ne_u32_e32 vcc, 0, v8
	s_and_saveexec_b64 s[36:37], vcc
	s_cbranch_execz .LBB4_10342
; %bb.10335:                            ;   in Loop: Header=BB4_9658 Depth=3
	v_bfe_u32 v15, v8, 23, 8
	v_and_b32_e32 v2, 0x7fffff, v8
	v_cmp_gt_u32_e64 s[28:29], s71, v15
	v_sub_u32_e32 v8, 0x79, v15
	v_cmp_eq_u32_e32 vcc, 0, v15
	v_cndmask_b32_e64 v8, 0, v8, s[28:29]
	v_mov_b32_e32 v12, 0x78
	v_cndmask_b32_e32 v24, v8, v12, vcc
	v_or_b32_e32 v9, 0x800000, v2
	v_add_u32_e32 v8, 20, v24
	v_cndmask_b32_e32 v2, v9, v2, vcc
	v_lshlrev_b64 v[8:9], v8, -1
	v_add_u32_e32 v12, 19, v24
	v_lshlrev_b64 v[12:13], v12, 1
	v_bfi_b32 v9, v9, 0, 0
	v_bfi_b32 v8, v8, 0, v2
	v_cmp_eq_u64_e64 s[28:29], v[8:9], v[12:13]
	v_lshrrev_b64 v[8:9], v24, v[2:3]
	v_mov_b32_e32 v13, v9
	v_mov_b32_e32 v12, v8
	s_and_saveexec_b64 s[38:39], s[28:29]
; %bb.10336:                            ;   in Loop: Header=BB4_9658 Depth=3
	v_bfe_u32 v2, v8, 20, 1
	v_add_co_u32_e64 v2, s[28:29], v8, v2
	v_add_co_u32_e64 v12, s[28:29], -1, v2
; %bb.10337:                            ;   in Loop: Header=BB4_9658 Depth=3
	s_or_b64 exec, exec, s[38:39]
	v_add_u32_e32 v2, 0xffffff81, v15
	v_mov_b32_e32 v9, 0xffffff82
	v_cndmask_b32_e32 v2, v2, v9, vcc
	v_lshrrev_b32_e32 v9, 23, v8
	v_add3_u32 v15, v24, v2, v9
	v_add_u32_e32 v13, 6, v15
	v_and_b32_e32 v2, 0xfffff, v12
	v_add_u32_e32 v2, v2, v8
	v_cmp_ne_u32_e32 vcc, 0, v13
                                        ; implicit-def: $vgpr8_vgpr9
                                        ; implicit-def: $vgpr12
	s_and_saveexec_b64 s[28:29], vcc
	s_xor_b64 s[28:29], exec, s[28:29]
; %bb.10338:                            ;   in Loop: Header=BB4_9658 Depth=3
	v_cmp_lt_u64_e32 vcc, s[74:75], v[2:3]
	v_add_u32_e32 v8, 7, v15
	v_cndmask_b32_e32 v12, v13, v8, vcc
	v_cndmask_b32_e64 v8, 0, 1, vcc
	v_lshrrev_b64 v[8:9], v8, v[2:3]
; %bb.10339:                            ;   in Loop: Header=BB4_9658 Depth=3
	s_andn2_saveexec_b64 s[28:29], s[28:29]
; %bb.10340:                            ;   in Loop: Header=BB4_9658 Depth=3
	v_mov_b32_e32 v9, v3
	v_bfe_u32 v12, v2, 23, 1
	v_mov_b32_e32 v8, v2
; %bb.10341:                            ;   in Loop: Header=BB4_9658 Depth=3
	s_or_b64 exec, exec, s[28:29]
	v_lshrrev_b64 v[8:9], 20, v[8:9]
	v_cmp_gt_i32_e32 vcc, 16, v12
	v_cndmask_b32_e32 v9, 0, v9, vcc
	v_cndmask_b32_e32 v8, 7, v8, vcc
	v_min_i32_e32 v2, 15, v12
	v_cmp_eq_u64_e64 s[28:29], 0, v[8:9]
	v_lshlrev_b32_e32 v2, 3, v2
	v_cmp_eq_u32_e32 vcc, 0, v12
	v_and_b32_e32 v2, 0xf8, v2
	v_and_or_b32 v2, v8, 7, v2
	s_and_b64 s[28:29], vcc, s[28:29]
	v_cndmask_b32_e64 v2, v2, 0, s[28:29]
	v_or_b32_e32 v18, v2, v14
.LBB4_10342:                            ;   in Loop: Header=BB4_9658 Depth=3
	s_or_b64 exec, exec, s[36:37]
                                        ; implicit-def: $vgpr14
.LBB4_10343:                            ;   in Loop: Header=BB4_9658 Depth=3
	s_andn2_saveexec_b64 s[28:29], s[34:35]
; %bb.10344:                            ;   in Loop: Header=BB4_9658 Depth=3
	v_or_b32_e32 v18, 0x7e, v14
; %bb.10345:                            ;   in Loop: Header=BB4_9658 Depth=3
	s_or_b64 exec, exec, s[28:29]
                                        ; implicit-def: $vgpr8
.LBB4_10346:                            ;   in Loop: Header=BB4_9658 Depth=3
	s_andn2_saveexec_b64 s[28:29], s[30:31]
; %bb.10347:                            ;   in Loop: Header=BB4_9658 Depth=3
	v_or_b32_sdwa v18, v8, s68 dst_sel:DWORD dst_unused:UNUSED_PAD src0_sel:BYTE_3 src1_sel:DWORD
; %bb.10348:                            ;   in Loop: Header=BB4_9658 Depth=3
	s_or_b64 exec, exec, s[28:29]
	v_cmp_lt_u64_e32 vcc, s[56:57], v[10:11]
	v_mov_b32_e32 v8, 0
	s_and_saveexec_b64 s[28:29], vcc
	s_cbranch_execz .LBB4_10354
; %bb.10349:                            ;   in Loop: Header=BB4_9658 Depth=3
	v_lshrrev_b32_e32 v2, 24, v11
	v_cmp_ne_u32_e32 vcc, s70, v2
	v_bfrev_b32_e32 v8, 1
	s_and_saveexec_b64 s[30:31], vcc
	s_cbranch_execz .LBB4_10353
; %bb.10350:                            ;   in Loop: Header=BB4_9658 Depth=3
	v_bfe_u32 v9, v11, 24, 7
	v_cmp_ne_u32_e32 vcc, s68, v9
	v_mov_b32_e32 v8, 0x7f800001
	s_and_saveexec_b64 s[34:35], vcc
	s_cbranch_execz .LBB4_10352
; %bb.10351:                            ;   in Loop: Header=BB4_9658 Depth=3
	v_and_b32_e32 v10, 7, v2
	v_ffbh_u32_e32 v8, v10
	v_min_u32_e32 v12, 32, v8
	v_subrev_u32_e32 v8, 28, v12
	v_lshrrev_b32_e32 v11, 3, v9
	v_cmp_gt_u32_e32 vcc, 8, v9
	v_lshlrev_b64 v[8:9], v8, v[2:3]
	v_sub_u32_e32 v9, 29, v12
	v_and_b32_e32 v8, 7, v8
	v_cndmask_b32_e32 v9, v11, v9, vcc
	v_cndmask_b32_e32 v8, v10, v8, vcc
	v_lshlrev_b32_e32 v2, 24, v2
	v_lshlrev_b32_e32 v8, 20, v8
	v_and_b32_e32 v2, 0x80000000, v2
	v_lshl_add_u32 v9, v9, 23, v5
	v_or3_b32 v8, v2, v9, v8
.LBB4_10352:                            ;   in Loop: Header=BB4_9658 Depth=3
	s_or_b64 exec, exec, s[34:35]
.LBB4_10353:                            ;   in Loop: Header=BB4_9658 Depth=3
	s_or_b64 exec, exec, s[30:31]
.LBB4_10354:                            ;   in Loop: Header=BB4_9658 Depth=3
	s_or_b64 exec, exec, s[28:29]
	v_mul_f32_e32 v8, v7, v8
	v_and_b32_e32 v2, 0x7f800000, v8
	v_cmp_ne_u64_e32 vcc, s[62:63], v[2:3]
                                        ; implicit-def: $vgpr24
	s_and_saveexec_b64 s[28:29], vcc
	s_xor_b64 s[30:31], exec, s[28:29]
	s_cbranch_execz .LBB4_10368
; %bb.10355:                            ;   in Loop: Header=BB4_9658 Depth=3
	v_and_b32_e32 v2, 0x7fffffff, v8
	v_cmp_gt_u64_e32 vcc, s[72:73], v[2:3]
	v_and_b32_sdwa v7, v8, s70 dst_sel:DWORD dst_unused:UNUSED_PAD src0_sel:BYTE_3 src1_sel:DWORD
                                        ; implicit-def: $vgpr24
	s_and_saveexec_b64 s[28:29], vcc
	s_xor_b64 s[34:35], exec, s[28:29]
	s_cbranch_execz .LBB4_10365
; %bb.10356:                            ;   in Loop: Header=BB4_9658 Depth=3
	v_mov_b32_e32 v24, 0
	v_cmp_ne_u32_e32 vcc, 0, v8
	s_and_saveexec_b64 s[36:37], vcc
	s_cbranch_execz .LBB4_10364
; %bb.10357:                            ;   in Loop: Header=BB4_9658 Depth=3
	v_bfe_u32 v11, v8, 23, 8
	v_and_b32_e32 v2, 0x7fffff, v8
	v_cmp_gt_u32_e64 s[28:29], s71, v11
	v_sub_u32_e32 v8, 0x79, v11
	v_cmp_eq_u32_e32 vcc, 0, v11
	v_cndmask_b32_e64 v8, 0, v8, s[28:29]
	v_mov_b32_e32 v10, 0x78
	v_cndmask_b32_e32 v12, v8, v10, vcc
	v_or_b32_e32 v9, 0x800000, v2
	v_add_u32_e32 v8, 20, v12
	v_cndmask_b32_e32 v2, v9, v2, vcc
	v_lshlrev_b64 v[8:9], v8, -1
	v_add_u32_e32 v10, 19, v12
	v_lshlrev_b64 v[13:14], v10, 1
	v_bfi_b32 v9, v9, 0, 0
	v_bfi_b32 v8, v8, 0, v2
	v_cmp_eq_u64_e64 s[28:29], v[8:9], v[13:14]
	v_lshrrev_b64 v[8:9], v12, v[2:3]
	v_mov_b32_e32 v10, v9
	v_mov_b32_e32 v9, v8
	s_and_saveexec_b64 s[38:39], s[28:29]
; %bb.10358:                            ;   in Loop: Header=BB4_9658 Depth=3
	v_bfe_u32 v2, v8, 20, 1
	v_add_co_u32_e64 v2, s[28:29], v8, v2
	v_add_co_u32_e64 v9, s[28:29], -1, v2
; %bb.10359:                            ;   in Loop: Header=BB4_9658 Depth=3
	s_or_b64 exec, exec, s[38:39]
	v_add_u32_e32 v2, 0xffffff81, v11
	v_mov_b32_e32 v10, 0xffffff82
	v_cndmask_b32_e32 v2, v2, v10, vcc
	v_lshrrev_b32_e32 v10, 23, v8
	v_add3_u32 v12, v12, v2, v10
	v_add_u32_e32 v11, 6, v12
	v_and_b32_e32 v2, 0xfffff, v9
	v_add_u32_e32 v2, v2, v8
	v_cmp_ne_u32_e32 vcc, 0, v11
                                        ; implicit-def: $vgpr8_vgpr9
                                        ; implicit-def: $vgpr10
	s_and_saveexec_b64 s[28:29], vcc
	s_xor_b64 s[28:29], exec, s[28:29]
; %bb.10360:                            ;   in Loop: Header=BB4_9658 Depth=3
	v_cmp_lt_u64_e32 vcc, s[74:75], v[2:3]
	v_add_u32_e32 v8, 7, v12
	v_cndmask_b32_e32 v10, v11, v8, vcc
	v_cndmask_b32_e64 v8, 0, 1, vcc
	v_lshrrev_b64 v[8:9], v8, v[2:3]
; %bb.10361:                            ;   in Loop: Header=BB4_9658 Depth=3
	s_andn2_saveexec_b64 s[28:29], s[28:29]
; %bb.10362:                            ;   in Loop: Header=BB4_9658 Depth=3
	v_mov_b32_e32 v9, v3
	v_bfe_u32 v10, v2, 23, 1
	v_mov_b32_e32 v8, v2
; %bb.10363:                            ;   in Loop: Header=BB4_9658 Depth=3
	s_or_b64 exec, exec, s[28:29]
	v_lshrrev_b64 v[8:9], 20, v[8:9]
	v_cmp_gt_i32_e32 vcc, 16, v10
	v_cndmask_b32_e32 v9, 0, v9, vcc
	v_cndmask_b32_e32 v8, 7, v8, vcc
	v_min_i32_e32 v2, 15, v10
	v_cmp_eq_u64_e64 s[28:29], 0, v[8:9]
	v_lshlrev_b32_e32 v2, 3, v2
	v_cmp_eq_u32_e32 vcc, 0, v10
	v_and_b32_e32 v2, 0xf8, v2
	v_and_or_b32 v2, v8, 7, v2
	s_and_b64 s[28:29], vcc, s[28:29]
	v_cndmask_b32_e64 v2, v2, 0, s[28:29]
	v_or_b32_e32 v24, v2, v7
.LBB4_10364:                            ;   in Loop: Header=BB4_9658 Depth=3
	s_or_b64 exec, exec, s[36:37]
                                        ; implicit-def: $vgpr7
.LBB4_10365:                            ;   in Loop: Header=BB4_9658 Depth=3
	s_andn2_saveexec_b64 s[28:29], s[34:35]
; %bb.10366:                            ;   in Loop: Header=BB4_9658 Depth=3
	v_or_b32_e32 v24, 0x7e, v7
; %bb.10367:                            ;   in Loop: Header=BB4_9658 Depth=3
	s_or_b64 exec, exec, s[28:29]
                                        ; implicit-def: $vgpr8
.LBB4_10368:                            ;   in Loop: Header=BB4_9658 Depth=3
	s_andn2_saveexec_b64 s[28:29], s[30:31]
; %bb.10369:                            ;   in Loop: Header=BB4_9658 Depth=3
	v_or_b32_sdwa v24, v8, s68 dst_sel:DWORD dst_unused:UNUSED_PAD src0_sel:BYTE_3 src1_sel:DWORD
; %bb.10370:                            ;   in Loop: Header=BB4_9658 Depth=3
	s_or_b64 exec, exec, s[28:29]
	global_load_dwordx4 v[12:15], v[44:45], off glc slc
	global_load_dwordx4 v[8:11], v[44:45], off offset:1024 glc slc
	v_lshl_or_b32 v7, v25, 8, v1
	v_lshlrev_b32_e32 v2, 16, v26
	v_lshlrev_b32_e32 v22, 24, v28
	v_or3_b32 v2, v2, v22, v7
	v_cmp_ne_u32_e32 vcc, 0, v1
	v_mov_b32_e32 v25, 0
	v_mov_b32_e32 v26, 0
	s_and_saveexec_b64 s[28:29], vcc
	s_cbranch_execz .LBB4_10376
; %bb.10371:                            ;   in Loop: Header=BB4_9658 Depth=3
	v_cmp_ne_u32_e32 vcc, s70, v1
	v_bfrev_b32_e32 v26, 1
	s_and_saveexec_b64 s[30:31], vcc
	s_cbranch_execz .LBB4_10375
; %bb.10372:                            ;   in Loop: Header=BB4_9658 Depth=3
	v_and_b32_e32 v28, 0x7f, v1
	v_cmp_ne_u32_e32 vcc, s68, v28
	v_mov_b32_e32 v26, 0x7f800001
	s_and_saveexec_b64 s[34:35], vcc
	s_cbranch_execz .LBB4_10374
; %bb.10373:                            ;   in Loop: Header=BB4_9658 Depth=3
	v_and_b32_e32 v1, 7, v1
	v_ffbh_u32_e32 v1, v1
	v_min_u32_e32 v1, 32, v1
	v_lshrrev_b32_e32 v22, 3, v28
	v_cmp_gt_u32_e32 vcc, 8, v28
	v_subrev_u32_e32 v23, 28, v1
	v_sub_u32_e32 v1, 29, v1
	v_cndmask_b32_e32 v1, v22, v1, vcc
	v_cndmask_b32_e32 v22, 0, v23, vcc
	v_lshlrev_b64 v[28:29], v22, v[2:3]
	v_lshlrev_b32_e32 v23, 24, v2
	v_lshlrev_b32_e32 v22, 20, v28
	v_and_b32_e32 v22, 0x700000, v22
	v_and_b32_e32 v23, 0x80000000, v23
	v_lshl_add_u32 v1, v1, 23, v5
	v_or3_b32 v26, v23, v1, v22
.LBB4_10374:                            ;   in Loop: Header=BB4_9658 Depth=3
	s_or_b64 exec, exec, s[34:35]
.LBB4_10375:                            ;   in Loop: Header=BB4_9658 Depth=3
	s_or_b64 exec, exec, s[30:31]
.LBB4_10376:                            ;   in Loop: Header=BB4_9658 Depth=3
	s_or_b64 exec, exec, s[28:29]
	s_waitcnt vmcnt(1)
	v_cmp_ne_u16_sdwa vcc, v12, v3 src0_sel:BYTE_0 src1_sel:DWORD
	s_and_saveexec_b64 s[28:29], vcc
	s_cbranch_execz .LBB4_10382
; %bb.10377:                            ;   in Loop: Header=BB4_9658 Depth=3
	v_cmp_ne_u16_sdwa vcc, v12, s70 src0_sel:BYTE_0 src1_sel:DWORD
	v_bfrev_b32_e32 v25, 1
	s_and_saveexec_b64 s[30:31], vcc
	s_cbranch_execz .LBB4_10381
; %bb.10378:                            ;   in Loop: Header=BB4_9658 Depth=3
	v_and_b32_e32 v1, 0x7f, v12
	v_cmp_ne_u32_e32 vcc, s68, v1
	v_mov_b32_e32 v25, 0x7f800001
	s_and_saveexec_b64 s[34:35], vcc
	s_cbranch_execz .LBB4_10380
; %bb.10379:                            ;   in Loop: Header=BB4_9658 Depth=3
	v_and_b32_e32 v22, 7, v12
	v_lshrrev_b32_e32 v23, 3, v1
	v_cmp_gt_u32_e32 vcc, 8, v1
	v_ffbh_u32_e32 v1, v22
	v_min_u32_e32 v1, 32, v1
	v_subrev_u32_e32 v22, 28, v1
	v_cndmask_b32_e32 v22, 0, v22, vcc
	v_lshlrev_b64 v[28:29], v22, v[12:13]
	v_sub_u32_e32 v1, 29, v1
	v_cndmask_b32_e32 v1, v23, v1, vcc
	v_lshlrev_b32_e32 v22, 20, v28
	v_lshlrev_b32_e32 v23, 24, v12
	v_and_b32_e32 v22, 0x700000, v22
	v_and_b32_e32 v23, 0x80000000, v23
	v_lshl_add_u32 v1, v1, 23, v5
	v_or3_b32 v25, v23, v1, v22
.LBB4_10380:                            ;   in Loop: Header=BB4_9658 Depth=3
	s_or_b64 exec, exec, s[34:35]
.LBB4_10381:                            ;   in Loop: Header=BB4_9658 Depth=3
	s_or_b64 exec, exec, s[30:31]
.LBB4_10382:                            ;   in Loop: Header=BB4_9658 Depth=3
	s_or_b64 exec, exec, s[28:29]
	v_add_f32_e32 v26, v26, v25
	v_and_b32_e32 v28, 0x7f800000, v26
	v_mov_b32_e32 v29, v3
	v_cmp_ne_u64_e32 vcc, s[62:63], v[28:29]
                                        ; implicit-def: $vgpr57
	s_and_saveexec_b64 s[28:29], vcc
	s_xor_b64 s[30:31], exec, s[28:29]
	s_cbranch_execz .LBB4_10396
; %bb.10383:                            ;   in Loop: Header=BB4_9658 Depth=3
	v_and_b32_e32 v28, 0x7fffffff, v26
	v_mov_b32_e32 v29, v3
	v_cmp_gt_u64_e32 vcc, s[72:73], v[28:29]
	v_and_b32_sdwa v25, v26, s70 dst_sel:DWORD dst_unused:UNUSED_PAD src0_sel:BYTE_3 src1_sel:DWORD
                                        ; implicit-def: $vgpr57
	s_and_saveexec_b64 s[28:29], vcc
	s_xor_b64 s[34:35], exec, s[28:29]
	s_cbranch_execz .LBB4_10393
; %bb.10384:                            ;   in Loop: Header=BB4_9658 Depth=3
	v_mov_b32_e32 v57, 0
	v_cmp_ne_u32_e32 vcc, 0, v26
	s_and_saveexec_b64 s[36:37], vcc
	s_cbranch_execz .LBB4_10392
; %bb.10385:                            ;   in Loop: Header=BB4_9658 Depth=3
	v_bfe_u32 v1, v26, 23, 8
	v_cmp_gt_u32_e64 s[28:29], s71, v1
	v_sub_u32_e32 v23, 0x79, v1
	v_and_b32_e32 v22, 0x7fffff, v26
	v_cmp_eq_u32_e32 vcc, 0, v1
	v_cndmask_b32_e64 v23, 0, v23, s[28:29]
	v_mov_b32_e32 v26, 0x78
	v_or_b32_e32 v27, 0x800000, v22
	v_cndmask_b32_e32 v26, v23, v26, vcc
	v_cndmask_b32_e32 v28, v27, v22, vcc
	v_add_u32_e32 v22, 20, v26
	v_lshlrev_b64 v[55:56], v22, -1
	v_add_u32_e32 v22, 19, v26
	v_lshlrev_b64 v[30:31], v22, 1
	v_mov_b32_e32 v29, v3
	v_bfi_b32 v56, v56, 0, 0
	v_bfi_b32 v55, v55, 0, v28
	v_cmp_eq_u64_e64 s[28:29], v[55:56], v[30:31]
	v_lshrrev_b64 v[55:56], v26, v[28:29]
	v_mov_b32_e32 v57, v56
	v_mov_b32_e32 v56, v55
	s_and_saveexec_b64 s[38:39], s[28:29]
; %bb.10386:                            ;   in Loop: Header=BB4_9658 Depth=3
	v_bfe_u32 v22, v55, 20, 1
	v_add_co_u32_e64 v22, s[28:29], v55, v22
	v_add_co_u32_e64 v56, s[28:29], -1, v22
; %bb.10387:                            ;   in Loop: Header=BB4_9658 Depth=3
	s_or_b64 exec, exec, s[38:39]
	v_add_u32_e32 v1, 0xffffff81, v1
	v_mov_b32_e32 v22, 0xffffff82
	v_cndmask_b32_e32 v1, v1, v22, vcc
	v_lshrrev_b32_e32 v22, 23, v55
	v_add3_u32 v28, v26, v1, v22
	v_add_u32_e32 v26, 6, v28
	v_and_b32_e32 v1, 0xfffff, v56
	v_add_u32_e32 v55, v1, v55
	v_mov_b32_e32 v56, v3
	v_cmp_ne_u32_e32 vcc, 0, v26
                                        ; implicit-def: $vgpr1
	s_and_saveexec_b64 s[28:29], vcc
	s_xor_b64 s[28:29], exec, s[28:29]
; %bb.10388:                            ;   in Loop: Header=BB4_9658 Depth=3
	v_cmp_lt_u64_e32 vcc, s[74:75], v[55:56]
	v_add_u32_e32 v1, 7, v28
	v_cndmask_b32_e64 v22, 0, 1, vcc
	v_cndmask_b32_e32 v1, v26, v1, vcc
	v_lshrrev_b64 v[55:56], v22, v[55:56]
; %bb.10389:                            ;   in Loop: Header=BB4_9658 Depth=3
	s_andn2_saveexec_b64 s[28:29], s[28:29]
; %bb.10390:                            ;   in Loop: Header=BB4_9658 Depth=3
	v_bfe_u32 v1, v55, 23, 1
; %bb.10391:                            ;   in Loop: Header=BB4_9658 Depth=3
	s_or_b64 exec, exec, s[28:29]
	v_lshrrev_b64 v[28:29], 20, v[55:56]
	v_cmp_gt_i32_e32 vcc, 16, v1
	v_cndmask_b32_e32 v29, 0, v29, vcc
	v_cndmask_b32_e32 v28, 7, v28, vcc
	v_cmp_eq_u32_e32 vcc, 0, v1
	v_min_i32_e32 v1, 15, v1
	v_cmp_eq_u64_e64 s[28:29], 0, v[28:29]
	v_lshlrev_b32_e32 v1, 3, v1
	v_and_b32_e32 v1, 0xf8, v1
	v_and_or_b32 v1, v28, 7, v1
	s_and_b64 s[28:29], vcc, s[28:29]
	v_cndmask_b32_e64 v1, v1, 0, s[28:29]
	v_or_b32_e32 v57, v1, v25
.LBB4_10392:                            ;   in Loop: Header=BB4_9658 Depth=3
	s_or_b64 exec, exec, s[36:37]
                                        ; implicit-def: $vgpr25
.LBB4_10393:                            ;   in Loop: Header=BB4_9658 Depth=3
	s_andn2_saveexec_b64 s[28:29], s[34:35]
; %bb.10394:                            ;   in Loop: Header=BB4_9658 Depth=3
	v_or_b32_e32 v57, 0x7e, v25
; %bb.10395:                            ;   in Loop: Header=BB4_9658 Depth=3
	s_or_b64 exec, exec, s[28:29]
                                        ; implicit-def: $vgpr26
.LBB4_10396:                            ;   in Loop: Header=BB4_9658 Depth=3
	s_andn2_saveexec_b64 s[28:29], s[30:31]
; %bb.10397:                            ;   in Loop: Header=BB4_9658 Depth=3
	v_or_b32_sdwa v57, v26, s68 dst_sel:DWORD dst_unused:UNUSED_PAD src0_sel:BYTE_3 src1_sel:DWORD
; %bb.10398:                            ;   in Loop: Header=BB4_9658 Depth=3
	s_or_b64 exec, exec, s[28:29]
	v_lshrrev_b16_e32 v30, 8, v7
	v_cmp_ne_u16_e32 vcc, 0, v30
	v_mov_b32_e32 v25, 0
	v_mov_b32_e32 v26, 0
	s_and_saveexec_b64 s[28:29], vcc
	s_cbranch_execz .LBB4_10404
; %bb.10399:                            ;   in Loop: Header=BB4_9658 Depth=3
	v_cmp_ne_u16_e32 vcc, s70, v30
	v_bfrev_b32_e32 v26, 1
	s_and_saveexec_b64 s[30:31], vcc
	s_cbranch_execz .LBB4_10403
; %bb.10400:                            ;   in Loop: Header=BB4_9658 Depth=3
	v_and_b32_e32 v28, 0x7f, v30
	v_cmp_ne_u32_e32 vcc, s68, v28
	v_mov_b32_e32 v26, 0x7f800001
	s_and_saveexec_b64 s[34:35], vcc
	s_cbranch_execz .LBB4_10402
; %bb.10401:                            ;   in Loop: Header=BB4_9658 Depth=3
	v_and_b32_e32 v1, 7, v30
	v_ffbh_u32_e32 v23, v1
	v_min_u32_e32 v23, 32, v23
	v_subrev_u32_e32 v26, 28, v23
	v_lshrrev_b32_e32 v22, 3, v28
	v_cmp_gt_u32_e32 vcc, 8, v28
	v_lshlrev_b64 v[28:29], v26, v[30:31]
	v_sub_u32_e32 v23, 29, v23
	v_and_b32_e32 v26, 7, v28
	v_cndmask_b32_e32 v22, v22, v23, vcc
	v_cndmask_b32_e32 v1, v1, v26, vcc
	v_lshlrev_b32_e32 v7, 16, v7
	v_lshlrev_b32_e32 v1, 20, v1
	v_and_b32_e32 v7, 0x80000000, v7
	v_lshl_add_u32 v22, v22, 23, v5
	v_or3_b32 v26, v7, v22, v1
.LBB4_10402:                            ;   in Loop: Header=BB4_9658 Depth=3
	s_or_b64 exec, exec, s[34:35]
.LBB4_10403:                            ;   in Loop: Header=BB4_9658 Depth=3
	s_or_b64 exec, exec, s[30:31]
.LBB4_10404:                            ;   in Loop: Header=BB4_9658 Depth=3
	s_or_b64 exec, exec, s[28:29]
	v_lshrrev_b16_e32 v30, 8, v12
	v_cmp_ne_u16_e32 vcc, 0, v30
	s_and_saveexec_b64 s[28:29], vcc
	s_cbranch_execz .LBB4_10410
; %bb.10405:                            ;   in Loop: Header=BB4_9658 Depth=3
	v_cmp_ne_u16_e32 vcc, s70, v30
	v_bfrev_b32_e32 v25, 1
	s_and_saveexec_b64 s[30:31], vcc
	s_cbranch_execz .LBB4_10409
; %bb.10406:                            ;   in Loop: Header=BB4_9658 Depth=3
	v_and_b32_e32 v7, 0x7f, v30
	v_cmp_ne_u32_e32 vcc, s68, v7
	v_mov_b32_e32 v25, 0x7f800001
	s_and_saveexec_b64 s[34:35], vcc
	s_cbranch_execz .LBB4_10408
; %bb.10407:                            ;   in Loop: Header=BB4_9658 Depth=3
	v_and_b32_e32 v1, 7, v30
	v_lshrrev_b32_e32 v22, 3, v7
	v_cmp_gt_u32_e32 vcc, 8, v7
	v_ffbh_u32_e32 v7, v1
	v_min_u32_e32 v7, 32, v7
	v_subrev_u32_e32 v23, 28, v7
	v_lshlrev_b64 v[28:29], v23, v[30:31]
	v_sub_u32_e32 v7, 29, v7
	v_and_b32_e32 v23, 7, v28
	v_cndmask_b32_e32 v7, v22, v7, vcc
	v_cndmask_b32_e32 v1, v1, v23, vcc
	v_lshlrev_b32_e32 v22, 16, v12
	v_lshlrev_b32_e32 v1, 20, v1
	v_and_b32_e32 v22, 0x80000000, v22
	v_lshl_add_u32 v7, v7, 23, v5
	v_or3_b32 v25, v22, v7, v1
.LBB4_10408:                            ;   in Loop: Header=BB4_9658 Depth=3
	s_or_b64 exec, exec, s[34:35]
.LBB4_10409:                            ;   in Loop: Header=BB4_9658 Depth=3
	s_or_b64 exec, exec, s[30:31]
.LBB4_10410:                            ;   in Loop: Header=BB4_9658 Depth=3
	s_or_b64 exec, exec, s[28:29]
	v_add_f32_e32 v26, v26, v25
	v_and_b32_e32 v28, 0x7f800000, v26
	v_mov_b32_e32 v29, v3
	v_cmp_ne_u64_e32 vcc, s[62:63], v[28:29]
                                        ; implicit-def: $vgpr7
	s_and_saveexec_b64 s[28:29], vcc
	s_xor_b64 s[30:31], exec, s[28:29]
	s_cbranch_execz .LBB4_10424
; %bb.10411:                            ;   in Loop: Header=BB4_9658 Depth=3
	v_and_b32_e32 v28, 0x7fffffff, v26
	v_mov_b32_e32 v29, v3
	v_cmp_gt_u64_e32 vcc, s[72:73], v[28:29]
	v_and_b32_sdwa v25, v26, s70 dst_sel:DWORD dst_unused:UNUSED_PAD src0_sel:BYTE_3 src1_sel:DWORD
                                        ; implicit-def: $vgpr7
	s_and_saveexec_b64 s[28:29], vcc
	s_xor_b64 s[34:35], exec, s[28:29]
	s_cbranch_execz .LBB4_10421
; %bb.10412:                            ;   in Loop: Header=BB4_9658 Depth=3
	v_mov_b32_e32 v7, 0
	v_cmp_ne_u32_e32 vcc, 0, v26
	s_and_saveexec_b64 s[36:37], vcc
	s_cbranch_execz .LBB4_10420
; %bb.10413:                            ;   in Loop: Header=BB4_9658 Depth=3
	v_bfe_u32 v7, v26, 23, 8
	v_cmp_gt_u32_e64 s[28:29], s71, v7
	v_sub_u32_e32 v22, 0x79, v7
	v_and_b32_e32 v1, 0x7fffff, v26
	v_cmp_eq_u32_e32 vcc, 0, v7
	v_cndmask_b32_e64 v22, 0, v22, s[28:29]
	v_mov_b32_e32 v26, 0x78
	v_or_b32_e32 v23, 0x800000, v1
	v_cndmask_b32_e32 v26, v22, v26, vcc
	v_cndmask_b32_e32 v28, v23, v1, vcc
	v_add_u32_e32 v1, 20, v26
	v_lshlrev_b64 v[30:31], v1, -1
	v_add_u32_e32 v1, 19, v26
	v_lshlrev_b64 v[55:56], v1, 1
	v_mov_b32_e32 v29, v3
	v_bfi_b32 v31, v31, 0, 0
	v_bfi_b32 v30, v30, 0, v28
	v_cmp_eq_u64_e64 s[28:29], v[30:31], v[55:56]
	v_lshrrev_b64 v[55:56], v26, v[28:29]
	v_mov_b32_e32 v27, v57
	v_mov_b32_e32 v57, v56
	;; [unrolled: 1-line block ×3, first 2 shown]
	s_and_saveexec_b64 s[38:39], s[28:29]
; %bb.10414:                            ;   in Loop: Header=BB4_9658 Depth=3
	v_bfe_u32 v1, v55, 20, 1
	v_add_co_u32_e64 v1, s[28:29], v55, v1
	v_add_co_u32_e64 v56, s[28:29], -1, v1
; %bb.10415:                            ;   in Loop: Header=BB4_9658 Depth=3
	s_or_b64 exec, exec, s[38:39]
	v_add_u32_e32 v1, 0xffffff81, v7
	v_mov_b32_e32 v7, 0xffffff82
	v_cndmask_b32_e32 v1, v1, v7, vcc
	v_lshrrev_b32_e32 v7, 23, v55
	v_add3_u32 v28, v26, v1, v7
	v_add_u32_e32 v26, 6, v28
	v_and_b32_e32 v1, 0xfffff, v56
	v_add_u32_e32 v55, v1, v55
	v_mov_b32_e32 v56, v3
	v_cmp_ne_u32_e32 vcc, 0, v26
                                        ; implicit-def: $vgpr7
	s_and_saveexec_b64 s[28:29], vcc
	s_xor_b64 s[28:29], exec, s[28:29]
; %bb.10416:                            ;   in Loop: Header=BB4_9658 Depth=3
	v_cmp_lt_u64_e32 vcc, s[74:75], v[55:56]
	v_add_u32_e32 v1, 7, v28
	v_cndmask_b32_e32 v7, v26, v1, vcc
	v_cndmask_b32_e64 v1, 0, 1, vcc
	v_lshrrev_b64 v[55:56], v1, v[55:56]
; %bb.10417:                            ;   in Loop: Header=BB4_9658 Depth=3
	s_or_saveexec_b64 s[28:29], s[28:29]
	v_mov_b32_e32 v57, v27
	s_xor_b64 exec, exec, s[28:29]
; %bb.10418:                            ;   in Loop: Header=BB4_9658 Depth=3
	v_bfe_u32 v7, v55, 23, 1
; %bb.10419:                            ;   in Loop: Header=BB4_9658 Depth=3
	s_or_b64 exec, exec, s[28:29]
	v_lshrrev_b64 v[28:29], 20, v[55:56]
	v_cmp_gt_i32_e32 vcc, 16, v7
	v_cndmask_b32_e32 v29, 0, v29, vcc
	v_cndmask_b32_e32 v28, 7, v28, vcc
	v_min_i32_e32 v1, 15, v7
	v_cmp_eq_u64_e64 s[28:29], 0, v[28:29]
	v_lshlrev_b32_e32 v1, 3, v1
	v_cmp_eq_u32_e32 vcc, 0, v7
	v_and_b32_e32 v1, 0xf8, v1
	v_and_or_b32 v1, v28, 7, v1
	s_and_b64 s[28:29], vcc, s[28:29]
	v_cndmask_b32_e64 v1, v1, 0, s[28:29]
	v_or_b32_e32 v7, v1, v25
.LBB4_10420:                            ;   in Loop: Header=BB4_9658 Depth=3
	s_or_b64 exec, exec, s[36:37]
                                        ; implicit-def: $vgpr25
.LBB4_10421:                            ;   in Loop: Header=BB4_9658 Depth=3
	s_andn2_saveexec_b64 s[28:29], s[34:35]
; %bb.10422:                            ;   in Loop: Header=BB4_9658 Depth=3
	v_or_b32_e32 v7, 0x7e, v25
; %bb.10423:                            ;   in Loop: Header=BB4_9658 Depth=3
	s_or_b64 exec, exec, s[28:29]
                                        ; implicit-def: $vgpr26
.LBB4_10424:                            ;   in Loop: Header=BB4_9658 Depth=3
	s_andn2_saveexec_b64 s[28:29], s[30:31]
; %bb.10425:                            ;   in Loop: Header=BB4_9658 Depth=3
	v_or_b32_sdwa v7, v26, s68 dst_sel:DWORD dst_unused:UNUSED_PAD src0_sel:BYTE_3 src1_sel:DWORD
; %bb.10426:                            ;   in Loop: Header=BB4_9658 Depth=3
	s_or_b64 exec, exec, s[28:29]
	v_lshrrev_b32_e32 v30, 16, v2
	v_cmp_ne_u16_sdwa vcc, v30, v3 src0_sel:BYTE_0 src1_sel:DWORD
	v_mov_b32_e32 v25, 0
	v_mov_b32_e32 v26, 0
	s_and_saveexec_b64 s[28:29], vcc
	s_cbranch_execz .LBB4_10432
; %bb.10427:                            ;   in Loop: Header=BB4_9658 Depth=3
	v_cmp_ne_u16_sdwa vcc, v30, s70 src0_sel:BYTE_0 src1_sel:DWORD
	v_bfrev_b32_e32 v26, 1
	s_and_saveexec_b64 s[30:31], vcc
	s_cbranch_execz .LBB4_10431
; %bb.10428:                            ;   in Loop: Header=BB4_9658 Depth=3
	v_bfe_u32 v28, v2, 16, 7
	v_cmp_ne_u32_e32 vcc, s68, v28
	v_mov_b32_e32 v26, 0x7f800001
	s_and_saveexec_b64 s[34:35], vcc
	s_cbranch_execz .LBB4_10430
; %bb.10429:                            ;   in Loop: Header=BB4_9658 Depth=3
	v_and_b32_e32 v1, 7, v30
	v_ffbh_u32_e32 v23, v1
	v_min_u32_e32 v23, 32, v23
	v_subrev_u32_e32 v26, 28, v23
	v_lshrrev_b32_e32 v22, 3, v28
	v_cmp_gt_u32_e32 vcc, 8, v28
	v_lshlrev_b64 v[28:29], v26, v[30:31]
	v_sub_u32_e32 v23, 29, v23
	v_and_b32_e32 v26, 7, v28
	v_cndmask_b32_e32 v22, v22, v23, vcc
	v_cndmask_b32_e32 v1, v1, v26, vcc
	v_lshlrev_b32_e32 v23, 24, v30
	v_lshlrev_b32_e32 v1, 20, v1
	v_and_b32_e32 v23, 0x80000000, v23
	v_lshl_add_u32 v22, v22, 23, v5
	v_or3_b32 v26, v23, v22, v1
.LBB4_10430:                            ;   in Loop: Header=BB4_9658 Depth=3
	s_or_b64 exec, exec, s[34:35]
.LBB4_10431:                            ;   in Loop: Header=BB4_9658 Depth=3
	s_or_b64 exec, exec, s[30:31]
.LBB4_10432:                            ;   in Loop: Header=BB4_9658 Depth=3
	s_or_b64 exec, exec, s[28:29]
	v_lshrrev_b32_e32 v30, 16, v12
	v_cmp_ne_u16_sdwa vcc, v30, v3 src0_sel:BYTE_0 src1_sel:DWORD
	s_and_saveexec_b64 s[28:29], vcc
	s_cbranch_execz .LBB4_10438
; %bb.10433:                            ;   in Loop: Header=BB4_9658 Depth=3
	v_cmp_ne_u16_sdwa vcc, v30, s70 src0_sel:BYTE_0 src1_sel:DWORD
	v_bfrev_b32_e32 v25, 1
	s_and_saveexec_b64 s[30:31], vcc
	s_cbranch_execz .LBB4_10437
; %bb.10434:                            ;   in Loop: Header=BB4_9658 Depth=3
	v_bfe_u32 v28, v12, 16, 7
	v_cmp_ne_u32_e32 vcc, s68, v28
	v_mov_b32_e32 v25, 0x7f800001
	s_and_saveexec_b64 s[34:35], vcc
	s_cbranch_execz .LBB4_10436
; %bb.10435:                            ;   in Loop: Header=BB4_9658 Depth=3
	v_and_b32_e32 v1, 7, v30
	v_ffbh_u32_e32 v23, v1
	v_min_u32_e32 v23, 32, v23
	v_subrev_u32_e32 v25, 28, v23
	v_lshrrev_b32_e32 v22, 3, v28
	v_cmp_gt_u32_e32 vcc, 8, v28
	v_lshlrev_b64 v[28:29], v25, v[30:31]
	v_sub_u32_e32 v23, 29, v23
	v_and_b32_e32 v25, 7, v28
	v_cndmask_b32_e32 v22, v22, v23, vcc
	v_cndmask_b32_e32 v1, v1, v25, vcc
	v_lshlrev_b32_e32 v23, 8, v12
	v_lshlrev_b32_e32 v1, 20, v1
	v_and_b32_e32 v23, 0x80000000, v23
	v_lshl_add_u32 v22, v22, 23, v5
	v_or3_b32 v25, v23, v22, v1
.LBB4_10436:                            ;   in Loop: Header=BB4_9658 Depth=3
	s_or_b64 exec, exec, s[34:35]
.LBB4_10437:                            ;   in Loop: Header=BB4_9658 Depth=3
	s_or_b64 exec, exec, s[30:31]
.LBB4_10438:                            ;   in Loop: Header=BB4_9658 Depth=3
	s_or_b64 exec, exec, s[28:29]
	v_add_f32_e32 v28, v26, v25
	v_and_b32_e32 v25, 0x7f800000, v28
	v_mov_b32_e32 v26, v3
	v_cmp_ne_u64_e32 vcc, s[62:63], v[25:26]
                                        ; implicit-def: $vgpr1
	s_and_saveexec_b64 s[28:29], vcc
	s_xor_b64 s[30:31], exec, s[28:29]
	s_cbranch_execz .LBB4_10452
; %bb.10439:                            ;   in Loop: Header=BB4_9658 Depth=3
	v_and_b32_e32 v25, 0x7fffffff, v28
	v_mov_b32_e32 v26, v3
	v_cmp_gt_u64_e32 vcc, s[72:73], v[25:26]
	v_and_b32_sdwa v25, v28, s70 dst_sel:DWORD dst_unused:UNUSED_PAD src0_sel:BYTE_3 src1_sel:DWORD
                                        ; implicit-def: $vgpr1
	s_and_saveexec_b64 s[28:29], vcc
	s_xor_b64 s[34:35], exec, s[28:29]
	s_cbranch_execz .LBB4_10449
; %bb.10440:                            ;   in Loop: Header=BB4_9658 Depth=3
	v_mov_b32_e32 v1, 0
	v_cmp_ne_u32_e32 vcc, 0, v28
	s_and_saveexec_b64 s[36:37], vcc
	s_cbranch_execz .LBB4_10448
; %bb.10441:                            ;   in Loop: Header=BB4_9658 Depth=3
	v_bfe_u32 v26, v28, 23, 8
	v_cmp_gt_u32_e64 s[28:29], s71, v26
	v_sub_u32_e32 v22, 0x79, v26
	v_and_b32_e32 v1, 0x7fffff, v28
	v_cmp_eq_u32_e32 vcc, 0, v26
	v_cndmask_b32_e64 v22, 0, v22, s[28:29]
	v_mov_b32_e32 v27, 0x78
	v_or_b32_e32 v23, 0x800000, v1
	v_cndmask_b32_e32 v28, v22, v27, vcc
	v_cndmask_b32_e32 v29, v23, v1, vcc
	v_add_u32_e32 v1, 20, v28
	v_lshlrev_b64 v[55:56], v1, -1
	v_add_u32_e32 v1, 19, v28
	v_lshlrev_b64 v[39:40], v1, 1
	v_mov_b32_e32 v30, v3
	v_bfi_b32 v56, v56, 0, 0
	v_bfi_b32 v55, v55, 0, v29
	v_cmp_eq_u64_e64 s[28:29], v[55:56], v[39:40]
	v_lshrrev_b64 v[55:56], v28, v[29:30]
	v_mov_b32_e32 v31, v57
	v_mov_b32_e32 v57, v56
	;; [unrolled: 1-line block ×3, first 2 shown]
	s_and_saveexec_b64 s[38:39], s[28:29]
; %bb.10442:                            ;   in Loop: Header=BB4_9658 Depth=3
	v_bfe_u32 v1, v55, 20, 1
	v_add_co_u32_e64 v1, s[28:29], v55, v1
	v_add_co_u32_e64 v56, s[28:29], -1, v1
; %bb.10443:                            ;   in Loop: Header=BB4_9658 Depth=3
	s_or_b64 exec, exec, s[38:39]
	v_add_u32_e32 v1, 0xffffff81, v26
	v_mov_b32_e32 v22, 0xffffff82
	v_cndmask_b32_e32 v1, v1, v22, vcc
	v_lshrrev_b32_e32 v22, 23, v55
	v_add3_u32 v29, v28, v1, v22
	v_add_u32_e32 v28, 6, v29
	v_and_b32_e32 v1, 0xfffff, v56
	v_add_u32_e32 v55, v1, v55
	v_mov_b32_e32 v56, v3
	v_cmp_ne_u32_e32 vcc, 0, v28
                                        ; implicit-def: $vgpr26
	s_and_saveexec_b64 s[28:29], vcc
	s_xor_b64 s[28:29], exec, s[28:29]
; %bb.10444:                            ;   in Loop: Header=BB4_9658 Depth=3
	v_cmp_lt_u64_e32 vcc, s[74:75], v[55:56]
	v_add_u32_e32 v1, 7, v29
	v_cndmask_b32_e32 v26, v28, v1, vcc
	v_cndmask_b32_e64 v1, 0, 1, vcc
	v_lshrrev_b64 v[55:56], v1, v[55:56]
; %bb.10445:                            ;   in Loop: Header=BB4_9658 Depth=3
	s_or_saveexec_b64 s[28:29], s[28:29]
	v_mov_b32_e32 v57, v31
	s_xor_b64 exec, exec, s[28:29]
; %bb.10446:                            ;   in Loop: Header=BB4_9658 Depth=3
	v_bfe_u32 v26, v55, 23, 1
; %bb.10447:                            ;   in Loop: Header=BB4_9658 Depth=3
	s_or_b64 exec, exec, s[28:29]
	v_lshrrev_b64 v[28:29], 20, v[55:56]
	v_cmp_gt_i32_e32 vcc, 16, v26
	v_cndmask_b32_e32 v29, 0, v29, vcc
	v_cndmask_b32_e32 v28, 7, v28, vcc
	v_min_i32_e32 v1, 15, v26
	v_cmp_eq_u64_e64 s[28:29], 0, v[28:29]
	v_lshlrev_b32_e32 v1, 3, v1
	v_cmp_eq_u32_e32 vcc, 0, v26
	v_and_b32_e32 v1, 0xf8, v1
	v_and_or_b32 v1, v28, 7, v1
	s_and_b64 s[28:29], vcc, s[28:29]
	v_cndmask_b32_e64 v1, v1, 0, s[28:29]
	v_or_b32_e32 v1, v1, v25
.LBB4_10448:                            ;   in Loop: Header=BB4_9658 Depth=3
	s_or_b64 exec, exec, s[36:37]
                                        ; implicit-def: $vgpr25
.LBB4_10449:                            ;   in Loop: Header=BB4_9658 Depth=3
	s_andn2_saveexec_b64 s[28:29], s[34:35]
; %bb.10450:                            ;   in Loop: Header=BB4_9658 Depth=3
	v_or_b32_e32 v1, 0x7e, v25
; %bb.10451:                            ;   in Loop: Header=BB4_9658 Depth=3
	s_or_b64 exec, exec, s[28:29]
                                        ; implicit-def: $vgpr28
.LBB4_10452:                            ;   in Loop: Header=BB4_9658 Depth=3
	s_andn2_saveexec_b64 s[28:29], s[30:31]
; %bb.10453:                            ;   in Loop: Header=BB4_9658 Depth=3
	v_or_b32_sdwa v1, v28, s68 dst_sel:DWORD dst_unused:UNUSED_PAD src0_sel:BYTE_3 src1_sel:DWORD
; %bb.10454:                            ;   in Loop: Header=BB4_9658 Depth=3
	s_or_b64 exec, exec, s[28:29]
	v_cmp_lt_u32_e32 vcc, s57, v2
	v_mov_b32_e32 v25, 0
	v_mov_b32_e32 v28, 0
	s_and_saveexec_b64 s[28:29], vcc
	s_cbranch_execz .LBB4_10460
; %bb.10455:                            ;   in Loop: Header=BB4_9658 Depth=3
	v_lshrrev_b32_e32 v30, 24, v2
	v_cmp_ne_u32_sdwa vcc, v2, s70 src0_sel:BYTE_3 src1_sel:DWORD
	v_bfrev_b32_e32 v28, 1
	s_and_saveexec_b64 s[30:31], vcc
	s_cbranch_execz .LBB4_10459
; %bb.10456:                            ;   in Loop: Header=BB4_9658 Depth=3
	v_bfe_u32 v29, v2, 24, 7
	v_cmp_ne_u32_e32 vcc, s68, v29
	v_mov_b32_e32 v28, 0x7f800001
	s_and_saveexec_b64 s[34:35], vcc
	s_cbranch_execz .LBB4_10458
; %bb.10457:                            ;   in Loop: Header=BB4_9658 Depth=3
	v_and_b32_e32 v22, 7, v30
	v_ffbh_u32_e32 v26, v22
	v_min_u32_e32 v26, 32, v26
	v_subrev_u32_e32 v27, 28, v26
	v_lshrrev_b32_e32 v23, 3, v29
	v_cmp_gt_u32_e32 vcc, 8, v29
	v_lshlrev_b64 v[28:29], v27, v[30:31]
	v_sub_u32_e32 v26, 29, v26
	v_and_b32_e32 v27, 7, v28
	v_cndmask_b32_e32 v23, v23, v26, vcc
	v_mov_b32_e32 v26, 24
	v_cndmask_b32_e32 v22, v22, v27, vcc
	v_lshlrev_b32_sdwa v2, v26, v2 dst_sel:DWORD dst_unused:UNUSED_PAD src0_sel:DWORD src1_sel:BYTE_3
	v_lshlrev_b32_e32 v22, 20, v22
	v_and_b32_e32 v2, 0x80000000, v2
	v_lshl_add_u32 v23, v23, 23, v5
	v_or3_b32 v28, v2, v23, v22
.LBB4_10458:                            ;   in Loop: Header=BB4_9658 Depth=3
	s_or_b64 exec, exec, s[34:35]
.LBB4_10459:                            ;   in Loop: Header=BB4_9658 Depth=3
	s_or_b64 exec, exec, s[30:31]
.LBB4_10460:                            ;   in Loop: Header=BB4_9658 Depth=3
	s_or_b64 exec, exec, s[28:29]
	v_cmp_lt_u32_e32 vcc, s57, v12
	s_and_saveexec_b64 s[28:29], vcc
	s_cbranch_execz .LBB4_10466
; %bb.10461:                            ;   in Loop: Header=BB4_9658 Depth=3
	v_lshrrev_b32_e32 v2, 24, v12
	v_cmp_ne_u32_e32 vcc, s70, v2
	v_bfrev_b32_e32 v25, 1
	s_and_saveexec_b64 s[30:31], vcc
	s_cbranch_execz .LBB4_10465
; %bb.10462:                            ;   in Loop: Header=BB4_9658 Depth=3
	v_bfe_u32 v29, v12, 24, 7
	v_cmp_ne_u32_e32 vcc, s68, v29
	v_mov_b32_e32 v25, 0x7f800001
	s_and_saveexec_b64 s[34:35], vcc
	s_cbranch_execz .LBB4_10464
; %bb.10463:                            ;   in Loop: Header=BB4_9658 Depth=3
	v_and_b32_e32 v22, 7, v2
	v_ffbh_u32_e32 v25, v22
	v_min_u32_e32 v25, 32, v25
	v_subrev_u32_e32 v26, 28, v25
	v_lshrrev_b32_e32 v23, 3, v29
	v_cmp_gt_u32_e32 vcc, 8, v29
	v_lshlrev_b64 v[29:30], v26, v[2:3]
	v_sub_u32_e32 v25, 29, v25
	v_and_b32_e32 v26, 7, v29
	v_cndmask_b32_e32 v23, v23, v25, vcc
	v_cndmask_b32_e32 v22, v22, v26, vcc
	v_lshlrev_b32_e32 v2, 24, v2
	v_lshlrev_b32_e32 v22, 20, v22
	v_and_b32_e32 v2, 0x80000000, v2
	v_lshl_add_u32 v23, v23, 23, v5
	v_or3_b32 v25, v2, v23, v22
.LBB4_10464:                            ;   in Loop: Header=BB4_9658 Depth=3
	s_or_b64 exec, exec, s[34:35]
.LBB4_10465:                            ;   in Loop: Header=BB4_9658 Depth=3
	s_or_b64 exec, exec, s[30:31]
.LBB4_10466:                            ;   in Loop: Header=BB4_9658 Depth=3
	s_or_b64 exec, exec, s[28:29]
	v_add_f32_e32 v29, v28, v25
	v_and_b32_e32 v2, 0x7f800000, v29
	v_cmp_ne_u64_e32 vcc, s[62:63], v[2:3]
                                        ; implicit-def: $vgpr25
	s_and_saveexec_b64 s[28:29], vcc
	s_xor_b64 s[30:31], exec, s[28:29]
	s_cbranch_execz .LBB4_10480
; %bb.10467:                            ;   in Loop: Header=BB4_9658 Depth=3
	v_and_b32_e32 v2, 0x7fffffff, v29
	v_cmp_gt_u64_e32 vcc, s[72:73], v[2:3]
	v_and_b32_sdwa v28, v29, s70 dst_sel:DWORD dst_unused:UNUSED_PAD src0_sel:BYTE_3 src1_sel:DWORD
                                        ; implicit-def: $vgpr25
	s_and_saveexec_b64 s[28:29], vcc
	s_xor_b64 s[34:35], exec, s[28:29]
	s_cbranch_execz .LBB4_10477
; %bb.10468:                            ;   in Loop: Header=BB4_9658 Depth=3
	v_mov_b32_e32 v25, 0
	v_cmp_ne_u32_e32 vcc, 0, v29
	s_and_saveexec_b64 s[36:37], vcc
	s_cbranch_execz .LBB4_10476
; %bb.10469:                            ;   in Loop: Header=BB4_9658 Depth=3
	v_bfe_u32 v25, v29, 23, 8
	v_cmp_gt_u32_e64 s[28:29], s71, v25
	v_sub_u32_e32 v22, 0x79, v25
	v_cmp_eq_u32_e32 vcc, 0, v25
	v_cndmask_b32_e64 v22, 0, v22, s[28:29]
	v_mov_b32_e32 v26, 0x78
	v_and_b32_e32 v2, 0x7fffff, v29
	v_cndmask_b32_e32 v29, v22, v26, vcc
	v_or_b32_e32 v23, 0x800000, v2
	v_add_u32_e32 v22, 20, v29
	v_cndmask_b32_e32 v2, v23, v2, vcc
	v_lshlrev_b64 v[30:31], v22, -1
	v_add_u32_e32 v22, 19, v29
	v_lshlrev_b64 v[39:40], v22, 1
	v_lshrrev_b64 v[55:56], v29, v[2:3]
	v_bfi_b32 v31, v31, 0, 0
	v_bfi_b32 v30, v30, 0, v2
	v_mov_b32_e32 v27, v57
	v_cmp_eq_u64_e64 s[28:29], v[30:31], v[39:40]
	v_mov_b32_e32 v57, v56
	v_mov_b32_e32 v56, v55
	s_and_saveexec_b64 s[38:39], s[28:29]
; %bb.10470:                            ;   in Loop: Header=BB4_9658 Depth=3
	v_bfe_u32 v2, v55, 20, 1
	v_add_co_u32_e64 v2, s[28:29], v55, v2
	v_add_co_u32_e64 v56, s[28:29], -1, v2
; %bb.10471:                            ;   in Loop: Header=BB4_9658 Depth=3
	s_or_b64 exec, exec, s[38:39]
	v_add_u32_e32 v2, 0xffffff81, v25
	v_mov_b32_e32 v22, 0xffffff82
	v_cndmask_b32_e32 v2, v2, v22, vcc
	v_lshrrev_b32_e32 v22, 23, v55
	v_add3_u32 v30, v29, v2, v22
	v_add_u32_e32 v29, 6, v30
	v_and_b32_e32 v2, 0xfffff, v56
	v_add_u32_e32 v2, v2, v55
	v_cmp_ne_u32_e32 vcc, 0, v29
                                        ; implicit-def: $vgpr55_vgpr56
                                        ; implicit-def: $vgpr25
	s_and_saveexec_b64 s[28:29], vcc
	s_xor_b64 s[28:29], exec, s[28:29]
; %bb.10472:                            ;   in Loop: Header=BB4_9658 Depth=3
	v_cmp_lt_u64_e32 vcc, s[74:75], v[2:3]
	v_add_u32_e32 v22, 7, v30
	v_cndmask_b32_e32 v25, v29, v22, vcc
	v_cndmask_b32_e64 v22, 0, 1, vcc
	v_lshrrev_b64 v[55:56], v22, v[2:3]
; %bb.10473:                            ;   in Loop: Header=BB4_9658 Depth=3
	s_or_saveexec_b64 s[28:29], s[28:29]
	v_mov_b32_e32 v57, v27
	s_xor_b64 exec, exec, s[28:29]
; %bb.10474:                            ;   in Loop: Header=BB4_9658 Depth=3
	v_mov_b32_e32 v56, v3
	v_bfe_u32 v25, v2, 23, 1
	v_mov_b32_e32 v55, v2
; %bb.10475:                            ;   in Loop: Header=BB4_9658 Depth=3
	s_or_b64 exec, exec, s[28:29]
	v_lshrrev_b64 v[29:30], 20, v[55:56]
	v_cmp_gt_i32_e32 vcc, 16, v25
	v_cndmask_b32_e32 v30, 0, v30, vcc
	v_cndmask_b32_e32 v29, 7, v29, vcc
	v_min_i32_e32 v2, 15, v25
	v_cmp_eq_u64_e64 s[28:29], 0, v[29:30]
	v_lshlrev_b32_e32 v2, 3, v2
	v_cmp_eq_u32_e32 vcc, 0, v25
	v_and_b32_e32 v2, 0xf8, v2
	v_and_or_b32 v2, v29, 7, v2
	s_and_b64 s[28:29], vcc, s[28:29]
	v_cndmask_b32_e64 v2, v2, 0, s[28:29]
	v_or_b32_e32 v25, v2, v28
.LBB4_10476:                            ;   in Loop: Header=BB4_9658 Depth=3
	s_or_b64 exec, exec, s[36:37]
                                        ; implicit-def: $vgpr28
.LBB4_10477:                            ;   in Loop: Header=BB4_9658 Depth=3
	s_andn2_saveexec_b64 s[28:29], s[34:35]
; %bb.10478:                            ;   in Loop: Header=BB4_9658 Depth=3
	v_or_b32_e32 v25, 0x7e, v28
; %bb.10479:                            ;   in Loop: Header=BB4_9658 Depth=3
	s_or_b64 exec, exec, s[28:29]
                                        ; implicit-def: $vgpr29
.LBB4_10480:                            ;   in Loop: Header=BB4_9658 Depth=3
	s_andn2_saveexec_b64 s[28:29], s[30:31]
; %bb.10481:                            ;   in Loop: Header=BB4_9658 Depth=3
	v_or_b32_sdwa v25, v29, s68 dst_sel:DWORD dst_unused:UNUSED_PAD src0_sel:BYTE_3 src1_sel:DWORD
; %bb.10482:                            ;   in Loop: Header=BB4_9658 Depth=3
	s_or_b64 exec, exec, s[28:29]
	v_lshl_or_b32 v17, v17, 8, v4
	v_lshlrev_b32_e32 v2, 16, v49
	v_lshlrev_b32_e32 v22, 24, v37
	v_or3_b32 v2, v2, v22, v17
	v_cmp_ne_u32_e32 vcc, 0, v4
	v_mov_b32_e32 v29, 0
	v_mov_b32_e32 v28, 0
	s_and_saveexec_b64 s[28:29], vcc
	s_cbranch_execz .LBB4_10488
; %bb.10483:                            ;   in Loop: Header=BB4_9658 Depth=3
	v_cmp_ne_u32_e32 vcc, s70, v4
	v_bfrev_b32_e32 v28, 1
	s_and_saveexec_b64 s[30:31], vcc
	s_cbranch_execz .LBB4_10487
; %bb.10484:                            ;   in Loop: Header=BB4_9658 Depth=3
	v_and_b32_e32 v30, 0x7f, v4
	v_cmp_ne_u32_e32 vcc, s68, v30
	v_mov_b32_e32 v28, 0x7f800001
	s_and_saveexec_b64 s[34:35], vcc
	s_cbranch_execz .LBB4_10486
; %bb.10485:                            ;   in Loop: Header=BB4_9658 Depth=3
	v_and_b32_e32 v4, 7, v4
	v_ffbh_u32_e32 v4, v4
	v_min_u32_e32 v4, 32, v4
	v_lshrrev_b32_e32 v22, 3, v30
	v_cmp_gt_u32_e32 vcc, 8, v30
	v_subrev_u32_e32 v23, 28, v4
	v_sub_u32_e32 v4, 29, v4
	v_cndmask_b32_e32 v4, v22, v4, vcc
	v_cndmask_b32_e32 v22, 0, v23, vcc
	v_lshlrev_b64 v[30:31], v22, v[2:3]
	v_lshlrev_b32_e32 v23, 24, v2
	v_lshlrev_b32_e32 v22, 20, v30
	v_and_b32_e32 v22, 0x700000, v22
	v_and_b32_e32 v23, 0x80000000, v23
	v_lshl_add_u32 v4, v4, 23, v5
	v_or3_b32 v28, v23, v4, v22
.LBB4_10486:                            ;   in Loop: Header=BB4_9658 Depth=3
	s_or_b64 exec, exec, s[34:35]
.LBB4_10487:                            ;   in Loop: Header=BB4_9658 Depth=3
	s_or_b64 exec, exec, s[30:31]
.LBB4_10488:                            ;   in Loop: Header=BB4_9658 Depth=3
	s_or_b64 exec, exec, s[28:29]
	v_cmp_ne_u16_sdwa vcc, v13, v3 src0_sel:BYTE_0 src1_sel:DWORD
	s_and_saveexec_b64 s[28:29], vcc
	s_cbranch_execz .LBB4_10494
; %bb.10489:                            ;   in Loop: Header=BB4_9658 Depth=3
	v_cmp_ne_u16_sdwa vcc, v13, s70 src0_sel:BYTE_0 src1_sel:DWORD
	v_bfrev_b32_e32 v29, 1
	s_and_saveexec_b64 s[30:31], vcc
	s_cbranch_execz .LBB4_10493
; %bb.10490:                            ;   in Loop: Header=BB4_9658 Depth=3
	v_and_b32_e32 v4, 0x7f, v13
	v_cmp_ne_u32_e32 vcc, s68, v4
	v_mov_b32_e32 v29, 0x7f800001
	s_and_saveexec_b64 s[34:35], vcc
	s_cbranch_execz .LBB4_10492
; %bb.10491:                            ;   in Loop: Header=BB4_9658 Depth=3
	v_and_b32_e32 v22, 7, v13
	v_lshrrev_b32_e32 v23, 3, v4
	v_cmp_gt_u32_e32 vcc, 8, v4
	v_ffbh_u32_e32 v4, v22
	v_min_u32_e32 v4, 32, v4
	v_subrev_u32_e32 v22, 28, v4
	v_mov_b32_e32 v29, v13
	v_mov_b32_e32 v30, v3
	v_cndmask_b32_e32 v22, 0, v22, vcc
	v_lshlrev_b64 v[30:31], v22, v[29:30]
	v_sub_u32_e32 v4, 29, v4
	v_cndmask_b32_e32 v4, v23, v4, vcc
	v_lshlrev_b32_e32 v22, 20, v30
	v_lshlrev_b32_e32 v23, 24, v29
	v_and_b32_e32 v22, 0x700000, v22
	v_and_b32_e32 v23, 0x80000000, v23
	v_lshl_add_u32 v4, v4, 23, v5
	v_or3_b32 v29, v23, v4, v22
.LBB4_10492:                            ;   in Loop: Header=BB4_9658 Depth=3
	s_or_b64 exec, exec, s[34:35]
.LBB4_10493:                            ;   in Loop: Header=BB4_9658 Depth=3
	s_or_b64 exec, exec, s[30:31]
.LBB4_10494:                            ;   in Loop: Header=BB4_9658 Depth=3
	s_or_b64 exec, exec, s[28:29]
	v_add_f32_e32 v29, v28, v29
	v_and_b32_e32 v30, 0x7f800000, v29
	v_mov_b32_e32 v31, v3
	v_cmp_ne_u64_e32 vcc, s[62:63], v[30:31]
                                        ; implicit-def: $vgpr4
	s_and_saveexec_b64 s[28:29], vcc
	s_xor_b64 s[30:31], exec, s[28:29]
	s_cbranch_execz .LBB4_10508
; %bb.10495:                            ;   in Loop: Header=BB4_9658 Depth=3
	v_and_b32_e32 v30, 0x7fffffff, v29
	v_mov_b32_e32 v31, v3
	v_cmp_gt_u64_e32 vcc, s[72:73], v[30:31]
	v_and_b32_sdwa v28, v29, s70 dst_sel:DWORD dst_unused:UNUSED_PAD src0_sel:BYTE_3 src1_sel:DWORD
                                        ; implicit-def: $vgpr4
	s_and_saveexec_b64 s[28:29], vcc
	s_xor_b64 s[34:35], exec, s[28:29]
	s_cbranch_execz .LBB4_10505
; %bb.10496:                            ;   in Loop: Header=BB4_9658 Depth=3
	v_mov_b32_e32 v4, 0
	v_cmp_ne_u32_e32 vcc, 0, v29
	s_and_saveexec_b64 s[36:37], vcc
	s_cbranch_execz .LBB4_10504
; %bb.10497:                            ;   in Loop: Header=BB4_9658 Depth=3
	v_bfe_u32 v4, v29, 23, 8
	v_cmp_gt_u32_e64 s[28:29], s71, v4
	v_sub_u32_e32 v23, 0x79, v4
	v_and_b32_e32 v22, 0x7fffff, v29
	v_cmp_eq_u32_e32 vcc, 0, v4
	v_cndmask_b32_e64 v23, 0, v23, s[28:29]
	v_mov_b32_e32 v27, 0x78
	v_or_b32_e32 v26, 0x800000, v22
	v_cndmask_b32_e32 v29, v23, v27, vcc
	v_cndmask_b32_e32 v30, v26, v22, vcc
	v_add_u32_e32 v22, 20, v29
	v_lshlrev_b64 v[39:40], v22, -1
	v_add_u32_e32 v22, 19, v29
	v_lshlrev_b64 v[55:56], v22, 1
	v_mov_b32_e32 v31, v3
	v_bfi_b32 v40, v40, 0, 0
	v_bfi_b32 v39, v39, 0, v30
	v_cmp_eq_u64_e64 s[28:29], v[39:40], v[55:56]
	v_lshrrev_b64 v[55:56], v29, v[30:31]
	v_mov_b32_e32 v37, v57
	v_mov_b32_e32 v57, v56
	;; [unrolled: 1-line block ×3, first 2 shown]
	s_and_saveexec_b64 s[38:39], s[28:29]
; %bb.10498:                            ;   in Loop: Header=BB4_9658 Depth=3
	v_bfe_u32 v22, v55, 20, 1
	v_add_co_u32_e64 v22, s[28:29], v55, v22
	v_add_co_u32_e64 v56, s[28:29], -1, v22
; %bb.10499:                            ;   in Loop: Header=BB4_9658 Depth=3
	s_or_b64 exec, exec, s[38:39]
	v_add_u32_e32 v4, 0xffffff81, v4
	v_mov_b32_e32 v22, 0xffffff82
	v_cndmask_b32_e32 v4, v4, v22, vcc
	v_lshrrev_b32_e32 v22, 23, v55
	v_add3_u32 v30, v29, v4, v22
	v_add_u32_e32 v29, 6, v30
	v_and_b32_e32 v4, 0xfffff, v56
	v_add_u32_e32 v55, v4, v55
	v_mov_b32_e32 v56, v3
	v_cmp_ne_u32_e32 vcc, 0, v29
                                        ; implicit-def: $vgpr4
	s_and_saveexec_b64 s[28:29], vcc
	s_xor_b64 s[28:29], exec, s[28:29]
; %bb.10500:                            ;   in Loop: Header=BB4_9658 Depth=3
	v_cmp_lt_u64_e32 vcc, s[74:75], v[55:56]
	v_add_u32_e32 v4, 7, v30
	v_cndmask_b32_e64 v22, 0, 1, vcc
	v_cndmask_b32_e32 v4, v29, v4, vcc
	v_lshrrev_b64 v[55:56], v22, v[55:56]
; %bb.10501:                            ;   in Loop: Header=BB4_9658 Depth=3
	s_or_saveexec_b64 s[28:29], s[28:29]
	v_mov_b32_e32 v57, v37
	s_xor_b64 exec, exec, s[28:29]
; %bb.10502:                            ;   in Loop: Header=BB4_9658 Depth=3
	v_bfe_u32 v4, v55, 23, 1
; %bb.10503:                            ;   in Loop: Header=BB4_9658 Depth=3
	s_or_b64 exec, exec, s[28:29]
	v_lshrrev_b64 v[29:30], 20, v[55:56]
	v_cmp_gt_i32_e32 vcc, 16, v4
	v_cndmask_b32_e32 v30, 0, v30, vcc
	v_cndmask_b32_e32 v29, 7, v29, vcc
	v_cmp_eq_u32_e32 vcc, 0, v4
	v_min_i32_e32 v4, 15, v4
	v_cmp_eq_u64_e64 s[28:29], 0, v[29:30]
	v_lshlrev_b32_e32 v4, 3, v4
	v_and_b32_e32 v4, 0xf8, v4
	v_and_or_b32 v4, v29, 7, v4
	s_and_b64 s[28:29], vcc, s[28:29]
	v_cndmask_b32_e64 v4, v4, 0, s[28:29]
	v_or_b32_e32 v4, v4, v28
.LBB4_10504:                            ;   in Loop: Header=BB4_9658 Depth=3
	s_or_b64 exec, exec, s[36:37]
                                        ; implicit-def: $vgpr28
.LBB4_10505:                            ;   in Loop: Header=BB4_9658 Depth=3
	s_andn2_saveexec_b64 s[28:29], s[34:35]
; %bb.10506:                            ;   in Loop: Header=BB4_9658 Depth=3
	v_or_b32_e32 v4, 0x7e, v28
; %bb.10507:                            ;   in Loop: Header=BB4_9658 Depth=3
	s_or_b64 exec, exec, s[28:29]
                                        ; implicit-def: $vgpr29
.LBB4_10508:                            ;   in Loop: Header=BB4_9658 Depth=3
	s_andn2_saveexec_b64 s[28:29], s[30:31]
; %bb.10509:                            ;   in Loop: Header=BB4_9658 Depth=3
	v_or_b32_sdwa v4, v29, s68 dst_sel:DWORD dst_unused:UNUSED_PAD src0_sel:BYTE_3 src1_sel:DWORD
; %bb.10510:                            ;   in Loop: Header=BB4_9658 Depth=3
	s_or_b64 exec, exec, s[28:29]
	v_lshrrev_b16_e32 v30, 8, v17
	v_cmp_ne_u16_e32 vcc, 0, v30
	v_mov_b32_e32 v28, 0
	v_mov_b32_e32 v29, 0
	s_and_saveexec_b64 s[28:29], vcc
	s_cbranch_execz .LBB4_10516
; %bb.10511:                            ;   in Loop: Header=BB4_9658 Depth=3
	v_cmp_ne_u16_e32 vcc, s70, v30
	v_bfrev_b32_e32 v29, 1
	s_and_saveexec_b64 s[30:31], vcc
	s_cbranch_execz .LBB4_10515
; %bb.10512:                            ;   in Loop: Header=BB4_9658 Depth=3
	v_and_b32_e32 v37, 0x7f, v30
	v_cmp_ne_u32_e32 vcc, s68, v37
	v_mov_b32_e32 v29, 0x7f800001
	s_and_saveexec_b64 s[34:35], vcc
	s_cbranch_execz .LBB4_10514
; %bb.10513:                            ;   in Loop: Header=BB4_9658 Depth=3
	v_and_b32_e32 v22, 7, v30
	v_ffbh_u32_e32 v26, v22
	v_min_u32_e32 v26, 32, v26
	v_subrev_u32_e32 v27, 28, v26
	v_lshlrev_b64 v[29:30], v27, v[30:31]
	v_lshrrev_b32_e32 v23, 3, v37
	v_cmp_gt_u32_e32 vcc, 8, v37
	v_sub_u32_e32 v26, 29, v26
	v_and_b32_e32 v27, 7, v29
	v_cndmask_b32_e32 v23, v23, v26, vcc
	v_cndmask_b32_e32 v22, v22, v27, vcc
	v_lshlrev_b32_e32 v17, 16, v17
	v_lshlrev_b32_e32 v22, 20, v22
	v_and_b32_e32 v17, 0x80000000, v17
	v_lshl_add_u32 v23, v23, 23, v5
	v_or3_b32 v29, v17, v23, v22
.LBB4_10514:                            ;   in Loop: Header=BB4_9658 Depth=3
	s_or_b64 exec, exec, s[34:35]
.LBB4_10515:                            ;   in Loop: Header=BB4_9658 Depth=3
	s_or_b64 exec, exec, s[30:31]
.LBB4_10516:                            ;   in Loop: Header=BB4_9658 Depth=3
	s_or_b64 exec, exec, s[28:29]
	v_lshrrev_b16_e32 v30, 8, v13
	v_cmp_ne_u16_e32 vcc, 0, v30
	s_and_saveexec_b64 s[28:29], vcc
	s_cbranch_execz .LBB4_10522
; %bb.10517:                            ;   in Loop: Header=BB4_9658 Depth=3
	v_cmp_ne_u16_e32 vcc, s70, v30
	v_bfrev_b32_e32 v28, 1
	s_and_saveexec_b64 s[30:31], vcc
	s_cbranch_execz .LBB4_10521
; %bb.10518:                            ;   in Loop: Header=BB4_9658 Depth=3
	v_and_b32_e32 v17, 0x7f, v30
	v_cmp_ne_u32_e32 vcc, s68, v17
	v_mov_b32_e32 v28, 0x7f800001
	s_and_saveexec_b64 s[34:35], vcc
	s_cbranch_execz .LBB4_10520
; %bb.10519:                            ;   in Loop: Header=BB4_9658 Depth=3
	v_and_b32_e32 v22, 7, v30
	v_lshrrev_b32_e32 v23, 3, v17
	v_cmp_gt_u32_e32 vcc, 8, v17
	v_ffbh_u32_e32 v17, v22
	v_min_u32_e32 v17, 32, v17
	v_subrev_u32_e32 v26, 28, v17
	v_lshlrev_b64 v[30:31], v26, v[30:31]
	v_sub_u32_e32 v17, 29, v17
	v_and_b32_e32 v26, 7, v30
	v_cndmask_b32_e32 v17, v23, v17, vcc
	v_cndmask_b32_e32 v22, v22, v26, vcc
	v_lshlrev_b32_e32 v23, 16, v13
	v_lshlrev_b32_e32 v22, 20, v22
	v_and_b32_e32 v23, 0x80000000, v23
	v_lshl_add_u32 v17, v17, 23, v5
	v_or3_b32 v28, v23, v17, v22
.LBB4_10520:                            ;   in Loop: Header=BB4_9658 Depth=3
	s_or_b64 exec, exec, s[34:35]
.LBB4_10521:                            ;   in Loop: Header=BB4_9658 Depth=3
	s_or_b64 exec, exec, s[30:31]
.LBB4_10522:                            ;   in Loop: Header=BB4_9658 Depth=3
	s_or_b64 exec, exec, s[28:29]
	v_add_f32_e32 v28, v29, v28
	v_and_b32_e32 v29, 0x7f800000, v28
	v_mov_b32_e32 v30, v3
	v_cmp_ne_u64_e32 vcc, s[62:63], v[29:30]
                                        ; implicit-def: $vgpr40
	s_and_saveexec_b64 s[28:29], vcc
	s_xor_b64 s[30:31], exec, s[28:29]
	s_cbranch_execz .LBB4_10536
; %bb.10523:                            ;   in Loop: Header=BB4_9658 Depth=3
	v_and_b32_e32 v29, 0x7fffffff, v28
	v_mov_b32_e32 v30, v3
	v_cmp_gt_u64_e32 vcc, s[72:73], v[29:30]
	v_and_b32_sdwa v17, v28, s70 dst_sel:DWORD dst_unused:UNUSED_PAD src0_sel:BYTE_3 src1_sel:DWORD
                                        ; implicit-def: $vgpr40
	s_and_saveexec_b64 s[28:29], vcc
	s_xor_b64 s[34:35], exec, s[28:29]
	s_cbranch_execz .LBB4_10533
; %bb.10524:                            ;   in Loop: Header=BB4_9658 Depth=3
	v_mov_b32_e32 v40, 0
	v_cmp_ne_u32_e32 vcc, 0, v28
	s_and_saveexec_b64 s[36:37], vcc
	s_cbranch_execz .LBB4_10532
; %bb.10525:                            ;   in Loop: Header=BB4_9658 Depth=3
	v_and_b32_e32 v22, 0x7fffff, v28
	v_bfe_u32 v28, v28, 23, 8
	v_cmp_gt_u32_e64 s[28:29], s71, v28
	v_sub_u32_e32 v23, 0x79, v28
	v_cmp_eq_u32_e32 vcc, 0, v28
	v_cndmask_b32_e64 v23, 0, v23, s[28:29]
	v_mov_b32_e32 v27, 0x78
	v_or_b32_e32 v26, 0x800000, v22
	v_cndmask_b32_e32 v29, v23, v27, vcc
	v_cndmask_b32_e32 v30, v26, v22, vcc
	v_add_u32_e32 v22, 20, v29
	v_lshlrev_b64 v[39:40], v22, -1
	v_add_u32_e32 v22, 19, v29
	v_lshlrev_b64 v[55:56], v22, 1
	v_mov_b32_e32 v31, v3
	v_bfi_b32 v40, v40, 0, 0
	v_bfi_b32 v39, v39, 0, v30
	v_cmp_eq_u64_e64 s[28:29], v[39:40], v[55:56]
	v_lshrrev_b64 v[55:56], v29, v[30:31]
	v_mov_b32_e32 v37, v57
	v_mov_b32_e32 v57, v56
	;; [unrolled: 1-line block ×3, first 2 shown]
	s_and_saveexec_b64 s[38:39], s[28:29]
; %bb.10526:                            ;   in Loop: Header=BB4_9658 Depth=3
	v_bfe_u32 v22, v55, 20, 1
	v_add_co_u32_e64 v22, s[28:29], v55, v22
	v_add_co_u32_e64 v56, s[28:29], -1, v22
; %bb.10527:                            ;   in Loop: Header=BB4_9658 Depth=3
	s_or_b64 exec, exec, s[38:39]
	v_add_u32_e32 v22, 0xffffff81, v28
	v_mov_b32_e32 v23, 0xffffff82
	v_cndmask_b32_e32 v22, v22, v23, vcc
	v_lshrrev_b32_e32 v23, 23, v55
	v_add3_u32 v30, v29, v22, v23
	v_add_u32_e32 v29, 6, v30
	v_and_b32_e32 v22, 0xfffff, v56
	v_add_u32_e32 v55, v22, v55
	v_mov_b32_e32 v56, v3
	v_cmp_ne_u32_e32 vcc, 0, v29
                                        ; implicit-def: $vgpr28
	s_and_saveexec_b64 s[28:29], vcc
	s_xor_b64 s[28:29], exec, s[28:29]
; %bb.10528:                            ;   in Loop: Header=BB4_9658 Depth=3
	v_cmp_lt_u64_e32 vcc, s[74:75], v[55:56]
	v_add_u32_e32 v22, 7, v30
	v_cndmask_b32_e32 v28, v29, v22, vcc
	v_cndmask_b32_e64 v22, 0, 1, vcc
	v_lshrrev_b64 v[55:56], v22, v[55:56]
; %bb.10529:                            ;   in Loop: Header=BB4_9658 Depth=3
	s_or_saveexec_b64 s[28:29], s[28:29]
	v_mov_b32_e32 v57, v37
	s_xor_b64 exec, exec, s[28:29]
; %bb.10530:                            ;   in Loop: Header=BB4_9658 Depth=3
	v_bfe_u32 v28, v55, 23, 1
; %bb.10531:                            ;   in Loop: Header=BB4_9658 Depth=3
	s_or_b64 exec, exec, s[28:29]
	v_lshrrev_b64 v[29:30], 20, v[55:56]
	v_cmp_gt_i32_e32 vcc, 16, v28
	v_cndmask_b32_e32 v30, 0, v30, vcc
	v_cndmask_b32_e32 v29, 7, v29, vcc
	v_min_i32_e32 v22, 15, v28
	v_cmp_eq_u64_e64 s[28:29], 0, v[29:30]
	v_lshlrev_b32_e32 v22, 3, v22
	v_cmp_eq_u32_e32 vcc, 0, v28
	v_and_b32_e32 v22, 0xf8, v22
	v_and_or_b32 v22, v29, 7, v22
	s_and_b64 s[28:29], vcc, s[28:29]
	v_cndmask_b32_e64 v22, v22, 0, s[28:29]
	v_or_b32_e32 v40, v22, v17
.LBB4_10532:                            ;   in Loop: Header=BB4_9658 Depth=3
	s_or_b64 exec, exec, s[36:37]
                                        ; implicit-def: $vgpr17
.LBB4_10533:                            ;   in Loop: Header=BB4_9658 Depth=3
	s_andn2_saveexec_b64 s[28:29], s[34:35]
; %bb.10534:                            ;   in Loop: Header=BB4_9658 Depth=3
	v_or_b32_e32 v40, 0x7e, v17
; %bb.10535:                            ;   in Loop: Header=BB4_9658 Depth=3
	s_or_b64 exec, exec, s[28:29]
                                        ; implicit-def: $vgpr28
.LBB4_10536:                            ;   in Loop: Header=BB4_9658 Depth=3
	s_andn2_saveexec_b64 s[28:29], s[30:31]
; %bb.10537:                            ;   in Loop: Header=BB4_9658 Depth=3
	v_or_b32_sdwa v40, v28, s68 dst_sel:DWORD dst_unused:UNUSED_PAD src0_sel:BYTE_3 src1_sel:DWORD
; %bb.10538:                            ;   in Loop: Header=BB4_9658 Depth=3
	s_or_b64 exec, exec, s[28:29]
	v_lshrrev_b32_e32 v30, 16, v2
	v_cmp_ne_u16_sdwa vcc, v30, v3 src0_sel:BYTE_0 src1_sel:DWORD
	v_mov_b32_e32 v17, 0
	v_mov_b32_e32 v28, 0
	s_and_saveexec_b64 s[28:29], vcc
	s_cbranch_execz .LBB4_10544
; %bb.10539:                            ;   in Loop: Header=BB4_9658 Depth=3
	v_cmp_ne_u16_sdwa vcc, v30, s70 src0_sel:BYTE_0 src1_sel:DWORD
	v_bfrev_b32_e32 v28, 1
	s_and_saveexec_b64 s[30:31], vcc
	s_cbranch_execz .LBB4_10543
; %bb.10540:                            ;   in Loop: Header=BB4_9658 Depth=3
	v_bfe_u32 v29, v2, 16, 7
	v_cmp_ne_u32_e32 vcc, s68, v29
	v_mov_b32_e32 v28, 0x7f800001
	s_and_saveexec_b64 s[34:35], vcc
	s_cbranch_execz .LBB4_10542
; %bb.10541:                            ;   in Loop: Header=BB4_9658 Depth=3
	v_and_b32_e32 v22, 7, v30
	v_ffbh_u32_e32 v26, v22
	v_min_u32_e32 v26, 32, v26
	v_subrev_u32_e32 v27, 28, v26
	v_lshrrev_b32_e32 v23, 3, v29
	v_cmp_gt_u32_e32 vcc, 8, v29
	v_lshlrev_b64 v[28:29], v27, v[30:31]
	v_sub_u32_e32 v26, 29, v26
	v_and_b32_e32 v27, 7, v28
	v_cndmask_b32_e32 v23, v23, v26, vcc
	v_cndmask_b32_e32 v22, v22, v27, vcc
	v_lshlrev_b32_e32 v26, 24, v30
	v_lshlrev_b32_e32 v22, 20, v22
	v_and_b32_e32 v26, 0x80000000, v26
	v_lshl_add_u32 v23, v23, 23, v5
	v_or3_b32 v28, v26, v23, v22
.LBB4_10542:                            ;   in Loop: Header=BB4_9658 Depth=3
	s_or_b64 exec, exec, s[34:35]
.LBB4_10543:                            ;   in Loop: Header=BB4_9658 Depth=3
	s_or_b64 exec, exec, s[30:31]
.LBB4_10544:                            ;   in Loop: Header=BB4_9658 Depth=3
	s_or_b64 exec, exec, s[28:29]
	v_lshrrev_b32_e32 v30, 16, v13
	v_cmp_ne_u16_sdwa vcc, v30, v3 src0_sel:BYTE_0 src1_sel:DWORD
	s_and_saveexec_b64 s[28:29], vcc
	s_cbranch_execz .LBB4_10550
; %bb.10545:                            ;   in Loop: Header=BB4_9658 Depth=3
	v_cmp_ne_u16_sdwa vcc, v30, s70 src0_sel:BYTE_0 src1_sel:DWORD
	v_bfrev_b32_e32 v17, 1
	s_and_saveexec_b64 s[30:31], vcc
	s_cbranch_execz .LBB4_10549
; %bb.10546:                            ;   in Loop: Header=BB4_9658 Depth=3
	v_bfe_u32 v29, v13, 16, 7
	v_cmp_ne_u32_e32 vcc, s68, v29
	v_mov_b32_e32 v17, 0x7f800001
	s_and_saveexec_b64 s[34:35], vcc
	s_cbranch_execz .LBB4_10548
; %bb.10547:                            ;   in Loop: Header=BB4_9658 Depth=3
	v_and_b32_e32 v17, 7, v30
	v_ffbh_u32_e32 v23, v17
	v_min_u32_e32 v23, 32, v23
	v_subrev_u32_e32 v26, 28, v23
	v_lshrrev_b32_e32 v22, 3, v29
	v_cmp_gt_u32_e32 vcc, 8, v29
	v_lshlrev_b64 v[29:30], v26, v[30:31]
	v_sub_u32_e32 v23, 29, v23
	v_and_b32_e32 v26, 7, v29
	v_cndmask_b32_e32 v22, v22, v23, vcc
	v_cndmask_b32_e32 v17, v17, v26, vcc
	v_lshlrev_b32_e32 v23, 8, v13
	v_lshlrev_b32_e32 v17, 20, v17
	v_and_b32_e32 v23, 0x80000000, v23
	v_lshl_add_u32 v22, v22, 23, v5
	v_or3_b32 v17, v23, v22, v17
.LBB4_10548:                            ;   in Loop: Header=BB4_9658 Depth=3
	s_or_b64 exec, exec, s[34:35]
.LBB4_10549:                            ;   in Loop: Header=BB4_9658 Depth=3
	s_or_b64 exec, exec, s[30:31]
.LBB4_10550:                            ;   in Loop: Header=BB4_9658 Depth=3
	s_or_b64 exec, exec, s[28:29]
	v_add_f32_e32 v29, v28, v17
	v_and_b32_e32 v30, 0x7f800000, v29
	v_mov_b32_e32 v31, v3
	v_cmp_ne_u64_e32 vcc, s[62:63], v[30:31]
                                        ; implicit-def: $vgpr17
	s_and_saveexec_b64 s[28:29], vcc
	s_xor_b64 s[30:31], exec, s[28:29]
	s_cbranch_execz .LBB4_10564
; %bb.10551:                            ;   in Loop: Header=BB4_9658 Depth=3
	v_and_b32_e32 v30, 0x7fffffff, v29
	v_mov_b32_e32 v31, v3
	v_cmp_gt_u64_e32 vcc, s[72:73], v[30:31]
	v_and_b32_sdwa v28, v29, s70 dst_sel:DWORD dst_unused:UNUSED_PAD src0_sel:BYTE_3 src1_sel:DWORD
                                        ; implicit-def: $vgpr17
	s_and_saveexec_b64 s[28:29], vcc
	s_xor_b64 s[34:35], exec, s[28:29]
	s_cbranch_execz .LBB4_10561
; %bb.10552:                            ;   in Loop: Header=BB4_9658 Depth=3
	v_mov_b32_e32 v17, 0
	v_cmp_ne_u32_e32 vcc, 0, v29
	s_and_saveexec_b64 s[36:37], vcc
	s_cbranch_execz .LBB4_10560
; %bb.10553:                            ;   in Loop: Header=BB4_9658 Depth=3
	v_bfe_u32 v17, v29, 23, 8
	v_cmp_gt_u32_e64 s[28:29], s71, v17
	v_sub_u32_e32 v23, 0x79, v17
	v_and_b32_e32 v22, 0x7fffff, v29
	v_cmp_eq_u32_e32 vcc, 0, v17
	v_cndmask_b32_e64 v23, 0, v23, s[28:29]
	v_mov_b32_e32 v27, 0x78
	v_or_b32_e32 v26, 0x800000, v22
	v_cndmask_b32_e32 v29, v23, v27, vcc
	v_cndmask_b32_e32 v30, v26, v22, vcc
	v_add_u32_e32 v22, 20, v29
	v_lshlrev_b64 v[55:56], v22, -1
	v_add_u32_e32 v22, 19, v29
	v_lshlrev_b64 v[26:27], v22, 1
	v_mov_b32_e32 v31, v3
	v_bfi_b32 v56, v56, 0, 0
	v_bfi_b32 v55, v55, 0, v30
	v_cmp_eq_u64_e64 s[28:29], v[55:56], v[26:27]
	v_lshrrev_b64 v[55:56], v29, v[30:31]
	v_mov_b32_e32 v37, v57
	v_mov_b32_e32 v57, v56
	;; [unrolled: 1-line block ×3, first 2 shown]
	s_and_saveexec_b64 s[38:39], s[28:29]
; %bb.10554:                            ;   in Loop: Header=BB4_9658 Depth=3
	v_bfe_u32 v22, v55, 20, 1
	v_add_co_u32_e64 v22, s[28:29], v55, v22
	v_add_co_u32_e64 v56, s[28:29], -1, v22
; %bb.10555:                            ;   in Loop: Header=BB4_9658 Depth=3
	s_or_b64 exec, exec, s[38:39]
	v_add_u32_e32 v17, 0xffffff81, v17
	v_mov_b32_e32 v22, 0xffffff82
	v_cndmask_b32_e32 v17, v17, v22, vcc
	v_lshrrev_b32_e32 v22, 23, v55
	v_add3_u32 v30, v29, v17, v22
	v_add_u32_e32 v29, 6, v30
	v_and_b32_e32 v17, 0xfffff, v56
	v_add_u32_e32 v55, v17, v55
	v_mov_b32_e32 v56, v3
	v_cmp_ne_u32_e32 vcc, 0, v29
                                        ; implicit-def: $vgpr17
	s_and_saveexec_b64 s[28:29], vcc
	s_xor_b64 s[28:29], exec, s[28:29]
; %bb.10556:                            ;   in Loop: Header=BB4_9658 Depth=3
	v_cmp_lt_u64_e32 vcc, s[74:75], v[55:56]
	v_add_u32_e32 v17, 7, v30
	v_cndmask_b32_e64 v22, 0, 1, vcc
	v_cndmask_b32_e32 v17, v29, v17, vcc
	v_lshrrev_b64 v[55:56], v22, v[55:56]
; %bb.10557:                            ;   in Loop: Header=BB4_9658 Depth=3
	s_or_saveexec_b64 s[28:29], s[28:29]
	v_mov_b32_e32 v57, v37
	s_xor_b64 exec, exec, s[28:29]
; %bb.10558:                            ;   in Loop: Header=BB4_9658 Depth=3
	v_bfe_u32 v17, v55, 23, 1
; %bb.10559:                            ;   in Loop: Header=BB4_9658 Depth=3
	s_or_b64 exec, exec, s[28:29]
	v_lshrrev_b64 v[26:27], 20, v[55:56]
	v_cmp_gt_i32_e32 vcc, 16, v17
	v_cndmask_b32_e32 v27, 0, v27, vcc
	v_cndmask_b32_e32 v26, 7, v26, vcc
	v_cmp_eq_u32_e32 vcc, 0, v17
	v_min_i32_e32 v17, 15, v17
	v_cmp_eq_u64_e64 s[28:29], 0, v[26:27]
	v_lshlrev_b32_e32 v17, 3, v17
	v_and_b32_e32 v17, 0xf8, v17
	v_and_or_b32 v17, v26, 7, v17
	s_and_b64 s[28:29], vcc, s[28:29]
	v_cndmask_b32_e64 v17, v17, 0, s[28:29]
	v_or_b32_e32 v17, v17, v28
.LBB4_10560:                            ;   in Loop: Header=BB4_9658 Depth=3
	s_or_b64 exec, exec, s[36:37]
                                        ; implicit-def: $vgpr28
.LBB4_10561:                            ;   in Loop: Header=BB4_9658 Depth=3
	s_andn2_saveexec_b64 s[28:29], s[34:35]
; %bb.10562:                            ;   in Loop: Header=BB4_9658 Depth=3
	v_or_b32_e32 v17, 0x7e, v28
; %bb.10563:                            ;   in Loop: Header=BB4_9658 Depth=3
	s_or_b64 exec, exec, s[28:29]
                                        ; implicit-def: $vgpr29
.LBB4_10564:                            ;   in Loop: Header=BB4_9658 Depth=3
	s_andn2_saveexec_b64 s[28:29], s[30:31]
; %bb.10565:                            ;   in Loop: Header=BB4_9658 Depth=3
	v_or_b32_sdwa v17, v29, s68 dst_sel:DWORD dst_unused:UNUSED_PAD src0_sel:BYTE_3 src1_sel:DWORD
; %bb.10566:                            ;   in Loop: Header=BB4_9658 Depth=3
	s_or_b64 exec, exec, s[28:29]
	v_cmp_lt_u32_e32 vcc, s57, v2
	v_mov_b32_e32 v28, 0
	v_mov_b32_e32 v29, 0
	s_and_saveexec_b64 s[28:29], vcc
	s_cbranch_execz .LBB4_10572
; %bb.10567:                            ;   in Loop: Header=BB4_9658 Depth=3
	v_lshrrev_b32_e32 v30, 24, v2
	v_cmp_ne_u32_sdwa vcc, v2, s70 src0_sel:BYTE_3 src1_sel:DWORD
	v_bfrev_b32_e32 v29, 1
	s_and_saveexec_b64 s[30:31], vcc
	s_cbranch_execz .LBB4_10571
; %bb.10568:                            ;   in Loop: Header=BB4_9658 Depth=3
	v_bfe_u32 v37, v2, 24, 7
	v_cmp_ne_u32_e32 vcc, s68, v37
	v_mov_b32_e32 v29, 0x7f800001
	s_and_saveexec_b64 s[34:35], vcc
	s_cbranch_execz .LBB4_10570
; %bb.10569:                            ;   in Loop: Header=BB4_9658 Depth=3
	v_and_b32_e32 v22, 7, v30
	v_ffbh_u32_e32 v26, v22
	v_min_u32_e32 v29, 32, v26
	v_subrev_u32_e32 v26, 28, v29
	v_lshlrev_b64 v[26:27], v26, v[30:31]
	v_cmp_gt_u32_e32 vcc, 8, v37
	v_and_b32_e32 v26, 7, v26
	v_lshrrev_b32_e32 v23, 3, v37
	v_sub_u32_e32 v27, 29, v29
	v_cndmask_b32_e32 v22, v22, v26, vcc
	v_mov_b32_e32 v26, 24
	v_cndmask_b32_e32 v23, v23, v27, vcc
	v_lshlrev_b32_sdwa v2, v26, v2 dst_sel:DWORD dst_unused:UNUSED_PAD src0_sel:DWORD src1_sel:BYTE_3
	v_lshlrev_b32_e32 v22, 20, v22
	v_and_b32_e32 v2, 0x80000000, v2
	v_lshl_add_u32 v23, v23, 23, v5
	v_or3_b32 v29, v2, v23, v22
.LBB4_10570:                            ;   in Loop: Header=BB4_9658 Depth=3
	s_or_b64 exec, exec, s[34:35]
.LBB4_10571:                            ;   in Loop: Header=BB4_9658 Depth=3
	s_or_b64 exec, exec, s[30:31]
.LBB4_10572:                            ;   in Loop: Header=BB4_9658 Depth=3
	s_or_b64 exec, exec, s[28:29]
	v_cmp_lt_u64_e32 vcc, s[56:57], v[12:13]
	s_and_saveexec_b64 s[28:29], vcc
	s_cbranch_execz .LBB4_10578
; %bb.10573:                            ;   in Loop: Header=BB4_9658 Depth=3
	v_lshrrev_b32_e32 v2, 24, v13
	v_cmp_ne_u32_e32 vcc, s70, v2
	v_bfrev_b32_e32 v28, 1
	s_and_saveexec_b64 s[30:31], vcc
	s_cbranch_execz .LBB4_10577
; %bb.10574:                            ;   in Loop: Header=BB4_9658 Depth=3
	v_bfe_u32 v12, v13, 24, 7
	v_cmp_ne_u32_e32 vcc, s68, v12
	v_mov_b32_e32 v28, 0x7f800001
	s_and_saveexec_b64 s[34:35], vcc
	s_cbranch_execz .LBB4_10576
; %bb.10575:                            ;   in Loop: Header=BB4_9658 Depth=3
	v_and_b32_e32 v22, 7, v2
	v_lshrrev_b32_e32 v23, 3, v12
	v_cmp_gt_u32_e32 vcc, 8, v12
	v_ffbh_u32_e32 v12, v22
	v_min_u32_e32 v26, 32, v12
	v_subrev_u32_e32 v12, 28, v26
	v_lshlrev_b64 v[12:13], v12, v[2:3]
	v_sub_u32_e32 v13, 29, v26
	v_and_b32_e32 v12, 7, v12
	v_cndmask_b32_e32 v13, v23, v13, vcc
	v_cndmask_b32_e32 v12, v22, v12, vcc
	v_lshlrev_b32_e32 v2, 24, v2
	v_lshlrev_b32_e32 v12, 20, v12
	v_and_b32_e32 v2, 0x80000000, v2
	v_lshl_add_u32 v13, v13, 23, v5
	v_or3_b32 v28, v2, v13, v12
.LBB4_10576:                            ;   in Loop: Header=BB4_9658 Depth=3
	s_or_b64 exec, exec, s[34:35]
.LBB4_10577:                            ;   in Loop: Header=BB4_9658 Depth=3
	s_or_b64 exec, exec, s[30:31]
.LBB4_10578:                            ;   in Loop: Header=BB4_9658 Depth=3
	s_or_b64 exec, exec, s[28:29]
	v_add_f32_e32 v12, v29, v28
	v_and_b32_e32 v2, 0x7f800000, v12
	v_cmp_ne_u64_e32 vcc, s[62:63], v[2:3]
                                        ; implicit-def: $vgpr30
	s_and_saveexec_b64 s[28:29], vcc
	s_xor_b64 s[30:31], exec, s[28:29]
	s_cbranch_execz .LBB4_10592
; %bb.10579:                            ;   in Loop: Header=BB4_9658 Depth=3
	v_and_b32_e32 v2, 0x7fffffff, v12
	v_cmp_gt_u64_e32 vcc, s[72:73], v[2:3]
	v_and_b32_sdwa v28, v12, s70 dst_sel:DWORD dst_unused:UNUSED_PAD src0_sel:BYTE_3 src1_sel:DWORD
                                        ; implicit-def: $vgpr30
	s_and_saveexec_b64 s[28:29], vcc
	s_xor_b64 s[34:35], exec, s[28:29]
	s_cbranch_execz .LBB4_10589
; %bb.10580:                            ;   in Loop: Header=BB4_9658 Depth=3
	v_mov_b32_e32 v30, 0
	v_cmp_ne_u32_e32 vcc, 0, v12
	s_and_saveexec_b64 s[36:37], vcc
	s_cbranch_execz .LBB4_10588
; %bb.10581:                            ;   in Loop: Header=BB4_9658 Depth=3
	v_bfe_u32 v29, v12, 23, 8
	v_and_b32_e32 v2, 0x7fffff, v12
	v_cmp_gt_u32_e64 s[28:29], s71, v29
	v_sub_u32_e32 v12, 0x79, v29
	v_cmp_eq_u32_e32 vcc, 0, v29
	v_cndmask_b32_e64 v12, 0, v12, s[28:29]
	v_mov_b32_e32 v22, 0x78
	v_cndmask_b32_e32 v30, v12, v22, vcc
	v_or_b32_e32 v13, 0x800000, v2
	v_add_u32_e32 v12, 20, v30
	v_cndmask_b32_e32 v2, v13, v2, vcc
	v_lshlrev_b64 v[12:13], v12, -1
	v_add_u32_e32 v22, 19, v30
	v_lshlrev_b64 v[26:27], v22, 1
	v_bfi_b32 v13, v13, 0, 0
	v_bfi_b32 v12, v12, 0, v2
	v_cmp_eq_u64_e64 s[28:29], v[12:13], v[26:27]
	v_lshrrev_b64 v[12:13], v30, v[2:3]
	v_mov_b32_e32 v56, v13
	v_mov_b32_e32 v55, v12
	s_and_saveexec_b64 s[38:39], s[28:29]
; %bb.10582:                            ;   in Loop: Header=BB4_9658 Depth=3
	v_bfe_u32 v2, v12, 20, 1
	v_add_co_u32_e64 v2, s[28:29], v12, v2
	v_add_co_u32_e64 v55, s[28:29], -1, v2
; %bb.10583:                            ;   in Loop: Header=BB4_9658 Depth=3
	s_or_b64 exec, exec, s[38:39]
	v_add_u32_e32 v2, 0xffffff81, v29
	v_mov_b32_e32 v13, 0xffffff82
	v_cndmask_b32_e32 v2, v2, v13, vcc
	v_lshrrev_b32_e32 v13, 23, v12
	v_add3_u32 v37, v30, v2, v13
	v_add_u32_e32 v30, 6, v37
	v_and_b32_e32 v2, 0xfffff, v55
	v_add_u32_e32 v2, v2, v12
	v_cmp_ne_u32_e32 vcc, 0, v30
                                        ; implicit-def: $vgpr12_vgpr13
                                        ; implicit-def: $vgpr29
	s_and_saveexec_b64 s[28:29], vcc
	s_xor_b64 s[28:29], exec, s[28:29]
; %bb.10584:                            ;   in Loop: Header=BB4_9658 Depth=3
	v_cmp_lt_u64_e32 vcc, s[74:75], v[2:3]
	v_add_u32_e32 v12, 7, v37
	v_cndmask_b32_e32 v29, v30, v12, vcc
	v_cndmask_b32_e64 v12, 0, 1, vcc
	v_lshrrev_b64 v[12:13], v12, v[2:3]
; %bb.10585:                            ;   in Loop: Header=BB4_9658 Depth=3
	s_andn2_saveexec_b64 s[28:29], s[28:29]
; %bb.10586:                            ;   in Loop: Header=BB4_9658 Depth=3
	v_mov_b32_e32 v13, v3
	v_bfe_u32 v29, v2, 23, 1
	v_mov_b32_e32 v12, v2
; %bb.10587:                            ;   in Loop: Header=BB4_9658 Depth=3
	s_or_b64 exec, exec, s[28:29]
	v_lshrrev_b64 v[12:13], 20, v[12:13]
	v_cmp_gt_i32_e32 vcc, 16, v29
	v_cndmask_b32_e32 v13, 0, v13, vcc
	v_cndmask_b32_e32 v12, 7, v12, vcc
	v_min_i32_e32 v2, 15, v29
	v_cmp_eq_u64_e64 s[28:29], 0, v[12:13]
	v_lshlrev_b32_e32 v2, 3, v2
	v_cmp_eq_u32_e32 vcc, 0, v29
	v_and_b32_e32 v2, 0xf8, v2
	v_and_or_b32 v2, v12, 7, v2
	s_and_b64 s[28:29], vcc, s[28:29]
	v_cndmask_b32_e64 v2, v2, 0, s[28:29]
	v_or_b32_e32 v30, v2, v28
.LBB4_10588:                            ;   in Loop: Header=BB4_9658 Depth=3
	s_or_b64 exec, exec, s[36:37]
                                        ; implicit-def: $vgpr28
.LBB4_10589:                            ;   in Loop: Header=BB4_9658 Depth=3
	s_andn2_saveexec_b64 s[28:29], s[34:35]
; %bb.10590:                            ;   in Loop: Header=BB4_9658 Depth=3
	v_or_b32_e32 v30, 0x7e, v28
; %bb.10591:                            ;   in Loop: Header=BB4_9658 Depth=3
	s_or_b64 exec, exec, s[28:29]
                                        ; implicit-def: $vgpr12
.LBB4_10592:                            ;   in Loop: Header=BB4_9658 Depth=3
	s_andn2_saveexec_b64 s[28:29], s[30:31]
; %bb.10593:                            ;   in Loop: Header=BB4_9658 Depth=3
	v_or_b32_sdwa v30, v12, s68 dst_sel:DWORD dst_unused:UNUSED_PAD src0_sel:BYTE_3 src1_sel:DWORD
; %bb.10594:                            ;   in Loop: Header=BB4_9658 Depth=3
	s_or_b64 exec, exec, s[28:29]
	v_lshl_or_b32 v29, v51, 8, v54
	v_lshlrev_b32_e32 v2, 16, v38
	v_lshlrev_b32_e32 v12, 24, v36
	v_or3_b32 v2, v2, v12, v29
	v_cmp_ne_u32_e32 vcc, 0, v54
	v_mov_b32_e32 v12, 0
	v_mov_b32_e32 v13, 0
	s_and_saveexec_b64 s[28:29], vcc
	s_cbranch_execz .LBB4_10600
; %bb.10595:                            ;   in Loop: Header=BB4_9658 Depth=3
	v_cmp_ne_u32_e32 vcc, s70, v54
	v_bfrev_b32_e32 v13, 1
	s_and_saveexec_b64 s[30:31], vcc
	s_cbranch_execz .LBB4_10599
; %bb.10596:                            ;   in Loop: Header=BB4_9658 Depth=3
	v_and_b32_e32 v28, 0x7f, v54
	v_cmp_ne_u32_e32 vcc, s68, v28
	v_mov_b32_e32 v13, 0x7f800001
	s_and_saveexec_b64 s[34:35], vcc
	s_cbranch_execz .LBB4_10598
; %bb.10597:                            ;   in Loop: Header=BB4_9658 Depth=3
	v_and_b32_e32 v13, 7, v54
	v_ffbh_u32_e32 v13, v13
	v_min_u32_e32 v13, 32, v13
	v_lshrrev_b32_e32 v22, 3, v28
	v_cmp_gt_u32_e32 vcc, 8, v28
	v_subrev_u32_e32 v23, 28, v13
	v_sub_u32_e32 v13, 29, v13
	v_cndmask_b32_e32 v13, v22, v13, vcc
	v_cndmask_b32_e32 v22, 0, v23, vcc
	v_lshlrev_b64 v[26:27], v22, v[2:3]
	v_lshlrev_b32_e32 v23, 24, v2
	v_lshlrev_b32_e32 v22, 20, v26
	v_and_b32_e32 v22, 0x700000, v22
	v_and_b32_e32 v23, 0x80000000, v23
	v_lshl_add_u32 v13, v13, 23, v5
	v_or3_b32 v13, v23, v13, v22
.LBB4_10598:                            ;   in Loop: Header=BB4_9658 Depth=3
	s_or_b64 exec, exec, s[34:35]
.LBB4_10599:                            ;   in Loop: Header=BB4_9658 Depth=3
	s_or_b64 exec, exec, s[30:31]
.LBB4_10600:                            ;   in Loop: Header=BB4_9658 Depth=3
	s_or_b64 exec, exec, s[28:29]
	v_cmp_ne_u16_sdwa vcc, v14, v3 src0_sel:BYTE_0 src1_sel:DWORD
	s_and_saveexec_b64 s[28:29], vcc
	s_cbranch_execz .LBB4_10606
; %bb.10601:                            ;   in Loop: Header=BB4_9658 Depth=3
	v_cmp_ne_u16_sdwa vcc, v14, s70 src0_sel:BYTE_0 src1_sel:DWORD
	v_bfrev_b32_e32 v12, 1
	s_and_saveexec_b64 s[30:31], vcc
	s_cbranch_execz .LBB4_10605
; %bb.10602:                            ;   in Loop: Header=BB4_9658 Depth=3
	v_and_b32_e32 v28, 0x7f, v14
	v_cmp_ne_u32_e32 vcc, s68, v28
	v_mov_b32_e32 v12, 0x7f800001
	s_and_saveexec_b64 s[34:35], vcc
	s_cbranch_execz .LBB4_10604
; %bb.10603:                            ;   in Loop: Header=BB4_9658 Depth=3
	v_and_b32_e32 v12, 7, v14
	v_ffbh_u32_e32 v12, v12
	v_min_u32_e32 v12, 32, v12
	v_lshrrev_b32_e32 v22, 3, v28
	v_cmp_gt_u32_e32 vcc, 8, v28
	v_subrev_u32_e32 v23, 28, v12
	v_sub_u32_e32 v12, 29, v12
	v_cndmask_b32_e32 v12, v22, v12, vcc
	v_cndmask_b32_e32 v22, 0, v23, vcc
	v_lshlrev_b64 v[26:27], v22, v[14:15]
	v_lshlrev_b32_e32 v23, 24, v14
	v_lshlrev_b32_e32 v22, 20, v26
	v_and_b32_e32 v22, 0x700000, v22
	v_and_b32_e32 v23, 0x80000000, v23
	v_lshl_add_u32 v12, v12, 23, v5
	v_or3_b32 v12, v23, v12, v22
.LBB4_10604:                            ;   in Loop: Header=BB4_9658 Depth=3
	s_or_b64 exec, exec, s[34:35]
.LBB4_10605:                            ;   in Loop: Header=BB4_9658 Depth=3
	s_or_b64 exec, exec, s[30:31]
.LBB4_10606:                            ;   in Loop: Header=BB4_9658 Depth=3
	s_or_b64 exec, exec, s[28:29]
	v_add_f32_e32 v12, v13, v12
	v_and_b32_e32 v26, 0x7f800000, v12
	v_mov_b32_e32 v27, v3
	v_cmp_ne_u64_e32 vcc, s[62:63], v[26:27]
                                        ; implicit-def: $vgpr28
	s_and_saveexec_b64 s[28:29], vcc
	s_xor_b64 s[30:31], exec, s[28:29]
	s_cbranch_execz .LBB4_10620
; %bb.10607:                            ;   in Loop: Header=BB4_9658 Depth=3
	v_and_b32_e32 v26, 0x7fffffff, v12
	v_mov_b32_e32 v27, v3
	v_cmp_gt_u64_e32 vcc, s[72:73], v[26:27]
	v_and_b32_sdwa v36, v12, s70 dst_sel:DWORD dst_unused:UNUSED_PAD src0_sel:BYTE_3 src1_sel:DWORD
                                        ; implicit-def: $vgpr28
	s_and_saveexec_b64 s[28:29], vcc
	s_xor_b64 s[34:35], exec, s[28:29]
	s_cbranch_execz .LBB4_10617
; %bb.10608:                            ;   in Loop: Header=BB4_9658 Depth=3
	v_mov_b32_e32 v28, 0
	v_cmp_ne_u32_e32 vcc, 0, v12
	s_and_saveexec_b64 s[36:37], vcc
	s_cbranch_execz .LBB4_10616
; %bb.10609:                            ;   in Loop: Header=BB4_9658 Depth=3
	v_bfe_u32 v28, v12, 23, 8
	v_and_b32_e32 v13, 0x7fffff, v12
	v_cmp_gt_u32_e64 s[28:29], s71, v28
	v_sub_u32_e32 v12, 0x79, v28
	v_cmp_eq_u32_e32 vcc, 0, v28
	v_cndmask_b32_e64 v12, 0, v12, s[28:29]
	v_mov_b32_e32 v23, 0x78
	v_or_b32_e32 v22, 0x800000, v13
	v_cndmask_b32_e32 v37, v12, v23, vcc
	v_cndmask_b32_e32 v12, v22, v13, vcc
	v_add_u32_e32 v22, 20, v37
	v_lshlrev_b64 v[26:27], v22, -1
	v_mov_b32_e32 v13, v3
	v_add_u32_e32 v22, 19, v37
	v_bfi_b32 v26, v26, 0, v12
	v_lshlrev_b64 v[38:39], v22, 1
	v_lshrrev_b64 v[12:13], v37, v[12:13]
	v_bfi_b32 v27, v27, 0, 0
	v_cmp_eq_u64_e64 s[28:29], v[26:27], v[38:39]
	v_mov_b32_e32 v56, v13
	v_mov_b32_e32 v55, v12
	s_and_saveexec_b64 s[38:39], s[28:29]
; %bb.10610:                            ;   in Loop: Header=BB4_9658 Depth=3
	v_bfe_u32 v13, v12, 20, 1
	v_add_co_u32_e64 v13, s[28:29], v12, v13
	v_add_co_u32_e64 v55, s[28:29], -1, v13
; %bb.10611:                            ;   in Loop: Header=BB4_9658 Depth=3
	s_or_b64 exec, exec, s[38:39]
	v_add_u32_e32 v13, 0xffffff81, v28
	v_mov_b32_e32 v22, 0xffffff82
	v_cndmask_b32_e32 v13, v13, v22, vcc
	v_lshrrev_b32_e32 v22, 23, v12
	v_add3_u32 v38, v37, v13, v22
	v_add_u32_e32 v37, 6, v38
	v_and_b32_e32 v13, 0xfffff, v55
	v_add_u32_e32 v12, v13, v12
	v_mov_b32_e32 v13, v3
	v_cmp_ne_u32_e32 vcc, 0, v37
                                        ; implicit-def: $vgpr28
	s_and_saveexec_b64 s[28:29], vcc
	s_xor_b64 s[28:29], exec, s[28:29]
; %bb.10612:                            ;   in Loop: Header=BB4_9658 Depth=3
	v_cmp_lt_u64_e32 vcc, s[74:75], v[12:13]
	v_add_u32_e32 v22, 7, v38
	v_cndmask_b32_e32 v28, v37, v22, vcc
	v_cndmask_b32_e64 v22, 0, 1, vcc
	v_lshrrev_b64 v[12:13], v22, v[12:13]
; %bb.10613:                            ;   in Loop: Header=BB4_9658 Depth=3
	s_andn2_saveexec_b64 s[28:29], s[28:29]
; %bb.10614:                            ;   in Loop: Header=BB4_9658 Depth=3
	v_bfe_u32 v28, v12, 23, 1
; %bb.10615:                            ;   in Loop: Header=BB4_9658 Depth=3
	s_or_b64 exec, exec, s[28:29]
	v_lshrrev_b64 v[12:13], 20, v[12:13]
	v_cmp_gt_i32_e32 vcc, 16, v28
	v_cndmask_b32_e32 v13, 0, v13, vcc
	v_cndmask_b32_e32 v12, 7, v12, vcc
	v_cmp_eq_u64_e64 s[28:29], 0, v[12:13]
	v_min_i32_e32 v13, 15, v28
	v_lshlrev_b32_e32 v13, 3, v13
	v_cmp_eq_u32_e32 vcc, 0, v28
	v_and_b32_e32 v13, 0xf8, v13
	v_and_or_b32 v12, v12, 7, v13
	s_and_b64 s[28:29], vcc, s[28:29]
	v_cndmask_b32_e64 v12, v12, 0, s[28:29]
	v_or_b32_e32 v28, v12, v36
.LBB4_10616:                            ;   in Loop: Header=BB4_9658 Depth=3
	s_or_b64 exec, exec, s[36:37]
                                        ; implicit-def: $vgpr36
.LBB4_10617:                            ;   in Loop: Header=BB4_9658 Depth=3
	s_andn2_saveexec_b64 s[28:29], s[34:35]
; %bb.10618:                            ;   in Loop: Header=BB4_9658 Depth=3
	v_or_b32_e32 v28, 0x7e, v36
; %bb.10619:                            ;   in Loop: Header=BB4_9658 Depth=3
	s_or_b64 exec, exec, s[28:29]
                                        ; implicit-def: $vgpr12
.LBB4_10620:                            ;   in Loop: Header=BB4_9658 Depth=3
	s_andn2_saveexec_b64 s[28:29], s[30:31]
; %bb.10621:                            ;   in Loop: Header=BB4_9658 Depth=3
	v_or_b32_sdwa v28, v12, s68 dst_sel:DWORD dst_unused:UNUSED_PAD src0_sel:BYTE_3 src1_sel:DWORD
; %bb.10622:                            ;   in Loop: Header=BB4_9658 Depth=3
	s_or_b64 exec, exec, s[28:29]
	v_lshrrev_b16_e32 v12, 8, v29
	v_cmp_ne_u16_e32 vcc, 0, v12
	v_mov_b32_e32 v13, 0
	v_mov_b32_e32 v36, 0
	s_and_saveexec_b64 s[28:29], vcc
	s_cbranch_execz .LBB4_10628
; %bb.10623:                            ;   in Loop: Header=BB4_9658 Depth=3
	v_cmp_ne_u16_e32 vcc, s70, v12
	v_bfrev_b32_e32 v36, 1
	s_and_saveexec_b64 s[30:31], vcc
	s_cbranch_execz .LBB4_10627
; %bb.10624:                            ;   in Loop: Header=BB4_9658 Depth=3
	v_and_b32_e32 v37, 0x7f, v12
	v_cmp_ne_u32_e32 vcc, s68, v37
	v_mov_b32_e32 v36, 0x7f800001
	s_and_saveexec_b64 s[34:35], vcc
	s_cbranch_execz .LBB4_10626
; %bb.10625:                            ;   in Loop: Header=BB4_9658 Depth=3
	v_and_b32_e32 v22, 7, v12
	v_ffbh_u32_e32 v26, v22
	v_min_u32_e32 v31, 32, v26
	v_subrev_u32_e32 v26, 28, v31
	v_lshlrev_b64 v[26:27], v26, v[12:13]
	v_lshrrev_b32_e32 v23, 3, v37
	v_cmp_gt_u32_e32 vcc, 8, v37
	v_sub_u32_e32 v12, 29, v31
	v_and_b32_e32 v26, 7, v26
	v_cndmask_b32_e32 v12, v23, v12, vcc
	v_cndmask_b32_e32 v22, v22, v26, vcc
	v_lshlrev_b32_e32 v23, 16, v29
	v_lshlrev_b32_e32 v22, 20, v22
	v_and_b32_e32 v23, 0x80000000, v23
	v_lshl_add_u32 v12, v12, 23, v5
	v_or3_b32 v36, v23, v12, v22
.LBB4_10626:                            ;   in Loop: Header=BB4_9658 Depth=3
	s_or_b64 exec, exec, s[34:35]
.LBB4_10627:                            ;   in Loop: Header=BB4_9658 Depth=3
	s_or_b64 exec, exec, s[30:31]
.LBB4_10628:                            ;   in Loop: Header=BB4_9658 Depth=3
	s_or_b64 exec, exec, s[28:29]
	v_lshrrev_b16_e32 v12, 8, v14
	v_cmp_ne_u16_e32 vcc, 0, v12
	s_and_saveexec_b64 s[28:29], vcc
	s_cbranch_execz .LBB4_10634
; %bb.10629:                            ;   in Loop: Header=BB4_9658 Depth=3
	v_cmp_ne_u16_e32 vcc, s70, v12
	v_bfrev_b32_e32 v13, 1
	s_and_saveexec_b64 s[30:31], vcc
	s_cbranch_execz .LBB4_10633
; %bb.10630:                            ;   in Loop: Header=BB4_9658 Depth=3
	v_and_b32_e32 v29, 0x7f, v12
	v_cmp_ne_u32_e32 vcc, s68, v29
	v_mov_b32_e32 v13, 0x7f800001
	s_and_saveexec_b64 s[34:35], vcc
	s_cbranch_execz .LBB4_10632
; %bb.10631:                            ;   in Loop: Header=BB4_9658 Depth=3
	v_and_b32_e32 v22, 7, v12
	v_ffbh_u32_e32 v13, v22
	v_min_u32_e32 v26, 32, v13
	v_subrev_u32_e32 v13, 28, v26
	v_lshlrev_b64 v[12:13], v13, v[12:13]
	v_lshrrev_b32_e32 v23, 3, v29
	v_cmp_gt_u32_e32 vcc, 8, v29
	v_sub_u32_e32 v13, 29, v26
	v_and_b32_e32 v12, 7, v12
	v_cndmask_b32_e32 v13, v23, v13, vcc
	v_cndmask_b32_e32 v12, v22, v12, vcc
	v_lshlrev_b32_e32 v22, 16, v14
	v_lshlrev_b32_e32 v12, 20, v12
	v_and_b32_e32 v22, 0x80000000, v22
	v_lshl_add_u32 v13, v13, 23, v5
	v_or3_b32 v13, v22, v13, v12
.LBB4_10632:                            ;   in Loop: Header=BB4_9658 Depth=3
	s_or_b64 exec, exec, s[34:35]
.LBB4_10633:                            ;   in Loop: Header=BB4_9658 Depth=3
	s_or_b64 exec, exec, s[30:31]
.LBB4_10634:                            ;   in Loop: Header=BB4_9658 Depth=3
	s_or_b64 exec, exec, s[28:29]
	v_add_f32_e32 v12, v36, v13
	v_and_b32_e32 v26, 0x7f800000, v12
	v_mov_b32_e32 v27, v3
	v_cmp_ne_u64_e32 vcc, s[62:63], v[26:27]
                                        ; implicit-def: $vgpr29
	s_and_saveexec_b64 s[28:29], vcc
	s_xor_b64 s[30:31], exec, s[28:29]
	s_cbranch_execz .LBB4_10648
; %bb.10635:                            ;   in Loop: Header=BB4_9658 Depth=3
	v_and_b32_e32 v26, 0x7fffffff, v12
	v_mov_b32_e32 v27, v3
	v_cmp_gt_u64_e32 vcc, s[72:73], v[26:27]
	v_and_b32_sdwa v36, v12, s70 dst_sel:DWORD dst_unused:UNUSED_PAD src0_sel:BYTE_3 src1_sel:DWORD
                                        ; implicit-def: $vgpr29
	s_and_saveexec_b64 s[28:29], vcc
	s_xor_b64 s[34:35], exec, s[28:29]
	s_cbranch_execz .LBB4_10645
; %bb.10636:                            ;   in Loop: Header=BB4_9658 Depth=3
	v_mov_b32_e32 v29, 0
	v_cmp_ne_u32_e32 vcc, 0, v12
	s_and_saveexec_b64 s[36:37], vcc
	s_cbranch_execz .LBB4_10644
; %bb.10637:                            ;   in Loop: Header=BB4_9658 Depth=3
	v_bfe_u32 v29, v12, 23, 8
	v_and_b32_e32 v13, 0x7fffff, v12
	v_cmp_gt_u32_e64 s[28:29], s71, v29
	v_sub_u32_e32 v12, 0x79, v29
	v_cmp_eq_u32_e32 vcc, 0, v29
	v_cndmask_b32_e64 v12, 0, v12, s[28:29]
	v_mov_b32_e32 v23, 0x78
	v_or_b32_e32 v22, 0x800000, v13
	v_cndmask_b32_e32 v37, v12, v23, vcc
	v_cndmask_b32_e32 v12, v22, v13, vcc
	v_add_u32_e32 v22, 20, v37
	v_lshlrev_b64 v[26:27], v22, -1
	v_mov_b32_e32 v13, v3
	v_add_u32_e32 v22, 19, v37
	v_bfi_b32 v26, v26, 0, v12
	v_lshlrev_b64 v[38:39], v22, 1
	v_lshrrev_b64 v[12:13], v37, v[12:13]
	v_bfi_b32 v27, v27, 0, 0
	v_cmp_eq_u64_e64 s[28:29], v[26:27], v[38:39]
	v_mov_b32_e32 v56, v13
	v_mov_b32_e32 v55, v12
	s_and_saveexec_b64 s[38:39], s[28:29]
; %bb.10638:                            ;   in Loop: Header=BB4_9658 Depth=3
	v_bfe_u32 v13, v12, 20, 1
	v_add_co_u32_e64 v13, s[28:29], v12, v13
	v_add_co_u32_e64 v55, s[28:29], -1, v13
; %bb.10639:                            ;   in Loop: Header=BB4_9658 Depth=3
	s_or_b64 exec, exec, s[38:39]
	v_add_u32_e32 v13, 0xffffff81, v29
	v_mov_b32_e32 v22, 0xffffff82
	v_cndmask_b32_e32 v13, v13, v22, vcc
	v_lshrrev_b32_e32 v22, 23, v12
	v_add3_u32 v38, v37, v13, v22
	v_add_u32_e32 v37, 6, v38
	v_and_b32_e32 v13, 0xfffff, v55
	v_add_u32_e32 v12, v13, v12
	v_mov_b32_e32 v13, v3
	v_cmp_ne_u32_e32 vcc, 0, v37
                                        ; implicit-def: $vgpr29
	s_and_saveexec_b64 s[28:29], vcc
	s_xor_b64 s[28:29], exec, s[28:29]
; %bb.10640:                            ;   in Loop: Header=BB4_9658 Depth=3
	v_cmp_lt_u64_e32 vcc, s[74:75], v[12:13]
	v_add_u32_e32 v22, 7, v38
	v_cndmask_b32_e32 v29, v37, v22, vcc
	v_cndmask_b32_e64 v22, 0, 1, vcc
	v_lshrrev_b64 v[12:13], v22, v[12:13]
; %bb.10641:                            ;   in Loop: Header=BB4_9658 Depth=3
	s_andn2_saveexec_b64 s[28:29], s[28:29]
; %bb.10642:                            ;   in Loop: Header=BB4_9658 Depth=3
	v_bfe_u32 v29, v12, 23, 1
; %bb.10643:                            ;   in Loop: Header=BB4_9658 Depth=3
	s_or_b64 exec, exec, s[28:29]
	v_lshrrev_b64 v[12:13], 20, v[12:13]
	v_cmp_gt_i32_e32 vcc, 16, v29
	v_cndmask_b32_e32 v13, 0, v13, vcc
	v_cndmask_b32_e32 v12, 7, v12, vcc
	v_cmp_eq_u64_e64 s[28:29], 0, v[12:13]
	v_min_i32_e32 v13, 15, v29
	v_lshlrev_b32_e32 v13, 3, v13
	v_cmp_eq_u32_e32 vcc, 0, v29
	v_and_b32_e32 v13, 0xf8, v13
	v_and_or_b32 v12, v12, 7, v13
	s_and_b64 s[28:29], vcc, s[28:29]
	v_cndmask_b32_e64 v12, v12, 0, s[28:29]
	v_or_b32_e32 v29, v12, v36
.LBB4_10644:                            ;   in Loop: Header=BB4_9658 Depth=3
	s_or_b64 exec, exec, s[36:37]
                                        ; implicit-def: $vgpr36
.LBB4_10645:                            ;   in Loop: Header=BB4_9658 Depth=3
	s_andn2_saveexec_b64 s[28:29], s[34:35]
; %bb.10646:                            ;   in Loop: Header=BB4_9658 Depth=3
	v_or_b32_e32 v29, 0x7e, v36
; %bb.10647:                            ;   in Loop: Header=BB4_9658 Depth=3
	s_or_b64 exec, exec, s[28:29]
                                        ; implicit-def: $vgpr12
.LBB4_10648:                            ;   in Loop: Header=BB4_9658 Depth=3
	s_andn2_saveexec_b64 s[28:29], s[30:31]
; %bb.10649:                            ;   in Loop: Header=BB4_9658 Depth=3
	v_or_b32_sdwa v29, v12, s68 dst_sel:DWORD dst_unused:UNUSED_PAD src0_sel:BYTE_3 src1_sel:DWORD
; %bb.10650:                            ;   in Loop: Header=BB4_9658 Depth=3
	s_or_b64 exec, exec, s[28:29]
	v_lshrrev_b32_e32 v12, 16, v2
	v_cmp_ne_u16_sdwa vcc, v12, v3 src0_sel:BYTE_0 src1_sel:DWORD
	v_mov_b32_e32 v13, 0
	v_mov_b32_e32 v36, 0
	s_and_saveexec_b64 s[28:29], vcc
	s_cbranch_execz .LBB4_10656
; %bb.10651:                            ;   in Loop: Header=BB4_9658 Depth=3
	v_cmp_ne_u16_sdwa vcc, v12, s70 src0_sel:BYTE_0 src1_sel:DWORD
	v_bfrev_b32_e32 v36, 1
	s_and_saveexec_b64 s[30:31], vcc
	s_cbranch_execz .LBB4_10655
; %bb.10652:                            ;   in Loop: Header=BB4_9658 Depth=3
	v_bfe_u32 v37, v2, 16, 7
	v_cmp_ne_u32_e32 vcc, s68, v37
	v_mov_b32_e32 v36, 0x7f800001
	s_and_saveexec_b64 s[34:35], vcc
	s_cbranch_execz .LBB4_10654
; %bb.10653:                            ;   in Loop: Header=BB4_9658 Depth=3
	v_and_b32_e32 v22, 7, v12
	v_ffbh_u32_e32 v26, v22
	v_min_u32_e32 v31, 32, v26
	v_subrev_u32_e32 v26, 28, v31
	v_lshlrev_b64 v[26:27], v26, v[12:13]
	v_lshrrev_b32_e32 v23, 3, v37
	v_cmp_gt_u32_e32 vcc, 8, v37
	v_sub_u32_e32 v27, 29, v31
	v_and_b32_e32 v26, 7, v26
	v_cndmask_b32_e32 v23, v23, v27, vcc
	v_cndmask_b32_e32 v22, v22, v26, vcc
	v_lshlrev_b32_e32 v12, 24, v12
	v_lshlrev_b32_e32 v22, 20, v22
	v_and_b32_e32 v12, 0x80000000, v12
	v_lshl_add_u32 v23, v23, 23, v5
	v_or3_b32 v36, v12, v23, v22
.LBB4_10654:                            ;   in Loop: Header=BB4_9658 Depth=3
	s_or_b64 exec, exec, s[34:35]
.LBB4_10655:                            ;   in Loop: Header=BB4_9658 Depth=3
	s_or_b64 exec, exec, s[30:31]
.LBB4_10656:                            ;   in Loop: Header=BB4_9658 Depth=3
	s_or_b64 exec, exec, s[28:29]
	v_lshrrev_b32_e32 v12, 16, v14
	v_cmp_ne_u16_sdwa vcc, v12, v3 src0_sel:BYTE_0 src1_sel:DWORD
	s_and_saveexec_b64 s[28:29], vcc
	s_cbranch_execz .LBB4_10662
; %bb.10657:                            ;   in Loop: Header=BB4_9658 Depth=3
	v_cmp_ne_u16_sdwa vcc, v12, s70 src0_sel:BYTE_0 src1_sel:DWORD
	v_bfrev_b32_e32 v13, 1
	s_and_saveexec_b64 s[30:31], vcc
	s_cbranch_execz .LBB4_10661
; %bb.10658:                            ;   in Loop: Header=BB4_9658 Depth=3
	v_bfe_u32 v37, v14, 16, 7
	v_cmp_ne_u32_e32 vcc, s68, v37
	v_mov_b32_e32 v13, 0x7f800001
	s_and_saveexec_b64 s[34:35], vcc
	s_cbranch_execz .LBB4_10660
; %bb.10659:                            ;   in Loop: Header=BB4_9658 Depth=3
	v_and_b32_e32 v22, 7, v12
	v_ffbh_u32_e32 v13, v22
	v_min_u32_e32 v26, 32, v13
	v_subrev_u32_e32 v13, 28, v26
	v_lshlrev_b64 v[12:13], v13, v[12:13]
	v_lshrrev_b32_e32 v23, 3, v37
	v_cmp_gt_u32_e32 vcc, 8, v37
	v_sub_u32_e32 v13, 29, v26
	v_and_b32_e32 v12, 7, v12
	v_cndmask_b32_e32 v13, v23, v13, vcc
	v_cndmask_b32_e32 v12, v22, v12, vcc
	v_lshlrev_b32_e32 v22, 8, v14
	v_lshlrev_b32_e32 v12, 20, v12
	v_and_b32_e32 v22, 0x80000000, v22
	v_lshl_add_u32 v13, v13, 23, v5
	v_or3_b32 v13, v22, v13, v12
.LBB4_10660:                            ;   in Loop: Header=BB4_9658 Depth=3
	s_or_b64 exec, exec, s[34:35]
.LBB4_10661:                            ;   in Loop: Header=BB4_9658 Depth=3
	s_or_b64 exec, exec, s[30:31]
.LBB4_10662:                            ;   in Loop: Header=BB4_9658 Depth=3
	s_or_b64 exec, exec, s[28:29]
	v_add_f32_e32 v12, v36, v13
	v_and_b32_e32 v26, 0x7f800000, v12
	v_mov_b32_e32 v27, v3
	v_cmp_ne_u64_e32 vcc, s[62:63], v[26:27]
                                        ; implicit-def: $vgpr36
	s_and_saveexec_b64 s[28:29], vcc
	s_xor_b64 s[30:31], exec, s[28:29]
	s_cbranch_execz .LBB4_10676
; %bb.10663:                            ;   in Loop: Header=BB4_9658 Depth=3
	v_and_b32_e32 v26, 0x7fffffff, v12
	v_mov_b32_e32 v27, v3
	v_cmp_gt_u64_e32 vcc, s[72:73], v[26:27]
	v_and_b32_sdwa v37, v12, s70 dst_sel:DWORD dst_unused:UNUSED_PAD src0_sel:BYTE_3 src1_sel:DWORD
                                        ; implicit-def: $vgpr36
	s_and_saveexec_b64 s[28:29], vcc
	s_xor_b64 s[34:35], exec, s[28:29]
	s_cbranch_execz .LBB4_10673
; %bb.10664:                            ;   in Loop: Header=BB4_9658 Depth=3
	v_mov_b32_e32 v36, 0
	v_cmp_ne_u32_e32 vcc, 0, v12
	s_and_saveexec_b64 s[36:37], vcc
	s_cbranch_execz .LBB4_10672
; %bb.10665:                            ;   in Loop: Header=BB4_9658 Depth=3
	v_bfe_u32 v36, v12, 23, 8
	v_and_b32_e32 v13, 0x7fffff, v12
	v_cmp_gt_u32_e64 s[28:29], s71, v36
	v_sub_u32_e32 v12, 0x79, v36
	v_cmp_eq_u32_e32 vcc, 0, v36
	v_cndmask_b32_e64 v12, 0, v12, s[28:29]
	v_mov_b32_e32 v23, 0x78
	v_or_b32_e32 v22, 0x800000, v13
	v_cndmask_b32_e32 v38, v12, v23, vcc
	v_cndmask_b32_e32 v12, v22, v13, vcc
	v_add_u32_e32 v22, 20, v38
	v_lshlrev_b64 v[26:27], v22, -1
	v_mov_b32_e32 v13, v3
	v_add_u32_e32 v22, 19, v38
	v_bfi_b32 v26, v26, 0, v12
	v_lshlrev_b64 v[54:55], v22, 1
	v_lshrrev_b64 v[12:13], v38, v[12:13]
	v_bfi_b32 v27, v27, 0, 0
	v_cmp_eq_u64_e64 s[28:29], v[26:27], v[54:55]
	v_mov_b32_e32 v56, v13
	v_mov_b32_e32 v55, v12
	s_and_saveexec_b64 s[38:39], s[28:29]
; %bb.10666:                            ;   in Loop: Header=BB4_9658 Depth=3
	v_bfe_u32 v13, v12, 20, 1
	v_add_co_u32_e64 v13, s[28:29], v12, v13
	v_add_co_u32_e64 v55, s[28:29], -1, v13
; %bb.10667:                            ;   in Loop: Header=BB4_9658 Depth=3
	s_or_b64 exec, exec, s[38:39]
	v_add_u32_e32 v13, 0xffffff81, v36
	v_mov_b32_e32 v22, 0xffffff82
	v_cndmask_b32_e32 v13, v13, v22, vcc
	v_lshrrev_b32_e32 v22, 23, v12
	v_add3_u32 v49, v38, v13, v22
	v_add_u32_e32 v38, 6, v49
	v_and_b32_e32 v13, 0xfffff, v55
	v_add_u32_e32 v12, v13, v12
	v_mov_b32_e32 v13, v3
	v_cmp_ne_u32_e32 vcc, 0, v38
                                        ; implicit-def: $vgpr36
	s_and_saveexec_b64 s[28:29], vcc
	s_xor_b64 s[28:29], exec, s[28:29]
; %bb.10668:                            ;   in Loop: Header=BB4_9658 Depth=3
	v_cmp_lt_u64_e32 vcc, s[74:75], v[12:13]
	v_add_u32_e32 v22, 7, v49
	v_cndmask_b32_e32 v36, v38, v22, vcc
	v_cndmask_b32_e64 v22, 0, 1, vcc
	v_lshrrev_b64 v[12:13], v22, v[12:13]
; %bb.10669:                            ;   in Loop: Header=BB4_9658 Depth=3
	s_andn2_saveexec_b64 s[28:29], s[28:29]
; %bb.10670:                            ;   in Loop: Header=BB4_9658 Depth=3
	v_bfe_u32 v36, v12, 23, 1
; %bb.10671:                            ;   in Loop: Header=BB4_9658 Depth=3
	s_or_b64 exec, exec, s[28:29]
	v_lshrrev_b64 v[12:13], 20, v[12:13]
	v_cmp_gt_i32_e32 vcc, 16, v36
	v_cndmask_b32_e32 v13, 0, v13, vcc
	v_cndmask_b32_e32 v12, 7, v12, vcc
	v_cmp_eq_u64_e64 s[28:29], 0, v[12:13]
	v_min_i32_e32 v13, 15, v36
	v_lshlrev_b32_e32 v13, 3, v13
	v_cmp_eq_u32_e32 vcc, 0, v36
	v_and_b32_e32 v13, 0xf8, v13
	v_and_or_b32 v12, v12, 7, v13
	s_and_b64 s[28:29], vcc, s[28:29]
	v_cndmask_b32_e64 v12, v12, 0, s[28:29]
	v_or_b32_e32 v36, v12, v37
.LBB4_10672:                            ;   in Loop: Header=BB4_9658 Depth=3
	s_or_b64 exec, exec, s[36:37]
                                        ; implicit-def: $vgpr37
.LBB4_10673:                            ;   in Loop: Header=BB4_9658 Depth=3
	s_andn2_saveexec_b64 s[28:29], s[34:35]
; %bb.10674:                            ;   in Loop: Header=BB4_9658 Depth=3
	v_or_b32_e32 v36, 0x7e, v37
; %bb.10675:                            ;   in Loop: Header=BB4_9658 Depth=3
	s_or_b64 exec, exec, s[28:29]
                                        ; implicit-def: $vgpr12
.LBB4_10676:                            ;   in Loop: Header=BB4_9658 Depth=3
	s_andn2_saveexec_b64 s[28:29], s[30:31]
; %bb.10677:                            ;   in Loop: Header=BB4_9658 Depth=3
	v_or_b32_sdwa v36, v12, s68 dst_sel:DWORD dst_unused:UNUSED_PAD src0_sel:BYTE_3 src1_sel:DWORD
; %bb.10678:                            ;   in Loop: Header=BB4_9658 Depth=3
	s_or_b64 exec, exec, s[28:29]
	v_cmp_lt_u32_e32 vcc, s57, v2
	v_mov_b32_e32 v13, 0
	v_mov_b32_e32 v37, 0
	s_and_saveexec_b64 s[28:29], vcc
	s_cbranch_execz .LBB4_10684
; %bb.10679:                            ;   in Loop: Header=BB4_9658 Depth=3
	v_lshrrev_b32_e32 v12, 24, v2
	v_cmp_ne_u32_sdwa vcc, v2, s70 src0_sel:BYTE_3 src1_sel:DWORD
	v_bfrev_b32_e32 v37, 1
	s_and_saveexec_b64 s[30:31], vcc
	s_cbranch_execz .LBB4_10683
; %bb.10680:                            ;   in Loop: Header=BB4_9658 Depth=3
	v_bfe_u32 v38, v2, 24, 7
	v_cmp_ne_u32_e32 vcc, s68, v38
	v_mov_b32_e32 v37, 0x7f800001
	s_and_saveexec_b64 s[34:35], vcc
	s_cbranch_execz .LBB4_10682
; %bb.10681:                            ;   in Loop: Header=BB4_9658 Depth=3
	v_and_b32_e32 v22, 7, v12
	v_ffbh_u32_e32 v26, v22
	v_min_u32_e32 v31, 32, v26
	v_subrev_u32_e32 v26, 28, v31
	v_lshlrev_b64 v[26:27], v26, v[12:13]
	v_lshrrev_b32_e32 v23, 3, v38
	v_cmp_gt_u32_e32 vcc, 8, v38
	v_sub_u32_e32 v12, 29, v31
	v_and_b32_e32 v26, 7, v26
	v_cndmask_b32_e32 v12, v23, v12, vcc
	v_mov_b32_e32 v23, 24
	v_cndmask_b32_e32 v22, v22, v26, vcc
	v_lshlrev_b32_sdwa v2, v23, v2 dst_sel:DWORD dst_unused:UNUSED_PAD src0_sel:DWORD src1_sel:BYTE_3
	v_lshlrev_b32_e32 v22, 20, v22
	v_and_b32_e32 v2, 0x80000000, v2
	v_lshl_add_u32 v12, v12, 23, v5
	v_or3_b32 v37, v2, v12, v22
.LBB4_10682:                            ;   in Loop: Header=BB4_9658 Depth=3
	s_or_b64 exec, exec, s[34:35]
.LBB4_10683:                            ;   in Loop: Header=BB4_9658 Depth=3
	s_or_b64 exec, exec, s[30:31]
.LBB4_10684:                            ;   in Loop: Header=BB4_9658 Depth=3
	s_or_b64 exec, exec, s[28:29]
	v_cmp_lt_u32_e32 vcc, s57, v14
	s_and_saveexec_b64 s[28:29], vcc
	s_cbranch_execz .LBB4_10690
; %bb.10685:                            ;   in Loop: Header=BB4_9658 Depth=3
	v_lshrrev_b32_e32 v2, 24, v14
	v_cmp_ne_u32_e32 vcc, s70, v2
	v_bfrev_b32_e32 v13, 1
	s_and_saveexec_b64 s[30:31], vcc
	s_cbranch_execz .LBB4_10689
; %bb.10686:                            ;   in Loop: Header=BB4_9658 Depth=3
	v_bfe_u32 v12, v14, 24, 7
	v_cmp_ne_u32_e32 vcc, s68, v12
	v_mov_b32_e32 v13, 0x7f800001
	s_and_saveexec_b64 s[34:35], vcc
	s_cbranch_execz .LBB4_10688
; %bb.10687:                            ;   in Loop: Header=BB4_9658 Depth=3
	v_and_b32_e32 v22, 7, v2
	v_lshrrev_b32_e32 v23, 3, v12
	v_cmp_gt_u32_e32 vcc, 8, v12
	v_ffbh_u32_e32 v12, v22
	v_min_u32_e32 v26, 32, v12
	v_subrev_u32_e32 v12, 28, v26
	v_lshlrev_b64 v[12:13], v12, v[2:3]
	v_sub_u32_e32 v13, 29, v26
	v_and_b32_e32 v12, 7, v12
	v_cndmask_b32_e32 v13, v23, v13, vcc
	v_cndmask_b32_e32 v12, v22, v12, vcc
	v_lshlrev_b32_e32 v2, 24, v2
	v_lshlrev_b32_e32 v12, 20, v12
	v_and_b32_e32 v2, 0x80000000, v2
	v_lshl_add_u32 v13, v13, 23, v5
	v_or3_b32 v13, v2, v13, v12
.LBB4_10688:                            ;   in Loop: Header=BB4_9658 Depth=3
	s_or_b64 exec, exec, s[34:35]
.LBB4_10689:                            ;   in Loop: Header=BB4_9658 Depth=3
	s_or_b64 exec, exec, s[30:31]
.LBB4_10690:                            ;   in Loop: Header=BB4_9658 Depth=3
	s_or_b64 exec, exec, s[28:29]
	v_add_f32_e32 v12, v37, v13
	v_and_b32_e32 v2, 0x7f800000, v12
	v_cmp_ne_u64_e32 vcc, s[62:63], v[2:3]
                                        ; implicit-def: $vgpr37
	s_and_saveexec_b64 s[28:29], vcc
	s_xor_b64 s[30:31], exec, s[28:29]
	s_cbranch_execz .LBB4_10704
; %bb.10691:                            ;   in Loop: Header=BB4_9658 Depth=3
	v_and_b32_e32 v2, 0x7fffffff, v12
	v_cmp_gt_u64_e32 vcc, s[72:73], v[2:3]
	v_and_b32_sdwa v38, v12, s70 dst_sel:DWORD dst_unused:UNUSED_PAD src0_sel:BYTE_3 src1_sel:DWORD
                                        ; implicit-def: $vgpr37
	s_and_saveexec_b64 s[28:29], vcc
	s_xor_b64 s[34:35], exec, s[28:29]
	s_cbranch_execz .LBB4_10701
; %bb.10692:                            ;   in Loop: Header=BB4_9658 Depth=3
	v_mov_b32_e32 v37, 0
	v_cmp_ne_u32_e32 vcc, 0, v12
	s_and_saveexec_b64 s[36:37], vcc
	s_cbranch_execz .LBB4_10700
; %bb.10693:                            ;   in Loop: Header=BB4_9658 Depth=3
	v_bfe_u32 v37, v12, 23, 8
	v_and_b32_e32 v2, 0x7fffff, v12
	v_cmp_gt_u32_e64 s[28:29], s71, v37
	v_sub_u32_e32 v12, 0x79, v37
	v_cmp_eq_u32_e32 vcc, 0, v37
	v_cndmask_b32_e64 v12, 0, v12, s[28:29]
	v_mov_b32_e32 v22, 0x78
	v_cndmask_b32_e32 v49, v12, v22, vcc
	v_or_b32_e32 v13, 0x800000, v2
	v_add_u32_e32 v12, 20, v49
	v_cndmask_b32_e32 v2, v13, v2, vcc
	v_lshlrev_b64 v[12:13], v12, -1
	v_add_u32_e32 v22, 19, v49
	v_lshlrev_b64 v[26:27], v22, 1
	v_bfi_b32 v13, v13, 0, 0
	v_bfi_b32 v12, v12, 0, v2
	v_cmp_eq_u64_e64 s[28:29], v[12:13], v[26:27]
	v_lshrrev_b64 v[12:13], v49, v[2:3]
	v_mov_b32_e32 v56, v13
	v_mov_b32_e32 v55, v12
	s_and_saveexec_b64 s[38:39], s[28:29]
; %bb.10694:                            ;   in Loop: Header=BB4_9658 Depth=3
	v_bfe_u32 v2, v12, 20, 1
	v_add_co_u32_e64 v2, s[28:29], v12, v2
	v_add_co_u32_e64 v55, s[28:29], -1, v2
; %bb.10695:                            ;   in Loop: Header=BB4_9658 Depth=3
	s_or_b64 exec, exec, s[38:39]
	v_add_u32_e32 v2, 0xffffff81, v37
	v_mov_b32_e32 v13, 0xffffff82
	v_cndmask_b32_e32 v2, v2, v13, vcc
	v_lshrrev_b32_e32 v13, 23, v12
	v_add3_u32 v51, v49, v2, v13
	v_add_u32_e32 v49, 6, v51
	v_and_b32_e32 v2, 0xfffff, v55
	v_add_u32_e32 v2, v2, v12
	v_cmp_ne_u32_e32 vcc, 0, v49
                                        ; implicit-def: $vgpr12_vgpr13
                                        ; implicit-def: $vgpr37
	s_and_saveexec_b64 s[28:29], vcc
	s_xor_b64 s[28:29], exec, s[28:29]
; %bb.10696:                            ;   in Loop: Header=BB4_9658 Depth=3
	v_cmp_lt_u64_e32 vcc, s[74:75], v[2:3]
	v_add_u32_e32 v12, 7, v51
	v_cndmask_b32_e32 v37, v49, v12, vcc
	v_cndmask_b32_e64 v12, 0, 1, vcc
	v_lshrrev_b64 v[12:13], v12, v[2:3]
; %bb.10697:                            ;   in Loop: Header=BB4_9658 Depth=3
	s_andn2_saveexec_b64 s[28:29], s[28:29]
; %bb.10698:                            ;   in Loop: Header=BB4_9658 Depth=3
	v_mov_b32_e32 v13, v3
	v_bfe_u32 v37, v2, 23, 1
	v_mov_b32_e32 v12, v2
; %bb.10699:                            ;   in Loop: Header=BB4_9658 Depth=3
	s_or_b64 exec, exec, s[28:29]
	v_lshrrev_b64 v[12:13], 20, v[12:13]
	v_cmp_gt_i32_e32 vcc, 16, v37
	v_cndmask_b32_e32 v13, 0, v13, vcc
	v_cndmask_b32_e32 v12, 7, v12, vcc
	v_min_i32_e32 v2, 15, v37
	v_cmp_eq_u64_e64 s[28:29], 0, v[12:13]
	v_lshlrev_b32_e32 v2, 3, v2
	v_cmp_eq_u32_e32 vcc, 0, v37
	v_and_b32_e32 v2, 0xf8, v2
	v_and_or_b32 v2, v12, 7, v2
	s_and_b64 s[28:29], vcc, s[28:29]
	v_cndmask_b32_e64 v2, v2, 0, s[28:29]
	v_or_b32_e32 v37, v2, v38
.LBB4_10700:                            ;   in Loop: Header=BB4_9658 Depth=3
	s_or_b64 exec, exec, s[36:37]
                                        ; implicit-def: $vgpr38
.LBB4_10701:                            ;   in Loop: Header=BB4_9658 Depth=3
	s_andn2_saveexec_b64 s[28:29], s[34:35]
; %bb.10702:                            ;   in Loop: Header=BB4_9658 Depth=3
	v_or_b32_e32 v37, 0x7e, v38
; %bb.10703:                            ;   in Loop: Header=BB4_9658 Depth=3
	s_or_b64 exec, exec, s[28:29]
                                        ; implicit-def: $vgpr12
.LBB4_10704:                            ;   in Loop: Header=BB4_9658 Depth=3
	s_andn2_saveexec_b64 s[28:29], s[30:31]
; %bb.10705:                            ;   in Loop: Header=BB4_9658 Depth=3
	v_or_b32_sdwa v37, v12, s68 dst_sel:DWORD dst_unused:UNUSED_PAD src0_sel:BYTE_3 src1_sel:DWORD
; %bb.10706:                            ;   in Loop: Header=BB4_9658 Depth=3
	s_or_b64 exec, exec, s[28:29]
	v_lshlrev_b32_e32 v2, 24, v48
	v_lshlrev_b32_e32 v12, 16, v52
	v_lshl_or_b32 v38, v21, 8, v34
	v_or3_b32 v2, v12, v2, v38
	v_cmp_ne_u32_e32 vcc, 0, v34
	v_mov_b32_e32 v13, 0
	v_mov_b32_e32 v12, 0
	s_and_saveexec_b64 s[28:29], vcc
	s_cbranch_execz .LBB4_10712
; %bb.10707:                            ;   in Loop: Header=BB4_9658 Depth=3
	v_cmp_ne_u32_e32 vcc, s70, v34
	v_bfrev_b32_e32 v12, 1
	s_and_saveexec_b64 s[30:31], vcc
	s_cbranch_execz .LBB4_10711
; %bb.10708:                            ;   in Loop: Header=BB4_9658 Depth=3
	v_and_b32_e32 v21, 0x7f, v34
	v_cmp_ne_u32_e32 vcc, s68, v21
	v_mov_b32_e32 v12, 0x7f800001
	s_and_saveexec_b64 s[34:35], vcc
	s_cbranch_execz .LBB4_10710
; %bb.10709:                            ;   in Loop: Header=BB4_9658 Depth=3
	v_and_b32_e32 v12, 7, v34
	v_ffbh_u32_e32 v12, v12
	v_min_u32_e32 v12, 32, v12
	v_lshrrev_b32_e32 v22, 3, v21
	v_cmp_gt_u32_e32 vcc, 8, v21
	v_subrev_u32_e32 v21, 28, v12
	v_cndmask_b32_e32 v21, 0, v21, vcc
	v_lshlrev_b64 v[26:27], v21, v[2:3]
	v_sub_u32_e32 v12, 29, v12
	v_cndmask_b32_e32 v12, v22, v12, vcc
	v_lshlrev_b32_e32 v21, 20, v26
	v_lshlrev_b32_e32 v22, 24, v2
	v_and_b32_e32 v21, 0x700000, v21
	v_and_b32_e32 v22, 0x80000000, v22
	v_lshl_add_u32 v12, v12, 23, v5
	v_or3_b32 v12, v22, v12, v21
.LBB4_10710:                            ;   in Loop: Header=BB4_9658 Depth=3
	s_or_b64 exec, exec, s[34:35]
.LBB4_10711:                            ;   in Loop: Header=BB4_9658 Depth=3
	s_or_b64 exec, exec, s[30:31]
.LBB4_10712:                            ;   in Loop: Header=BB4_9658 Depth=3
	s_or_b64 exec, exec, s[28:29]
	v_cmp_ne_u16_sdwa vcc, v15, v3 src0_sel:BYTE_0 src1_sel:DWORD
	s_and_saveexec_b64 s[28:29], vcc
	s_cbranch_execz .LBB4_10718
; %bb.10713:                            ;   in Loop: Header=BB4_9658 Depth=3
	v_cmp_ne_u16_sdwa vcc, v15, s70 src0_sel:BYTE_0 src1_sel:DWORD
	v_bfrev_b32_e32 v13, 1
	s_and_saveexec_b64 s[30:31], vcc
	s_cbranch_execz .LBB4_10717
; %bb.10714:                            ;   in Loop: Header=BB4_9658 Depth=3
	v_and_b32_e32 v21, 0x7f, v15
	v_cmp_ne_u32_e32 vcc, s68, v21
	v_mov_b32_e32 v13, 0x7f800001
	s_and_saveexec_b64 s[34:35], vcc
	s_cbranch_execz .LBB4_10716
; %bb.10715:                            ;   in Loop: Header=BB4_9658 Depth=3
	v_and_b32_e32 v13, 7, v15
	v_ffbh_u32_e32 v13, v13
	v_min_u32_e32 v13, 32, v13
	v_lshrrev_b32_e32 v22, 3, v21
	v_cmp_gt_u32_e32 vcc, 8, v21
	v_subrev_u32_e32 v21, 28, v13
	v_mov_b32_e32 v26, v15
	v_mov_b32_e32 v27, v3
	v_cndmask_b32_e32 v21, 0, v21, vcc
	v_lshlrev_b64 v[48:49], v21, v[26:27]
	v_sub_u32_e32 v13, 29, v13
	v_cndmask_b32_e32 v13, v22, v13, vcc
	v_lshlrev_b32_e32 v21, 20, v48
	v_lshlrev_b32_e32 v22, 24, v26
	v_and_b32_e32 v21, 0x700000, v21
	v_and_b32_e32 v22, 0x80000000, v22
	v_lshl_add_u32 v13, v13, 23, v5
	v_or3_b32 v13, v22, v13, v21
.LBB4_10716:                            ;   in Loop: Header=BB4_9658 Depth=3
	s_or_b64 exec, exec, s[34:35]
.LBB4_10717:                            ;   in Loop: Header=BB4_9658 Depth=3
	s_or_b64 exec, exec, s[30:31]
.LBB4_10718:                            ;   in Loop: Header=BB4_9658 Depth=3
	s_or_b64 exec, exec, s[28:29]
	v_add_f32_e32 v12, v12, v13
	v_and_b32_e32 v26, 0x7f800000, v12
	v_mov_b32_e32 v27, v3
	v_cmp_ne_u64_e32 vcc, s[62:63], v[26:27]
                                        ; implicit-def: $vgpr21
	s_and_saveexec_b64 s[28:29], vcc
	s_xor_b64 s[30:31], exec, s[28:29]
	s_cbranch_execz .LBB4_10732
; %bb.10719:                            ;   in Loop: Header=BB4_9658 Depth=3
	v_and_b32_e32 v26, 0x7fffffff, v12
	v_mov_b32_e32 v27, v3
	v_cmp_gt_u64_e32 vcc, s[72:73], v[26:27]
	v_and_b32_sdwa v34, v12, s70 dst_sel:DWORD dst_unused:UNUSED_PAD src0_sel:BYTE_3 src1_sel:DWORD
                                        ; implicit-def: $vgpr21
	s_and_saveexec_b64 s[28:29], vcc
	s_xor_b64 s[34:35], exec, s[28:29]
	s_cbranch_execz .LBB4_10729
; %bb.10720:                            ;   in Loop: Header=BB4_9658 Depth=3
	v_mov_b32_e32 v21, 0
	v_cmp_ne_u32_e32 vcc, 0, v12
	s_and_saveexec_b64 s[36:37], vcc
	s_cbranch_execz .LBB4_10728
; %bb.10721:                            ;   in Loop: Header=BB4_9658 Depth=3
	v_bfe_u32 v21, v12, 23, 8
	v_and_b32_e32 v13, 0x7fffff, v12
	v_cmp_gt_u32_e64 s[28:29], s71, v21
	v_sub_u32_e32 v12, 0x79, v21
	v_cmp_eq_u32_e32 vcc, 0, v21
	v_cndmask_b32_e64 v12, 0, v12, s[28:29]
	v_mov_b32_e32 v23, 0x78
	v_or_b32_e32 v22, 0x800000, v13
	v_cndmask_b32_e32 v48, v12, v23, vcc
	v_cndmask_b32_e32 v12, v22, v13, vcc
	v_add_u32_e32 v22, 20, v48
	v_lshlrev_b64 v[26:27], v22, -1
	v_mov_b32_e32 v13, v3
	v_add_u32_e32 v22, 19, v48
	v_bfi_b32 v26, v26, 0, v12
	v_lshlrev_b64 v[51:52], v22, 1
	v_lshrrev_b64 v[12:13], v48, v[12:13]
	v_bfi_b32 v27, v27, 0, 0
	v_cmp_eq_u64_e64 s[28:29], v[26:27], v[51:52]
	v_mov_b32_e32 v56, v13
	v_mov_b32_e32 v55, v12
	s_and_saveexec_b64 s[38:39], s[28:29]
; %bb.10722:                            ;   in Loop: Header=BB4_9658 Depth=3
	v_bfe_u32 v13, v12, 20, 1
	v_add_co_u32_e64 v13, s[28:29], v12, v13
	v_add_co_u32_e64 v55, s[28:29], -1, v13
; %bb.10723:                            ;   in Loop: Header=BB4_9658 Depth=3
	s_or_b64 exec, exec, s[38:39]
	v_add_u32_e32 v13, 0xffffff81, v21
	v_mov_b32_e32 v21, 0xffffff82
	v_cndmask_b32_e32 v13, v13, v21, vcc
	v_lshrrev_b32_e32 v21, 23, v12
	v_add3_u32 v49, v48, v13, v21
	v_add_u32_e32 v48, 6, v49
	v_and_b32_e32 v13, 0xfffff, v55
	v_add_u32_e32 v12, v13, v12
	v_mov_b32_e32 v13, v3
	v_cmp_ne_u32_e32 vcc, 0, v48
                                        ; implicit-def: $vgpr21
	s_and_saveexec_b64 s[28:29], vcc
	s_xor_b64 s[28:29], exec, s[28:29]
; %bb.10724:                            ;   in Loop: Header=BB4_9658 Depth=3
	v_cmp_lt_u64_e32 vcc, s[74:75], v[12:13]
	v_add_u32_e32 v21, 7, v49
	v_cndmask_b32_e64 v22, 0, 1, vcc
	v_cndmask_b32_e32 v21, v48, v21, vcc
	v_lshrrev_b64 v[12:13], v22, v[12:13]
; %bb.10725:                            ;   in Loop: Header=BB4_9658 Depth=3
	s_andn2_saveexec_b64 s[28:29], s[28:29]
; %bb.10726:                            ;   in Loop: Header=BB4_9658 Depth=3
	v_bfe_u32 v21, v12, 23, 1
; %bb.10727:                            ;   in Loop: Header=BB4_9658 Depth=3
	s_or_b64 exec, exec, s[28:29]
	v_lshrrev_b64 v[12:13], 20, v[12:13]
	v_cmp_gt_i32_e32 vcc, 16, v21
	v_cndmask_b32_e32 v13, 0, v13, vcc
	v_cndmask_b32_e32 v12, 7, v12, vcc
	v_cmp_eq_u64_e64 s[28:29], 0, v[12:13]
	v_min_i32_e32 v13, 15, v21
	v_lshlrev_b32_e32 v13, 3, v13
	v_cmp_eq_u32_e32 vcc, 0, v21
	v_and_b32_e32 v13, 0xf8, v13
	v_and_or_b32 v12, v12, 7, v13
	s_and_b64 s[28:29], vcc, s[28:29]
	v_cndmask_b32_e64 v12, v12, 0, s[28:29]
	v_or_b32_e32 v21, v12, v34
.LBB4_10728:                            ;   in Loop: Header=BB4_9658 Depth=3
	s_or_b64 exec, exec, s[36:37]
                                        ; implicit-def: $vgpr34
.LBB4_10729:                            ;   in Loop: Header=BB4_9658 Depth=3
	s_andn2_saveexec_b64 s[28:29], s[34:35]
; %bb.10730:                            ;   in Loop: Header=BB4_9658 Depth=3
	v_or_b32_e32 v21, 0x7e, v34
; %bb.10731:                            ;   in Loop: Header=BB4_9658 Depth=3
	s_or_b64 exec, exec, s[28:29]
                                        ; implicit-def: $vgpr12
.LBB4_10732:                            ;   in Loop: Header=BB4_9658 Depth=3
	s_andn2_saveexec_b64 s[28:29], s[30:31]
; %bb.10733:                            ;   in Loop: Header=BB4_9658 Depth=3
	v_or_b32_sdwa v21, v12, s68 dst_sel:DWORD dst_unused:UNUSED_PAD src0_sel:BYTE_3 src1_sel:DWORD
; %bb.10734:                            ;   in Loop: Header=BB4_9658 Depth=3
	s_or_b64 exec, exec, s[28:29]
	v_lshrrev_b16_e32 v12, 8, v38
	v_cmp_ne_u16_e32 vcc, 0, v12
	v_mov_b32_e32 v13, 0
	v_mov_b32_e32 v34, 0
	s_and_saveexec_b64 s[28:29], vcc
	s_cbranch_execz .LBB4_10740
; %bb.10735:                            ;   in Loop: Header=BB4_9658 Depth=3
	v_cmp_ne_u16_e32 vcc, s70, v12
	v_bfrev_b32_e32 v34, 1
	s_and_saveexec_b64 s[30:31], vcc
	s_cbranch_execz .LBB4_10739
; %bb.10736:                            ;   in Loop: Header=BB4_9658 Depth=3
	v_and_b32_e32 v48, 0x7f, v12
	v_cmp_ne_u32_e32 vcc, s68, v48
	v_mov_b32_e32 v34, 0x7f800001
	s_and_saveexec_b64 s[34:35], vcc
	s_cbranch_execz .LBB4_10738
; %bb.10737:                            ;   in Loop: Header=BB4_9658 Depth=3
	v_and_b32_e32 v22, 7, v12
	v_ffbh_u32_e32 v26, v22
	v_min_u32_e32 v31, 32, v26
	v_subrev_u32_e32 v26, 28, v31
	v_lshlrev_b64 v[26:27], v26, v[12:13]
	v_lshrrev_b32_e32 v23, 3, v48
	v_cmp_gt_u32_e32 vcc, 8, v48
	v_sub_u32_e32 v12, 29, v31
	v_and_b32_e32 v26, 7, v26
	v_cndmask_b32_e32 v12, v23, v12, vcc
	v_cndmask_b32_e32 v22, v22, v26, vcc
	v_lshlrev_b32_e32 v23, 16, v38
	v_lshlrev_b32_e32 v22, 20, v22
	v_and_b32_e32 v23, 0x80000000, v23
	v_lshl_add_u32 v12, v12, 23, v5
	v_or3_b32 v34, v23, v12, v22
.LBB4_10738:                            ;   in Loop: Header=BB4_9658 Depth=3
	s_or_b64 exec, exec, s[34:35]
.LBB4_10739:                            ;   in Loop: Header=BB4_9658 Depth=3
	s_or_b64 exec, exec, s[30:31]
.LBB4_10740:                            ;   in Loop: Header=BB4_9658 Depth=3
	s_or_b64 exec, exec, s[28:29]
	v_lshrrev_b16_e32 v12, 8, v15
	v_cmp_ne_u16_e32 vcc, 0, v12
	s_and_saveexec_b64 s[28:29], vcc
	s_cbranch_execz .LBB4_10746
; %bb.10741:                            ;   in Loop: Header=BB4_9658 Depth=3
	v_cmp_ne_u16_e32 vcc, s70, v12
	v_bfrev_b32_e32 v13, 1
	s_and_saveexec_b64 s[30:31], vcc
	s_cbranch_execz .LBB4_10745
; %bb.10742:                            ;   in Loop: Header=BB4_9658 Depth=3
	v_and_b32_e32 v38, 0x7f, v12
	v_cmp_ne_u32_e32 vcc, s68, v38
	v_mov_b32_e32 v13, 0x7f800001
	s_and_saveexec_b64 s[34:35], vcc
	s_cbranch_execz .LBB4_10744
; %bb.10743:                            ;   in Loop: Header=BB4_9658 Depth=3
	v_and_b32_e32 v22, 7, v12
	v_ffbh_u32_e32 v13, v22
	v_min_u32_e32 v26, 32, v13
	v_subrev_u32_e32 v13, 28, v26
	v_lshlrev_b64 v[12:13], v13, v[12:13]
	v_lshrrev_b32_e32 v23, 3, v38
	v_cmp_gt_u32_e32 vcc, 8, v38
	v_sub_u32_e32 v13, 29, v26
	v_and_b32_e32 v12, 7, v12
	v_cndmask_b32_e32 v13, v23, v13, vcc
	v_cndmask_b32_e32 v12, v22, v12, vcc
	v_lshlrev_b32_e32 v22, 16, v15
	v_lshlrev_b32_e32 v12, 20, v12
	v_and_b32_e32 v22, 0x80000000, v22
	v_lshl_add_u32 v13, v13, 23, v5
	v_or3_b32 v13, v22, v13, v12
.LBB4_10744:                            ;   in Loop: Header=BB4_9658 Depth=3
	s_or_b64 exec, exec, s[34:35]
.LBB4_10745:                            ;   in Loop: Header=BB4_9658 Depth=3
	s_or_b64 exec, exec, s[30:31]
.LBB4_10746:                            ;   in Loop: Header=BB4_9658 Depth=3
	s_or_b64 exec, exec, s[28:29]
	v_add_f32_e32 v12, v34, v13
	v_and_b32_e32 v26, 0x7f800000, v12
	v_mov_b32_e32 v27, v3
	v_cmp_ne_u64_e32 vcc, s[62:63], v[26:27]
                                        ; implicit-def: $vgpr34
	s_and_saveexec_b64 s[28:29], vcc
	s_xor_b64 s[30:31], exec, s[28:29]
	s_cbranch_execz .LBB4_10760
; %bb.10747:                            ;   in Loop: Header=BB4_9658 Depth=3
	v_and_b32_e32 v26, 0x7fffffff, v12
	v_mov_b32_e32 v27, v3
	v_cmp_gt_u64_e32 vcc, s[72:73], v[26:27]
	v_and_b32_sdwa v38, v12, s70 dst_sel:DWORD dst_unused:UNUSED_PAD src0_sel:BYTE_3 src1_sel:DWORD
                                        ; implicit-def: $vgpr34
	s_and_saveexec_b64 s[28:29], vcc
	s_xor_b64 s[34:35], exec, s[28:29]
	s_cbranch_execz .LBB4_10757
; %bb.10748:                            ;   in Loop: Header=BB4_9658 Depth=3
	v_mov_b32_e32 v34, 0
	v_cmp_ne_u32_e32 vcc, 0, v12
	s_and_saveexec_b64 s[36:37], vcc
	s_cbranch_execz .LBB4_10756
; %bb.10749:                            ;   in Loop: Header=BB4_9658 Depth=3
	v_bfe_u32 v34, v12, 23, 8
	v_and_b32_e32 v13, 0x7fffff, v12
	v_cmp_gt_u32_e64 s[28:29], s71, v34
	v_sub_u32_e32 v12, 0x79, v34
	v_cmp_eq_u32_e32 vcc, 0, v34
	v_cndmask_b32_e64 v12, 0, v12, s[28:29]
	v_mov_b32_e32 v23, 0x78
	v_or_b32_e32 v22, 0x800000, v13
	v_cndmask_b32_e32 v48, v12, v23, vcc
	v_cndmask_b32_e32 v12, v22, v13, vcc
	v_add_u32_e32 v22, 20, v48
	v_lshlrev_b64 v[26:27], v22, -1
	v_mov_b32_e32 v13, v3
	v_add_u32_e32 v22, 19, v48
	v_bfi_b32 v26, v26, 0, v12
	v_lshlrev_b64 v[51:52], v22, 1
	v_lshrrev_b64 v[12:13], v48, v[12:13]
	v_bfi_b32 v27, v27, 0, 0
	v_cmp_eq_u64_e64 s[28:29], v[26:27], v[51:52]
	v_mov_b32_e32 v56, v13
	v_mov_b32_e32 v55, v12
	s_and_saveexec_b64 s[38:39], s[28:29]
; %bb.10750:                            ;   in Loop: Header=BB4_9658 Depth=3
	v_bfe_u32 v13, v12, 20, 1
	v_add_co_u32_e64 v13, s[28:29], v12, v13
	v_add_co_u32_e64 v55, s[28:29], -1, v13
; %bb.10751:                            ;   in Loop: Header=BB4_9658 Depth=3
	s_or_b64 exec, exec, s[38:39]
	v_add_u32_e32 v13, 0xffffff81, v34
	v_mov_b32_e32 v22, 0xffffff82
	v_cndmask_b32_e32 v13, v13, v22, vcc
	v_lshrrev_b32_e32 v22, 23, v12
	v_add3_u32 v49, v48, v13, v22
	v_add_u32_e32 v48, 6, v49
	v_and_b32_e32 v13, 0xfffff, v55
	v_add_u32_e32 v12, v13, v12
	v_mov_b32_e32 v13, v3
	v_cmp_ne_u32_e32 vcc, 0, v48
                                        ; implicit-def: $vgpr34
	s_and_saveexec_b64 s[28:29], vcc
	s_xor_b64 s[28:29], exec, s[28:29]
; %bb.10752:                            ;   in Loop: Header=BB4_9658 Depth=3
	v_cmp_lt_u64_e32 vcc, s[74:75], v[12:13]
	v_add_u32_e32 v22, 7, v49
	v_cndmask_b32_e32 v34, v48, v22, vcc
	v_cndmask_b32_e64 v22, 0, 1, vcc
	v_lshrrev_b64 v[12:13], v22, v[12:13]
; %bb.10753:                            ;   in Loop: Header=BB4_9658 Depth=3
	s_andn2_saveexec_b64 s[28:29], s[28:29]
; %bb.10754:                            ;   in Loop: Header=BB4_9658 Depth=3
	v_bfe_u32 v34, v12, 23, 1
; %bb.10755:                            ;   in Loop: Header=BB4_9658 Depth=3
	s_or_b64 exec, exec, s[28:29]
	v_lshrrev_b64 v[12:13], 20, v[12:13]
	v_cmp_gt_i32_e32 vcc, 16, v34
	v_cndmask_b32_e32 v13, 0, v13, vcc
	v_cndmask_b32_e32 v12, 7, v12, vcc
	v_cmp_eq_u64_e64 s[28:29], 0, v[12:13]
	v_min_i32_e32 v13, 15, v34
	v_lshlrev_b32_e32 v13, 3, v13
	v_cmp_eq_u32_e32 vcc, 0, v34
	v_and_b32_e32 v13, 0xf8, v13
	v_and_or_b32 v12, v12, 7, v13
	s_and_b64 s[28:29], vcc, s[28:29]
	v_cndmask_b32_e64 v12, v12, 0, s[28:29]
	v_or_b32_e32 v34, v12, v38
.LBB4_10756:                            ;   in Loop: Header=BB4_9658 Depth=3
	s_or_b64 exec, exec, s[36:37]
                                        ; implicit-def: $vgpr38
.LBB4_10757:                            ;   in Loop: Header=BB4_9658 Depth=3
	s_andn2_saveexec_b64 s[28:29], s[34:35]
; %bb.10758:                            ;   in Loop: Header=BB4_9658 Depth=3
	v_or_b32_e32 v34, 0x7e, v38
; %bb.10759:                            ;   in Loop: Header=BB4_9658 Depth=3
	s_or_b64 exec, exec, s[28:29]
                                        ; implicit-def: $vgpr12
.LBB4_10760:                            ;   in Loop: Header=BB4_9658 Depth=3
	s_andn2_saveexec_b64 s[28:29], s[30:31]
; %bb.10761:                            ;   in Loop: Header=BB4_9658 Depth=3
	v_or_b32_sdwa v34, v12, s68 dst_sel:DWORD dst_unused:UNUSED_PAD src0_sel:BYTE_3 src1_sel:DWORD
; %bb.10762:                            ;   in Loop: Header=BB4_9658 Depth=3
	s_or_b64 exec, exec, s[28:29]
	v_lshrrev_b32_e32 v12, 16, v2
	v_cmp_ne_u16_sdwa vcc, v12, v3 src0_sel:BYTE_0 src1_sel:DWORD
	v_mov_b32_e32 v13, 0
	v_mov_b32_e32 v38, 0
	s_and_saveexec_b64 s[28:29], vcc
	s_cbranch_execz .LBB4_10768
; %bb.10763:                            ;   in Loop: Header=BB4_9658 Depth=3
	v_cmp_ne_u16_sdwa vcc, v12, s70 src0_sel:BYTE_0 src1_sel:DWORD
	v_bfrev_b32_e32 v38, 1
	s_and_saveexec_b64 s[30:31], vcc
	s_cbranch_execz .LBB4_10767
; %bb.10764:                            ;   in Loop: Header=BB4_9658 Depth=3
	v_bfe_u32 v48, v2, 16, 7
	v_cmp_ne_u32_e32 vcc, s68, v48
	v_mov_b32_e32 v38, 0x7f800001
	s_and_saveexec_b64 s[34:35], vcc
	s_cbranch_execz .LBB4_10766
; %bb.10765:                            ;   in Loop: Header=BB4_9658 Depth=3
	v_and_b32_e32 v22, 7, v12
	v_ffbh_u32_e32 v26, v22
	v_min_u32_e32 v31, 32, v26
	v_subrev_u32_e32 v26, 28, v31
	v_lshlrev_b64 v[26:27], v26, v[12:13]
	v_lshrrev_b32_e32 v23, 3, v48
	v_cmp_gt_u32_e32 vcc, 8, v48
	v_sub_u32_e32 v27, 29, v31
	v_and_b32_e32 v26, 7, v26
	v_cndmask_b32_e32 v23, v23, v27, vcc
	v_cndmask_b32_e32 v22, v22, v26, vcc
	v_lshlrev_b32_e32 v12, 24, v12
	v_lshlrev_b32_e32 v22, 20, v22
	v_and_b32_e32 v12, 0x80000000, v12
	v_lshl_add_u32 v23, v23, 23, v5
	v_or3_b32 v38, v12, v23, v22
.LBB4_10766:                            ;   in Loop: Header=BB4_9658 Depth=3
	s_or_b64 exec, exec, s[34:35]
.LBB4_10767:                            ;   in Loop: Header=BB4_9658 Depth=3
	s_or_b64 exec, exec, s[30:31]
.LBB4_10768:                            ;   in Loop: Header=BB4_9658 Depth=3
	s_or_b64 exec, exec, s[28:29]
	v_lshrrev_b32_e32 v12, 16, v15
	v_cmp_ne_u16_sdwa vcc, v12, v3 src0_sel:BYTE_0 src1_sel:DWORD
	s_and_saveexec_b64 s[28:29], vcc
	s_cbranch_execz .LBB4_10774
; %bb.10769:                            ;   in Loop: Header=BB4_9658 Depth=3
	v_cmp_ne_u16_sdwa vcc, v12, s70 src0_sel:BYTE_0 src1_sel:DWORD
	v_bfrev_b32_e32 v13, 1
	s_and_saveexec_b64 s[30:31], vcc
	s_cbranch_execz .LBB4_10773
; %bb.10770:                            ;   in Loop: Header=BB4_9658 Depth=3
	v_bfe_u32 v48, v15, 16, 7
	v_cmp_ne_u32_e32 vcc, s68, v48
	v_mov_b32_e32 v13, 0x7f800001
	s_and_saveexec_b64 s[34:35], vcc
	s_cbranch_execz .LBB4_10772
; %bb.10771:                            ;   in Loop: Header=BB4_9658 Depth=3
	v_and_b32_e32 v22, 7, v12
	v_ffbh_u32_e32 v13, v22
	v_min_u32_e32 v26, 32, v13
	v_subrev_u32_e32 v13, 28, v26
	v_lshlrev_b64 v[12:13], v13, v[12:13]
	v_lshrrev_b32_e32 v23, 3, v48
	v_cmp_gt_u32_e32 vcc, 8, v48
	v_sub_u32_e32 v13, 29, v26
	v_and_b32_e32 v12, 7, v12
	v_cndmask_b32_e32 v13, v23, v13, vcc
	v_cndmask_b32_e32 v12, v22, v12, vcc
	v_lshlrev_b32_e32 v22, 8, v15
	v_lshlrev_b32_e32 v12, 20, v12
	v_and_b32_e32 v22, 0x80000000, v22
	v_lshl_add_u32 v13, v13, 23, v5
	v_or3_b32 v13, v22, v13, v12
.LBB4_10772:                            ;   in Loop: Header=BB4_9658 Depth=3
	s_or_b64 exec, exec, s[34:35]
.LBB4_10773:                            ;   in Loop: Header=BB4_9658 Depth=3
	s_or_b64 exec, exec, s[30:31]
.LBB4_10774:                            ;   in Loop: Header=BB4_9658 Depth=3
	s_or_b64 exec, exec, s[28:29]
	v_add_f32_e32 v12, v38, v13
	v_and_b32_e32 v26, 0x7f800000, v12
	v_mov_b32_e32 v27, v3
	v_cmp_ne_u64_e32 vcc, s[62:63], v[26:27]
                                        ; implicit-def: $vgpr38
	s_and_saveexec_b64 s[28:29], vcc
	s_xor_b64 s[30:31], exec, s[28:29]
	s_cbranch_execz .LBB4_10788
; %bb.10775:                            ;   in Loop: Header=BB4_9658 Depth=3
	v_and_b32_e32 v26, 0x7fffffff, v12
	v_mov_b32_e32 v27, v3
	v_cmp_gt_u64_e32 vcc, s[72:73], v[26:27]
	v_and_b32_sdwa v48, v12, s70 dst_sel:DWORD dst_unused:UNUSED_PAD src0_sel:BYTE_3 src1_sel:DWORD
                                        ; implicit-def: $vgpr38
	s_and_saveexec_b64 s[28:29], vcc
	s_xor_b64 s[34:35], exec, s[28:29]
	s_cbranch_execz .LBB4_10785
; %bb.10776:                            ;   in Loop: Header=BB4_9658 Depth=3
	v_mov_b32_e32 v38, 0
	v_cmp_ne_u32_e32 vcc, 0, v12
	s_and_saveexec_b64 s[36:37], vcc
	s_cbranch_execz .LBB4_10784
; %bb.10777:                            ;   in Loop: Header=BB4_9658 Depth=3
	v_bfe_u32 v38, v12, 23, 8
	v_and_b32_e32 v13, 0x7fffff, v12
	v_cmp_gt_u32_e64 s[28:29], s71, v38
	v_sub_u32_e32 v12, 0x79, v38
	v_cmp_eq_u32_e32 vcc, 0, v38
	v_cndmask_b32_e64 v12, 0, v12, s[28:29]
	v_mov_b32_e32 v23, 0x78
	v_or_b32_e32 v22, 0x800000, v13
	v_cndmask_b32_e32 v49, v12, v23, vcc
	v_cndmask_b32_e32 v12, v22, v13, vcc
	v_add_u32_e32 v22, 20, v49
	v_lshlrev_b64 v[26:27], v22, -1
	v_mov_b32_e32 v13, v3
	v_add_u32_e32 v22, 19, v49
	v_bfi_b32 v26, v26, 0, v12
	v_lshlrev_b64 v[51:52], v22, 1
	v_lshrrev_b64 v[12:13], v49, v[12:13]
	v_bfi_b32 v27, v27, 0, 0
	v_cmp_eq_u64_e64 s[28:29], v[26:27], v[51:52]
	v_mov_b32_e32 v56, v13
	v_mov_b32_e32 v55, v12
	s_and_saveexec_b64 s[38:39], s[28:29]
; %bb.10778:                            ;   in Loop: Header=BB4_9658 Depth=3
	v_bfe_u32 v13, v12, 20, 1
	v_add_co_u32_e64 v13, s[28:29], v12, v13
	v_add_co_u32_e64 v55, s[28:29], -1, v13
; %bb.10779:                            ;   in Loop: Header=BB4_9658 Depth=3
	s_or_b64 exec, exec, s[38:39]
	v_add_u32_e32 v13, 0xffffff81, v38
	v_mov_b32_e32 v22, 0xffffff82
	v_cndmask_b32_e32 v13, v13, v22, vcc
	v_lshrrev_b32_e32 v22, 23, v12
	v_add3_u32 v51, v49, v13, v22
	v_add_u32_e32 v49, 6, v51
	v_and_b32_e32 v13, 0xfffff, v55
	v_add_u32_e32 v12, v13, v12
	v_mov_b32_e32 v13, v3
	v_cmp_ne_u32_e32 vcc, 0, v49
                                        ; implicit-def: $vgpr38
	s_and_saveexec_b64 s[28:29], vcc
	s_xor_b64 s[28:29], exec, s[28:29]
; %bb.10780:                            ;   in Loop: Header=BB4_9658 Depth=3
	v_cmp_lt_u64_e32 vcc, s[74:75], v[12:13]
	v_add_u32_e32 v22, 7, v51
	v_cndmask_b32_e32 v38, v49, v22, vcc
	v_cndmask_b32_e64 v22, 0, 1, vcc
	v_lshrrev_b64 v[12:13], v22, v[12:13]
; %bb.10781:                            ;   in Loop: Header=BB4_9658 Depth=3
	s_andn2_saveexec_b64 s[28:29], s[28:29]
; %bb.10782:                            ;   in Loop: Header=BB4_9658 Depth=3
	v_bfe_u32 v38, v12, 23, 1
; %bb.10783:                            ;   in Loop: Header=BB4_9658 Depth=3
	s_or_b64 exec, exec, s[28:29]
	v_lshrrev_b64 v[12:13], 20, v[12:13]
	v_cmp_gt_i32_e32 vcc, 16, v38
	v_cndmask_b32_e32 v13, 0, v13, vcc
	v_cndmask_b32_e32 v12, 7, v12, vcc
	v_cmp_eq_u64_e64 s[28:29], 0, v[12:13]
	v_min_i32_e32 v13, 15, v38
	v_lshlrev_b32_e32 v13, 3, v13
	v_cmp_eq_u32_e32 vcc, 0, v38
	v_and_b32_e32 v13, 0xf8, v13
	v_and_or_b32 v12, v12, 7, v13
	s_and_b64 s[28:29], vcc, s[28:29]
	v_cndmask_b32_e64 v12, v12, 0, s[28:29]
	v_or_b32_e32 v38, v12, v48
.LBB4_10784:                            ;   in Loop: Header=BB4_9658 Depth=3
	s_or_b64 exec, exec, s[36:37]
                                        ; implicit-def: $vgpr48
.LBB4_10785:                            ;   in Loop: Header=BB4_9658 Depth=3
	s_andn2_saveexec_b64 s[28:29], s[34:35]
; %bb.10786:                            ;   in Loop: Header=BB4_9658 Depth=3
	v_or_b32_e32 v38, 0x7e, v48
; %bb.10787:                            ;   in Loop: Header=BB4_9658 Depth=3
	s_or_b64 exec, exec, s[28:29]
                                        ; implicit-def: $vgpr12
.LBB4_10788:                            ;   in Loop: Header=BB4_9658 Depth=3
	s_andn2_saveexec_b64 s[28:29], s[30:31]
; %bb.10789:                            ;   in Loop: Header=BB4_9658 Depth=3
	v_or_b32_sdwa v38, v12, s68 dst_sel:DWORD dst_unused:UNUSED_PAD src0_sel:BYTE_3 src1_sel:DWORD
; %bb.10790:                            ;   in Loop: Header=BB4_9658 Depth=3
	s_or_b64 exec, exec, s[28:29]
	v_cmp_lt_u32_e32 vcc, s57, v2
	v_mov_b32_e32 v13, 0
	v_mov_b32_e32 v48, 0
	s_and_saveexec_b64 s[28:29], vcc
	s_cbranch_execz .LBB4_10796
; %bb.10791:                            ;   in Loop: Header=BB4_9658 Depth=3
	v_lshrrev_b32_e32 v12, 24, v2
	v_cmp_ne_u32_sdwa vcc, v2, s70 src0_sel:BYTE_3 src1_sel:DWORD
	v_bfrev_b32_e32 v48, 1
	s_and_saveexec_b64 s[30:31], vcc
	s_cbranch_execz .LBB4_10795
; %bb.10792:                            ;   in Loop: Header=BB4_9658 Depth=3
	v_bfe_u32 v49, v2, 24, 7
	v_cmp_ne_u32_e32 vcc, s68, v49
	v_mov_b32_e32 v48, 0x7f800001
	s_and_saveexec_b64 s[34:35], vcc
	s_cbranch_execz .LBB4_10794
; %bb.10793:                            ;   in Loop: Header=BB4_9658 Depth=3
	v_and_b32_e32 v22, 7, v12
	v_ffbh_u32_e32 v26, v22
	v_min_u32_e32 v31, 32, v26
	v_subrev_u32_e32 v26, 28, v31
	v_lshlrev_b64 v[26:27], v26, v[12:13]
	v_lshrrev_b32_e32 v23, 3, v49
	v_cmp_gt_u32_e32 vcc, 8, v49
	v_sub_u32_e32 v12, 29, v31
	v_and_b32_e32 v26, 7, v26
	v_cndmask_b32_e32 v12, v23, v12, vcc
	v_mov_b32_e32 v23, 24
	v_cndmask_b32_e32 v22, v22, v26, vcc
	v_lshlrev_b32_sdwa v2, v23, v2 dst_sel:DWORD dst_unused:UNUSED_PAD src0_sel:DWORD src1_sel:BYTE_3
	v_lshlrev_b32_e32 v22, 20, v22
	v_and_b32_e32 v2, 0x80000000, v2
	v_lshl_add_u32 v12, v12, 23, v5
	v_or3_b32 v48, v2, v12, v22
.LBB4_10794:                            ;   in Loop: Header=BB4_9658 Depth=3
	s_or_b64 exec, exec, s[34:35]
.LBB4_10795:                            ;   in Loop: Header=BB4_9658 Depth=3
	s_or_b64 exec, exec, s[30:31]
.LBB4_10796:                            ;   in Loop: Header=BB4_9658 Depth=3
	s_or_b64 exec, exec, s[28:29]
	v_cmp_lt_u64_e32 vcc, s[56:57], v[14:15]
	s_and_saveexec_b64 s[28:29], vcc
	s_cbranch_execz .LBB4_10802
; %bb.10797:                            ;   in Loop: Header=BB4_9658 Depth=3
	v_lshrrev_b32_e32 v2, 24, v15
	v_cmp_ne_u32_e32 vcc, s70, v2
	v_bfrev_b32_e32 v13, 1
	s_and_saveexec_b64 s[30:31], vcc
	s_cbranch_execz .LBB4_10801
; %bb.10798:                            ;   in Loop: Header=BB4_9658 Depth=3
	v_bfe_u32 v12, v15, 24, 7
	v_cmp_ne_u32_e32 vcc, s68, v12
	v_mov_b32_e32 v13, 0x7f800001
	s_and_saveexec_b64 s[34:35], vcc
	s_cbranch_execz .LBB4_10800
; %bb.10799:                            ;   in Loop: Header=BB4_9658 Depth=3
	v_and_b32_e32 v14, 7, v2
	v_lshrrev_b32_e32 v15, 3, v12
	v_cmp_gt_u32_e32 vcc, 8, v12
	v_ffbh_u32_e32 v12, v14
	v_min_u32_e32 v22, 32, v12
	v_subrev_u32_e32 v12, 28, v22
	v_lshlrev_b64 v[12:13], v12, v[2:3]
	v_sub_u32_e32 v13, 29, v22
	v_and_b32_e32 v12, 7, v12
	v_cndmask_b32_e32 v13, v15, v13, vcc
	v_cndmask_b32_e32 v12, v14, v12, vcc
	v_lshlrev_b32_e32 v2, 24, v2
	v_lshlrev_b32_e32 v12, 20, v12
	v_and_b32_e32 v2, 0x80000000, v2
	v_lshl_add_u32 v13, v13, 23, v5
	v_or3_b32 v13, v2, v13, v12
.LBB4_10800:                            ;   in Loop: Header=BB4_9658 Depth=3
	s_or_b64 exec, exec, s[34:35]
.LBB4_10801:                            ;   in Loop: Header=BB4_9658 Depth=3
	s_or_b64 exec, exec, s[30:31]
.LBB4_10802:                            ;   in Loop: Header=BB4_9658 Depth=3
	s_or_b64 exec, exec, s[28:29]
	v_add_f32_e32 v12, v48, v13
	v_and_b32_e32 v2, 0x7f800000, v12
	v_cmp_ne_u64_e32 vcc, s[62:63], v[2:3]
                                        ; implicit-def: $vgpr15
	s_and_saveexec_b64 s[28:29], vcc
	s_xor_b64 s[30:31], exec, s[28:29]
	s_cbranch_execz .LBB4_10816
; %bb.10803:                            ;   in Loop: Header=BB4_9658 Depth=3
	v_and_b32_e32 v2, 0x7fffffff, v12
	v_cmp_gt_u64_e32 vcc, s[72:73], v[2:3]
	v_and_b32_sdwa v48, v12, s70 dst_sel:DWORD dst_unused:UNUSED_PAD src0_sel:BYTE_3 src1_sel:DWORD
                                        ; implicit-def: $vgpr15
	s_and_saveexec_b64 s[28:29], vcc
	s_xor_b64 s[34:35], exec, s[28:29]
	s_cbranch_execz .LBB4_10813
; %bb.10804:                            ;   in Loop: Header=BB4_9658 Depth=3
	v_mov_b32_e32 v15, 0
	v_cmp_ne_u32_e32 vcc, 0, v12
	s_and_saveexec_b64 s[36:37], vcc
	s_cbranch_execz .LBB4_10812
; %bb.10805:                            ;   in Loop: Header=BB4_9658 Depth=3
	v_bfe_u32 v15, v12, 23, 8
	v_and_b32_e32 v2, 0x7fffff, v12
	v_cmp_gt_u32_e64 s[28:29], s71, v15
	v_sub_u32_e32 v12, 0x79, v15
	v_cmp_eq_u32_e32 vcc, 0, v15
	v_cndmask_b32_e64 v12, 0, v12, s[28:29]
	v_mov_b32_e32 v14, 0x78
	v_cndmask_b32_e32 v49, v12, v14, vcc
	v_or_b32_e32 v13, 0x800000, v2
	v_add_u32_e32 v12, 20, v49
	v_cndmask_b32_e32 v2, v13, v2, vcc
	v_lshlrev_b64 v[12:13], v12, -1
	v_add_u32_e32 v14, 19, v49
	v_lshlrev_b64 v[26:27], v14, 1
	v_bfi_b32 v13, v13, 0, 0
	v_bfi_b32 v12, v12, 0, v2
	v_cmp_eq_u64_e64 s[28:29], v[12:13], v[26:27]
	v_lshrrev_b64 v[12:13], v49, v[2:3]
	v_mov_b32_e32 v14, v13
	v_mov_b32_e32 v13, v12
	s_and_saveexec_b64 s[38:39], s[28:29]
; %bb.10806:                            ;   in Loop: Header=BB4_9658 Depth=3
	v_bfe_u32 v2, v12, 20, 1
	v_add_co_u32_e64 v2, s[28:29], v12, v2
	v_add_co_u32_e64 v13, s[28:29], -1, v2
; %bb.10807:                            ;   in Loop: Header=BB4_9658 Depth=3
	s_or_b64 exec, exec, s[38:39]
	v_add_u32_e32 v2, 0xffffff81, v15
	v_mov_b32_e32 v14, 0xffffff82
	v_cndmask_b32_e32 v2, v2, v14, vcc
	v_lshrrev_b32_e32 v14, 23, v12
	v_add3_u32 v49, v49, v2, v14
	v_add_u32_e32 v15, 6, v49
	v_and_b32_e32 v2, 0xfffff, v13
	v_add_u32_e32 v2, v2, v12
	v_cmp_ne_u32_e32 vcc, 0, v15
                                        ; implicit-def: $vgpr12_vgpr13
                                        ; implicit-def: $vgpr14
	s_and_saveexec_b64 s[28:29], vcc
	s_xor_b64 s[28:29], exec, s[28:29]
; %bb.10808:                            ;   in Loop: Header=BB4_9658 Depth=3
	v_cmp_lt_u64_e32 vcc, s[74:75], v[2:3]
	v_add_u32_e32 v12, 7, v49
	v_cndmask_b32_e32 v14, v15, v12, vcc
	v_cndmask_b32_e64 v12, 0, 1, vcc
	v_lshrrev_b64 v[12:13], v12, v[2:3]
; %bb.10809:                            ;   in Loop: Header=BB4_9658 Depth=3
	s_andn2_saveexec_b64 s[28:29], s[28:29]
; %bb.10810:                            ;   in Loop: Header=BB4_9658 Depth=3
	v_mov_b32_e32 v13, v3
	v_bfe_u32 v14, v2, 23, 1
	v_mov_b32_e32 v12, v2
; %bb.10811:                            ;   in Loop: Header=BB4_9658 Depth=3
	s_or_b64 exec, exec, s[28:29]
	v_lshrrev_b64 v[12:13], 20, v[12:13]
	v_cmp_gt_i32_e32 vcc, 16, v14
	v_cndmask_b32_e32 v13, 0, v13, vcc
	v_cndmask_b32_e32 v12, 7, v12, vcc
	v_min_i32_e32 v2, 15, v14
	v_cmp_eq_u64_e64 s[28:29], 0, v[12:13]
	v_lshlrev_b32_e32 v2, 3, v2
	v_cmp_eq_u32_e32 vcc, 0, v14
	v_and_b32_e32 v2, 0xf8, v2
	v_and_or_b32 v2, v12, 7, v2
	s_and_b64 s[28:29], vcc, s[28:29]
	v_cndmask_b32_e64 v2, v2, 0, s[28:29]
	v_or_b32_e32 v15, v2, v48
.LBB4_10812:                            ;   in Loop: Header=BB4_9658 Depth=3
	s_or_b64 exec, exec, s[36:37]
                                        ; implicit-def: $vgpr48
.LBB4_10813:                            ;   in Loop: Header=BB4_9658 Depth=3
	s_andn2_saveexec_b64 s[28:29], s[34:35]
; %bb.10814:                            ;   in Loop: Header=BB4_9658 Depth=3
	v_or_b32_e32 v15, 0x7e, v48
; %bb.10815:                            ;   in Loop: Header=BB4_9658 Depth=3
	s_or_b64 exec, exec, s[28:29]
                                        ; implicit-def: $vgpr12
.LBB4_10816:                            ;   in Loop: Header=BB4_9658 Depth=3
	s_andn2_saveexec_b64 s[28:29], s[30:31]
; %bb.10817:                            ;   in Loop: Header=BB4_9658 Depth=3
	v_or_b32_sdwa v15, v12, s68 dst_sel:DWORD dst_unused:UNUSED_PAD src0_sel:BYTE_3 src1_sel:DWORD
; %bb.10818:                            ;   in Loop: Header=BB4_9658 Depth=3
	s_or_b64 exec, exec, s[28:29]
	v_lshl_or_b32 v48, v59, 8, v35
	v_lshlrev_b32_e32 v2, 16, v60
	v_lshlrev_b32_e32 v12, 24, v41
	v_or3_b32 v2, v2, v12, v48
	v_cmp_ne_u32_e32 vcc, 0, v35
	v_mov_b32_e32 v12, 0
	v_mov_b32_e32 v13, 0
	s_and_saveexec_b64 s[28:29], vcc
	s_cbranch_execz .LBB4_10824
; %bb.10819:                            ;   in Loop: Header=BB4_9658 Depth=3
	v_cmp_ne_u32_e32 vcc, s70, v35
	v_bfrev_b32_e32 v13, 1
	s_and_saveexec_b64 s[30:31], vcc
	s_cbranch_execz .LBB4_10823
; %bb.10820:                            ;   in Loop: Header=BB4_9658 Depth=3
	v_and_b32_e32 v14, 0x7f, v35
	v_cmp_ne_u32_e32 vcc, s68, v14
	v_mov_b32_e32 v13, 0x7f800001
	s_and_saveexec_b64 s[34:35], vcc
	s_cbranch_execz .LBB4_10822
; %bb.10821:                            ;   in Loop: Header=BB4_9658 Depth=3
	v_and_b32_e32 v13, 7, v35
	v_ffbh_u32_e32 v13, v13
	v_min_u32_e32 v13, 32, v13
	v_lshrrev_b32_e32 v22, 3, v14
	v_cmp_gt_u32_e32 vcc, 8, v14
	v_subrev_u32_e32 v14, 28, v13
	v_sub_u32_e32 v13, 29, v13
	v_cndmask_b32_e32 v22, v22, v13, vcc
	v_cndmask_b32_e32 v13, 0, v14, vcc
	v_lshlrev_b64 v[13:14], v13, v[2:3]
	v_lshlrev_b32_e32 v14, 24, v2
	v_lshlrev_b32_e32 v13, 20, v13
	v_and_b32_e32 v13, 0x700000, v13
	v_and_b32_e32 v14, 0x80000000, v14
	v_lshl_add_u32 v22, v22, 23, v5
	v_or3_b32 v13, v14, v22, v13
.LBB4_10822:                            ;   in Loop: Header=BB4_9658 Depth=3
	s_or_b64 exec, exec, s[34:35]
.LBB4_10823:                            ;   in Loop: Header=BB4_9658 Depth=3
	s_or_b64 exec, exec, s[30:31]
.LBB4_10824:                            ;   in Loop: Header=BB4_9658 Depth=3
	s_or_b64 exec, exec, s[28:29]
	s_waitcnt vmcnt(0)
	v_cmp_ne_u16_sdwa vcc, v8, v3 src0_sel:BYTE_0 src1_sel:DWORD
	s_and_saveexec_b64 s[28:29], vcc
	s_cbranch_execz .LBB4_10830
; %bb.10825:                            ;   in Loop: Header=BB4_9658 Depth=3
	v_cmp_ne_u16_sdwa vcc, v8, s70 src0_sel:BYTE_0 src1_sel:DWORD
	v_bfrev_b32_e32 v12, 1
	s_and_saveexec_b64 s[30:31], vcc
	s_cbranch_execz .LBB4_10829
; %bb.10826:                            ;   in Loop: Header=BB4_9658 Depth=3
	v_and_b32_e32 v14, 0x7f, v8
	v_cmp_ne_u32_e32 vcc, s68, v14
	v_mov_b32_e32 v12, 0x7f800001
	s_and_saveexec_b64 s[34:35], vcc
	s_cbranch_execz .LBB4_10828
; %bb.10827:                            ;   in Loop: Header=BB4_9658 Depth=3
	v_and_b32_e32 v12, 7, v8
	v_ffbh_u32_e32 v12, v12
	v_min_u32_e32 v12, 32, v12
	v_lshrrev_b32_e32 v22, 3, v14
	v_cmp_gt_u32_e32 vcc, 8, v14
	v_subrev_u32_e32 v14, 28, v12
	v_cndmask_b32_e32 v14, 0, v14, vcc
	v_lshlrev_b64 v[26:27], v14, v[8:9]
	v_sub_u32_e32 v12, 29, v12
	v_cndmask_b32_e32 v12, v22, v12, vcc
	v_lshlrev_b32_e32 v14, 20, v26
	v_lshlrev_b32_e32 v22, 24, v8
	v_and_b32_e32 v14, 0x700000, v14
	v_and_b32_e32 v22, 0x80000000, v22
	v_lshl_add_u32 v12, v12, 23, v5
	v_or3_b32 v12, v22, v12, v14
.LBB4_10828:                            ;   in Loop: Header=BB4_9658 Depth=3
	s_or_b64 exec, exec, s[34:35]
.LBB4_10829:                            ;   in Loop: Header=BB4_9658 Depth=3
	s_or_b64 exec, exec, s[30:31]
.LBB4_10830:                            ;   in Loop: Header=BB4_9658 Depth=3
	s_or_b64 exec, exec, s[28:29]
	v_add_f32_e32 v12, v13, v12
	v_and_b32_e32 v13, 0x7f800000, v12
	v_mov_b32_e32 v14, v3
	v_cmp_ne_u64_e32 vcc, s[62:63], v[13:14]
                                        ; implicit-def: $vgpr35
	s_and_saveexec_b64 s[28:29], vcc
	s_xor_b64 s[30:31], exec, s[28:29]
	s_cbranch_execz .LBB4_10844
; %bb.10831:                            ;   in Loop: Header=BB4_9658 Depth=3
	v_and_b32_e32 v13, 0x7fffffff, v12
	v_mov_b32_e32 v14, v3
	v_cmp_gt_u64_e32 vcc, s[72:73], v[13:14]
	v_and_b32_sdwa v49, v12, s70 dst_sel:DWORD dst_unused:UNUSED_PAD src0_sel:BYTE_3 src1_sel:DWORD
                                        ; implicit-def: $vgpr35
	s_and_saveexec_b64 s[28:29], vcc
	s_xor_b64 s[34:35], exec, s[28:29]
	s_cbranch_execz .LBB4_10841
; %bb.10832:                            ;   in Loop: Header=BB4_9658 Depth=3
	v_mov_b32_e32 v35, 0
	v_cmp_ne_u32_e32 vcc, 0, v12
	s_and_saveexec_b64 s[36:37], vcc
	s_cbranch_execz .LBB4_10840
; %bb.10833:                            ;   in Loop: Header=BB4_9658 Depth=3
	v_bfe_u32 v35, v12, 23, 8
	v_and_b32_e32 v13, 0x7fffff, v12
	v_cmp_gt_u32_e64 s[28:29], s71, v35
	v_sub_u32_e32 v12, 0x79, v35
	v_cmp_eq_u32_e32 vcc, 0, v35
	v_cndmask_b32_e64 v12, 0, v12, s[28:29]
	v_mov_b32_e32 v22, 0x78
	v_or_b32_e32 v14, 0x800000, v13
	v_cndmask_b32_e32 v51, v12, v22, vcc
	v_cndmask_b32_e32 v12, v14, v13, vcc
	v_add_u32_e32 v14, 20, v51
	v_lshlrev_b64 v[26:27], v14, -1
	v_mov_b32_e32 v13, v3
	v_add_u32_e32 v14, 19, v51
	v_bfi_b32 v26, v26, 0, v12
	v_lshlrev_b64 v[54:55], v14, 1
	v_lshrrev_b64 v[12:13], v51, v[12:13]
	v_bfi_b32 v27, v27, 0, 0
	v_cmp_eq_u64_e64 s[28:29], v[26:27], v[54:55]
	v_mov_b32_e32 v14, v13
	v_mov_b32_e32 v13, v12
	s_and_saveexec_b64 s[38:39], s[28:29]
; %bb.10834:                            ;   in Loop: Header=BB4_9658 Depth=3
	v_bfe_u32 v13, v12, 20, 1
	v_add_co_u32_e64 v13, s[28:29], v12, v13
	v_add_co_u32_e64 v13, s[28:29], -1, v13
; %bb.10835:                            ;   in Loop: Header=BB4_9658 Depth=3
	s_or_b64 exec, exec, s[38:39]
	v_add_u32_e32 v14, 0xffffff81, v35
	v_mov_b32_e32 v22, 0xffffff82
	v_cndmask_b32_e32 v14, v14, v22, vcc
	v_lshrrev_b32_e32 v22, 23, v12
	v_add3_u32 v51, v51, v14, v22
	v_add_u32_e32 v35, 6, v51
	v_and_b32_e32 v13, 0xfffff, v13
	v_add_u32_e32 v12, v13, v12
	v_mov_b32_e32 v13, v3
	v_cmp_ne_u32_e32 vcc, 0, v35
                                        ; implicit-def: $vgpr14
	s_and_saveexec_b64 s[28:29], vcc
	s_xor_b64 s[28:29], exec, s[28:29]
; %bb.10836:                            ;   in Loop: Header=BB4_9658 Depth=3
	v_cmp_lt_u64_e32 vcc, s[74:75], v[12:13]
	v_add_u32_e32 v14, 7, v51
	v_cndmask_b32_e64 v22, 0, 1, vcc
	v_lshrrev_b64 v[12:13], v22, v[12:13]
	v_cndmask_b32_e32 v14, v35, v14, vcc
; %bb.10837:                            ;   in Loop: Header=BB4_9658 Depth=3
	s_andn2_saveexec_b64 s[28:29], s[28:29]
; %bb.10838:                            ;   in Loop: Header=BB4_9658 Depth=3
	v_bfe_u32 v14, v12, 23, 1
; %bb.10839:                            ;   in Loop: Header=BB4_9658 Depth=3
	s_or_b64 exec, exec, s[28:29]
	v_lshrrev_b64 v[12:13], 20, v[12:13]
	v_cmp_gt_i32_e32 vcc, 16, v14
	v_cndmask_b32_e32 v13, 0, v13, vcc
	v_cndmask_b32_e32 v12, 7, v12, vcc
	v_cmp_eq_u64_e64 s[28:29], 0, v[12:13]
	v_min_i32_e32 v13, 15, v14
	v_lshlrev_b32_e32 v13, 3, v13
	v_cmp_eq_u32_e32 vcc, 0, v14
	v_and_b32_e32 v13, 0xf8, v13
	v_and_or_b32 v12, v12, 7, v13
	s_and_b64 s[28:29], vcc, s[28:29]
	v_cndmask_b32_e64 v12, v12, 0, s[28:29]
	v_or_b32_e32 v35, v12, v49
.LBB4_10840:                            ;   in Loop: Header=BB4_9658 Depth=3
	s_or_b64 exec, exec, s[36:37]
                                        ; implicit-def: $vgpr49
.LBB4_10841:                            ;   in Loop: Header=BB4_9658 Depth=3
	s_andn2_saveexec_b64 s[28:29], s[34:35]
; %bb.10842:                            ;   in Loop: Header=BB4_9658 Depth=3
	v_or_b32_e32 v35, 0x7e, v49
; %bb.10843:                            ;   in Loop: Header=BB4_9658 Depth=3
	s_or_b64 exec, exec, s[28:29]
                                        ; implicit-def: $vgpr12
.LBB4_10844:                            ;   in Loop: Header=BB4_9658 Depth=3
	s_andn2_saveexec_b64 s[28:29], s[30:31]
; %bb.10845:                            ;   in Loop: Header=BB4_9658 Depth=3
	v_or_b32_sdwa v35, v12, s68 dst_sel:DWORD dst_unused:UNUSED_PAD src0_sel:BYTE_3 src1_sel:DWORD
; %bb.10846:                            ;   in Loop: Header=BB4_9658 Depth=3
	s_or_b64 exec, exec, s[28:29]
	v_lshrrev_b16_e32 v12, 8, v48
	v_cmp_ne_u16_e32 vcc, 0, v12
	v_mov_b32_e32 v13, 0
	v_mov_b32_e32 v14, 0
	s_and_saveexec_b64 s[28:29], vcc
	s_cbranch_execz .LBB4_10852
; %bb.10847:                            ;   in Loop: Header=BB4_9658 Depth=3
	v_cmp_ne_u16_e32 vcc, s70, v12
	v_bfrev_b32_e32 v14, 1
	s_and_saveexec_b64 s[30:31], vcc
	s_cbranch_execz .LBB4_10851
; %bb.10848:                            ;   in Loop: Header=BB4_9658 Depth=3
	v_and_b32_e32 v49, 0x7f, v12
	v_cmp_ne_u32_e32 vcc, s68, v49
	v_mov_b32_e32 v14, 0x7f800001
	s_and_saveexec_b64 s[34:35], vcc
	s_cbranch_execz .LBB4_10850
; %bb.10849:                            ;   in Loop: Header=BB4_9658 Depth=3
	v_and_b32_e32 v14, 7, v12
	v_ffbh_u32_e32 v23, v14
	v_min_u32_e32 v23, 32, v23
	v_subrev_u32_e32 v26, 28, v23
	v_lshlrev_b64 v[26:27], v26, v[12:13]
	v_lshrrev_b32_e32 v22, 3, v49
	v_cmp_gt_u32_e32 vcc, 8, v49
	v_sub_u32_e32 v12, 29, v23
	v_and_b32_e32 v23, 7, v26
	v_cndmask_b32_e32 v12, v22, v12, vcc
	v_cndmask_b32_e32 v14, v14, v23, vcc
	v_lshlrev_b32_e32 v22, 16, v48
	v_lshlrev_b32_e32 v14, 20, v14
	v_and_b32_e32 v22, 0x80000000, v22
	v_lshl_add_u32 v12, v12, 23, v5
	v_or3_b32 v14, v22, v12, v14
.LBB4_10850:                            ;   in Loop: Header=BB4_9658 Depth=3
	s_or_b64 exec, exec, s[34:35]
.LBB4_10851:                            ;   in Loop: Header=BB4_9658 Depth=3
	s_or_b64 exec, exec, s[30:31]
.LBB4_10852:                            ;   in Loop: Header=BB4_9658 Depth=3
	s_or_b64 exec, exec, s[28:29]
	v_lshrrev_b16_e32 v12, 8, v8
	v_cmp_ne_u16_e32 vcc, 0, v12
	s_and_saveexec_b64 s[28:29], vcc
	s_cbranch_execz .LBB4_10858
; %bb.10853:                            ;   in Loop: Header=BB4_9658 Depth=3
	v_cmp_ne_u16_e32 vcc, s70, v12
	v_bfrev_b32_e32 v13, 1
	s_and_saveexec_b64 s[30:31], vcc
	s_cbranch_execz .LBB4_10857
; %bb.10854:                            ;   in Loop: Header=BB4_9658 Depth=3
	v_and_b32_e32 v48, 0x7f, v12
	v_cmp_ne_u32_e32 vcc, s68, v48
	v_mov_b32_e32 v13, 0x7f800001
	s_and_saveexec_b64 s[34:35], vcc
	s_cbranch_execz .LBB4_10856
; %bb.10855:                            ;   in Loop: Header=BB4_9658 Depth=3
	v_and_b32_e32 v22, 7, v12
	v_ffbh_u32_e32 v13, v22
	v_min_u32_e32 v26, 32, v13
	v_subrev_u32_e32 v13, 28, v26
	v_lshlrev_b64 v[12:13], v13, v[12:13]
	v_lshrrev_b32_e32 v23, 3, v48
	v_cmp_gt_u32_e32 vcc, 8, v48
	v_sub_u32_e32 v13, 29, v26
	v_and_b32_e32 v12, 7, v12
	v_cndmask_b32_e32 v13, v23, v13, vcc
	v_cndmask_b32_e32 v12, v22, v12, vcc
	v_lshlrev_b32_e32 v22, 16, v8
	v_lshlrev_b32_e32 v12, 20, v12
	v_and_b32_e32 v22, 0x80000000, v22
	v_lshl_add_u32 v13, v13, 23, v5
	v_or3_b32 v13, v22, v13, v12
.LBB4_10856:                            ;   in Loop: Header=BB4_9658 Depth=3
	s_or_b64 exec, exec, s[34:35]
.LBB4_10857:                            ;   in Loop: Header=BB4_9658 Depth=3
	s_or_b64 exec, exec, s[30:31]
.LBB4_10858:                            ;   in Loop: Header=BB4_9658 Depth=3
	s_or_b64 exec, exec, s[28:29]
	v_add_f32_e32 v12, v14, v13
	v_and_b32_e32 v13, 0x7f800000, v12
	v_mov_b32_e32 v14, v3
	v_cmp_ne_u64_e32 vcc, s[62:63], v[13:14]
                                        ; implicit-def: $vgpr48
	s_and_saveexec_b64 s[28:29], vcc
	s_xor_b64 s[30:31], exec, s[28:29]
	s_cbranch_execz .LBB4_10872
; %bb.10859:                            ;   in Loop: Header=BB4_9658 Depth=3
	v_and_b32_e32 v13, 0x7fffffff, v12
	v_mov_b32_e32 v14, v3
	v_cmp_gt_u64_e32 vcc, s[72:73], v[13:14]
	v_and_b32_sdwa v49, v12, s70 dst_sel:DWORD dst_unused:UNUSED_PAD src0_sel:BYTE_3 src1_sel:DWORD
                                        ; implicit-def: $vgpr48
	s_and_saveexec_b64 s[28:29], vcc
	s_xor_b64 s[34:35], exec, s[28:29]
	s_cbranch_execz .LBB4_10869
; %bb.10860:                            ;   in Loop: Header=BB4_9658 Depth=3
	v_mov_b32_e32 v48, 0
	v_cmp_ne_u32_e32 vcc, 0, v12
	s_and_saveexec_b64 s[36:37], vcc
	s_cbranch_execz .LBB4_10868
; %bb.10861:                            ;   in Loop: Header=BB4_9658 Depth=3
	v_bfe_u32 v48, v12, 23, 8
	v_and_b32_e32 v13, 0x7fffff, v12
	v_cmp_gt_u32_e64 s[28:29], s71, v48
	v_sub_u32_e32 v12, 0x79, v48
	v_cmp_eq_u32_e32 vcc, 0, v48
	v_cndmask_b32_e64 v12, 0, v12, s[28:29]
	v_mov_b32_e32 v22, 0x78
	v_or_b32_e32 v14, 0x800000, v13
	v_cndmask_b32_e32 v51, v12, v22, vcc
	v_cndmask_b32_e32 v12, v14, v13, vcc
	v_add_u32_e32 v14, 20, v51
	v_lshlrev_b64 v[26:27], v14, -1
	v_mov_b32_e32 v13, v3
	v_add_u32_e32 v14, 19, v51
	v_bfi_b32 v26, v26, 0, v12
	v_lshlrev_b64 v[54:55], v14, 1
	v_lshrrev_b64 v[12:13], v51, v[12:13]
	v_bfi_b32 v27, v27, 0, 0
	v_cmp_eq_u64_e64 s[28:29], v[26:27], v[54:55]
	v_mov_b32_e32 v14, v13
	v_mov_b32_e32 v13, v12
	s_and_saveexec_b64 s[38:39], s[28:29]
; %bb.10862:                            ;   in Loop: Header=BB4_9658 Depth=3
	v_bfe_u32 v13, v12, 20, 1
	v_add_co_u32_e64 v13, s[28:29], v12, v13
	v_add_co_u32_e64 v13, s[28:29], -1, v13
; %bb.10863:                            ;   in Loop: Header=BB4_9658 Depth=3
	s_or_b64 exec, exec, s[38:39]
	v_add_u32_e32 v14, 0xffffff81, v48
	v_mov_b32_e32 v22, 0xffffff82
	v_cndmask_b32_e32 v14, v14, v22, vcc
	v_lshrrev_b32_e32 v22, 23, v12
	v_add3_u32 v51, v51, v14, v22
	v_add_u32_e32 v48, 6, v51
	v_and_b32_e32 v13, 0xfffff, v13
	v_add_u32_e32 v12, v13, v12
	v_mov_b32_e32 v13, v3
	v_cmp_ne_u32_e32 vcc, 0, v48
                                        ; implicit-def: $vgpr14
	s_and_saveexec_b64 s[28:29], vcc
	s_xor_b64 s[28:29], exec, s[28:29]
; %bb.10864:                            ;   in Loop: Header=BB4_9658 Depth=3
	v_cmp_lt_u64_e32 vcc, s[74:75], v[12:13]
	v_add_u32_e32 v14, 7, v51
	v_cndmask_b32_e64 v22, 0, 1, vcc
	v_lshrrev_b64 v[12:13], v22, v[12:13]
	v_cndmask_b32_e32 v14, v48, v14, vcc
; %bb.10865:                            ;   in Loop: Header=BB4_9658 Depth=3
	s_andn2_saveexec_b64 s[28:29], s[28:29]
; %bb.10866:                            ;   in Loop: Header=BB4_9658 Depth=3
	v_bfe_u32 v14, v12, 23, 1
; %bb.10867:                            ;   in Loop: Header=BB4_9658 Depth=3
	s_or_b64 exec, exec, s[28:29]
	v_lshrrev_b64 v[12:13], 20, v[12:13]
	v_cmp_gt_i32_e32 vcc, 16, v14
	v_cndmask_b32_e32 v13, 0, v13, vcc
	v_cndmask_b32_e32 v12, 7, v12, vcc
	v_cmp_eq_u64_e64 s[28:29], 0, v[12:13]
	v_min_i32_e32 v13, 15, v14
	v_lshlrev_b32_e32 v13, 3, v13
	v_cmp_eq_u32_e32 vcc, 0, v14
	v_and_b32_e32 v13, 0xf8, v13
	v_and_or_b32 v12, v12, 7, v13
	s_and_b64 s[28:29], vcc, s[28:29]
	v_cndmask_b32_e64 v12, v12, 0, s[28:29]
	v_or_b32_e32 v48, v12, v49
.LBB4_10868:                            ;   in Loop: Header=BB4_9658 Depth=3
	s_or_b64 exec, exec, s[36:37]
                                        ; implicit-def: $vgpr49
.LBB4_10869:                            ;   in Loop: Header=BB4_9658 Depth=3
	s_andn2_saveexec_b64 s[28:29], s[34:35]
; %bb.10870:                            ;   in Loop: Header=BB4_9658 Depth=3
	v_or_b32_e32 v48, 0x7e, v49
; %bb.10871:                            ;   in Loop: Header=BB4_9658 Depth=3
	s_or_b64 exec, exec, s[28:29]
                                        ; implicit-def: $vgpr12
.LBB4_10872:                            ;   in Loop: Header=BB4_9658 Depth=3
	s_andn2_saveexec_b64 s[28:29], s[30:31]
; %bb.10873:                            ;   in Loop: Header=BB4_9658 Depth=3
	v_or_b32_sdwa v48, v12, s68 dst_sel:DWORD dst_unused:UNUSED_PAD src0_sel:BYTE_3 src1_sel:DWORD
; %bb.10874:                            ;   in Loop: Header=BB4_9658 Depth=3
	s_or_b64 exec, exec, s[28:29]
	v_lshrrev_b32_e32 v12, 16, v2
	v_cmp_ne_u16_sdwa vcc, v12, v3 src0_sel:BYTE_0 src1_sel:DWORD
	v_mov_b32_e32 v13, 0
	v_mov_b32_e32 v14, 0
	s_and_saveexec_b64 s[28:29], vcc
	s_cbranch_execz .LBB4_10880
; %bb.10875:                            ;   in Loop: Header=BB4_9658 Depth=3
	v_cmp_ne_u16_sdwa vcc, v12, s70 src0_sel:BYTE_0 src1_sel:DWORD
	v_bfrev_b32_e32 v14, 1
	s_and_saveexec_b64 s[30:31], vcc
	s_cbranch_execz .LBB4_10879
; %bb.10876:                            ;   in Loop: Header=BB4_9658 Depth=3
	v_bfe_u32 v49, v2, 16, 7
	v_cmp_ne_u32_e32 vcc, s68, v49
	v_mov_b32_e32 v14, 0x7f800001
	s_and_saveexec_b64 s[34:35], vcc
	s_cbranch_execz .LBB4_10878
; %bb.10877:                            ;   in Loop: Header=BB4_9658 Depth=3
	v_and_b32_e32 v14, 7, v12
	v_ffbh_u32_e32 v23, v14
	v_min_u32_e32 v23, 32, v23
	v_subrev_u32_e32 v26, 28, v23
	v_lshlrev_b64 v[26:27], v26, v[12:13]
	v_lshrrev_b32_e32 v22, 3, v49
	v_cmp_gt_u32_e32 vcc, 8, v49
	v_sub_u32_e32 v23, 29, v23
	v_and_b32_e32 v26, 7, v26
	v_cndmask_b32_e32 v22, v22, v23, vcc
	v_cndmask_b32_e32 v14, v14, v26, vcc
	v_lshlrev_b32_e32 v12, 24, v12
	v_lshlrev_b32_e32 v14, 20, v14
	v_and_b32_e32 v12, 0x80000000, v12
	v_lshl_add_u32 v22, v22, 23, v5
	v_or3_b32 v14, v12, v22, v14
.LBB4_10878:                            ;   in Loop: Header=BB4_9658 Depth=3
	s_or_b64 exec, exec, s[34:35]
.LBB4_10879:                            ;   in Loop: Header=BB4_9658 Depth=3
	s_or_b64 exec, exec, s[30:31]
.LBB4_10880:                            ;   in Loop: Header=BB4_9658 Depth=3
	s_or_b64 exec, exec, s[28:29]
	v_lshrrev_b32_e32 v12, 16, v8
	v_cmp_ne_u16_sdwa vcc, v12, v3 src0_sel:BYTE_0 src1_sel:DWORD
	s_and_saveexec_b64 s[28:29], vcc
	s_cbranch_execz .LBB4_10886
; %bb.10881:                            ;   in Loop: Header=BB4_9658 Depth=3
	v_cmp_ne_u16_sdwa vcc, v12, s70 src0_sel:BYTE_0 src1_sel:DWORD
	v_bfrev_b32_e32 v13, 1
	s_and_saveexec_b64 s[30:31], vcc
	s_cbranch_execz .LBB4_10885
; %bb.10882:                            ;   in Loop: Header=BB4_9658 Depth=3
	v_bfe_u32 v49, v8, 16, 7
	v_cmp_ne_u32_e32 vcc, s68, v49
	v_mov_b32_e32 v13, 0x7f800001
	s_and_saveexec_b64 s[34:35], vcc
	s_cbranch_execz .LBB4_10884
; %bb.10883:                            ;   in Loop: Header=BB4_9658 Depth=3
	v_and_b32_e32 v22, 7, v12
	v_ffbh_u32_e32 v13, v22
	v_min_u32_e32 v26, 32, v13
	v_subrev_u32_e32 v13, 28, v26
	v_lshlrev_b64 v[12:13], v13, v[12:13]
	v_lshrrev_b32_e32 v23, 3, v49
	v_cmp_gt_u32_e32 vcc, 8, v49
	v_sub_u32_e32 v13, 29, v26
	v_and_b32_e32 v12, 7, v12
	v_cndmask_b32_e32 v13, v23, v13, vcc
	v_cndmask_b32_e32 v12, v22, v12, vcc
	v_lshlrev_b32_e32 v22, 8, v8
	v_lshlrev_b32_e32 v12, 20, v12
	v_and_b32_e32 v22, 0x80000000, v22
	v_lshl_add_u32 v13, v13, 23, v5
	v_or3_b32 v13, v22, v13, v12
.LBB4_10884:                            ;   in Loop: Header=BB4_9658 Depth=3
	s_or_b64 exec, exec, s[34:35]
.LBB4_10885:                            ;   in Loop: Header=BB4_9658 Depth=3
	s_or_b64 exec, exec, s[30:31]
.LBB4_10886:                            ;   in Loop: Header=BB4_9658 Depth=3
	s_or_b64 exec, exec, s[28:29]
	v_add_f32_e32 v12, v14, v13
	v_and_b32_e32 v13, 0x7f800000, v12
	v_mov_b32_e32 v14, v3
	v_cmp_ne_u64_e32 vcc, s[62:63], v[13:14]
                                        ; implicit-def: $vgpr49
	s_and_saveexec_b64 s[28:29], vcc
	s_xor_b64 s[30:31], exec, s[28:29]
	s_cbranch_execz .LBB4_10900
; %bb.10887:                            ;   in Loop: Header=BB4_9658 Depth=3
	v_and_b32_e32 v13, 0x7fffffff, v12
	v_mov_b32_e32 v14, v3
	v_cmp_gt_u64_e32 vcc, s[72:73], v[13:14]
	v_and_b32_sdwa v51, v12, s70 dst_sel:DWORD dst_unused:UNUSED_PAD src0_sel:BYTE_3 src1_sel:DWORD
                                        ; implicit-def: $vgpr49
	s_and_saveexec_b64 s[28:29], vcc
	s_xor_b64 s[34:35], exec, s[28:29]
	s_cbranch_execz .LBB4_10897
; %bb.10888:                            ;   in Loop: Header=BB4_9658 Depth=3
	v_mov_b32_e32 v49, 0
	v_cmp_ne_u32_e32 vcc, 0, v12
	s_and_saveexec_b64 s[36:37], vcc
	s_cbranch_execz .LBB4_10896
; %bb.10889:                            ;   in Loop: Header=BB4_9658 Depth=3
	v_bfe_u32 v49, v12, 23, 8
	v_and_b32_e32 v13, 0x7fffff, v12
	v_cmp_gt_u32_e64 s[28:29], s71, v49
	v_sub_u32_e32 v12, 0x79, v49
	v_cmp_eq_u32_e32 vcc, 0, v49
	v_cndmask_b32_e64 v12, 0, v12, s[28:29]
	v_mov_b32_e32 v22, 0x78
	v_or_b32_e32 v14, 0x800000, v13
	v_cndmask_b32_e32 v52, v12, v22, vcc
	v_cndmask_b32_e32 v12, v14, v13, vcc
	v_add_u32_e32 v14, 20, v52
	v_lshlrev_b64 v[26:27], v14, -1
	v_mov_b32_e32 v13, v3
	v_add_u32_e32 v14, 19, v52
	v_bfi_b32 v26, v26, 0, v12
	v_lshlrev_b64 v[54:55], v14, 1
	v_lshrrev_b64 v[12:13], v52, v[12:13]
	v_bfi_b32 v27, v27, 0, 0
	v_cmp_eq_u64_e64 s[28:29], v[26:27], v[54:55]
	v_mov_b32_e32 v14, v13
	v_mov_b32_e32 v13, v12
	s_and_saveexec_b64 s[38:39], s[28:29]
; %bb.10890:                            ;   in Loop: Header=BB4_9658 Depth=3
	v_bfe_u32 v13, v12, 20, 1
	v_add_co_u32_e64 v13, s[28:29], v12, v13
	v_add_co_u32_e64 v13, s[28:29], -1, v13
; %bb.10891:                            ;   in Loop: Header=BB4_9658 Depth=3
	s_or_b64 exec, exec, s[38:39]
	v_add_u32_e32 v14, 0xffffff81, v49
	v_mov_b32_e32 v22, 0xffffff82
	v_cndmask_b32_e32 v14, v14, v22, vcc
	v_lshrrev_b32_e32 v22, 23, v12
	v_add3_u32 v52, v52, v14, v22
	v_add_u32_e32 v49, 6, v52
	v_and_b32_e32 v13, 0xfffff, v13
	v_add_u32_e32 v12, v13, v12
	v_mov_b32_e32 v13, v3
	v_cmp_ne_u32_e32 vcc, 0, v49
                                        ; implicit-def: $vgpr14
	s_and_saveexec_b64 s[28:29], vcc
	s_xor_b64 s[28:29], exec, s[28:29]
; %bb.10892:                            ;   in Loop: Header=BB4_9658 Depth=3
	v_cmp_lt_u64_e32 vcc, s[74:75], v[12:13]
	v_add_u32_e32 v14, 7, v52
	v_cndmask_b32_e64 v22, 0, 1, vcc
	v_lshrrev_b64 v[12:13], v22, v[12:13]
	v_cndmask_b32_e32 v14, v49, v14, vcc
; %bb.10893:                            ;   in Loop: Header=BB4_9658 Depth=3
	s_andn2_saveexec_b64 s[28:29], s[28:29]
; %bb.10894:                            ;   in Loop: Header=BB4_9658 Depth=3
	v_bfe_u32 v14, v12, 23, 1
; %bb.10895:                            ;   in Loop: Header=BB4_9658 Depth=3
	s_or_b64 exec, exec, s[28:29]
	v_lshrrev_b64 v[12:13], 20, v[12:13]
	v_cmp_gt_i32_e32 vcc, 16, v14
	v_cndmask_b32_e32 v13, 0, v13, vcc
	v_cndmask_b32_e32 v12, 7, v12, vcc
	v_cmp_eq_u64_e64 s[28:29], 0, v[12:13]
	v_min_i32_e32 v13, 15, v14
	v_lshlrev_b32_e32 v13, 3, v13
	v_cmp_eq_u32_e32 vcc, 0, v14
	v_and_b32_e32 v13, 0xf8, v13
	v_and_or_b32 v12, v12, 7, v13
	s_and_b64 s[28:29], vcc, s[28:29]
	v_cndmask_b32_e64 v12, v12, 0, s[28:29]
	v_or_b32_e32 v49, v12, v51
.LBB4_10896:                            ;   in Loop: Header=BB4_9658 Depth=3
	s_or_b64 exec, exec, s[36:37]
                                        ; implicit-def: $vgpr51
.LBB4_10897:                            ;   in Loop: Header=BB4_9658 Depth=3
	s_andn2_saveexec_b64 s[28:29], s[34:35]
; %bb.10898:                            ;   in Loop: Header=BB4_9658 Depth=3
	v_or_b32_e32 v49, 0x7e, v51
; %bb.10899:                            ;   in Loop: Header=BB4_9658 Depth=3
	s_or_b64 exec, exec, s[28:29]
                                        ; implicit-def: $vgpr12
.LBB4_10900:                            ;   in Loop: Header=BB4_9658 Depth=3
	s_andn2_saveexec_b64 s[28:29], s[30:31]
; %bb.10901:                            ;   in Loop: Header=BB4_9658 Depth=3
	v_or_b32_sdwa v49, v12, s68 dst_sel:DWORD dst_unused:UNUSED_PAD src0_sel:BYTE_3 src1_sel:DWORD
; %bb.10902:                            ;   in Loop: Header=BB4_9658 Depth=3
	s_or_b64 exec, exec, s[28:29]
	v_cmp_lt_u32_e32 vcc, s57, v2
	v_mov_b32_e32 v13, 0
	v_mov_b32_e32 v14, 0
	s_and_saveexec_b64 s[28:29], vcc
	s_cbranch_execz .LBB4_10908
; %bb.10903:                            ;   in Loop: Header=BB4_9658 Depth=3
	v_lshrrev_b32_e32 v12, 24, v2
	v_cmp_ne_u32_sdwa vcc, v2, s70 src0_sel:BYTE_3 src1_sel:DWORD
	v_bfrev_b32_e32 v14, 1
	s_and_saveexec_b64 s[30:31], vcc
	s_cbranch_execz .LBB4_10907
; %bb.10904:                            ;   in Loop: Header=BB4_9658 Depth=3
	v_bfe_u32 v51, v2, 24, 7
	v_cmp_ne_u32_e32 vcc, s68, v51
	v_mov_b32_e32 v14, 0x7f800001
	s_and_saveexec_b64 s[34:35], vcc
	s_cbranch_execz .LBB4_10906
; %bb.10905:                            ;   in Loop: Header=BB4_9658 Depth=3
	v_and_b32_e32 v14, 7, v12
	v_ffbh_u32_e32 v23, v14
	v_min_u32_e32 v23, 32, v23
	v_subrev_u32_e32 v26, 28, v23
	v_lshlrev_b64 v[26:27], v26, v[12:13]
	v_lshrrev_b32_e32 v22, 3, v51
	v_cmp_gt_u32_e32 vcc, 8, v51
	v_sub_u32_e32 v12, 29, v23
	v_and_b32_e32 v23, 7, v26
	v_cndmask_b32_e32 v12, v22, v12, vcc
	v_mov_b32_e32 v22, 24
	v_cndmask_b32_e32 v14, v14, v23, vcc
	v_lshlrev_b32_sdwa v2, v22, v2 dst_sel:DWORD dst_unused:UNUSED_PAD src0_sel:DWORD src1_sel:BYTE_3
	v_lshlrev_b32_e32 v14, 20, v14
	v_and_b32_e32 v2, 0x80000000, v2
	v_lshl_add_u32 v12, v12, 23, v5
	v_or3_b32 v14, v2, v12, v14
.LBB4_10906:                            ;   in Loop: Header=BB4_9658 Depth=3
	s_or_b64 exec, exec, s[34:35]
.LBB4_10907:                            ;   in Loop: Header=BB4_9658 Depth=3
	s_or_b64 exec, exec, s[30:31]
.LBB4_10908:                            ;   in Loop: Header=BB4_9658 Depth=3
	s_or_b64 exec, exec, s[28:29]
	v_cmp_lt_u32_e32 vcc, s57, v8
	s_and_saveexec_b64 s[28:29], vcc
	s_cbranch_execz .LBB4_10914
; %bb.10909:                            ;   in Loop: Header=BB4_9658 Depth=3
	v_lshrrev_b32_e32 v2, 24, v8
	v_cmp_ne_u32_e32 vcc, s70, v2
	v_bfrev_b32_e32 v13, 1
	s_and_saveexec_b64 s[30:31], vcc
	s_cbranch_execz .LBB4_10913
; %bb.10910:                            ;   in Loop: Header=BB4_9658 Depth=3
	v_bfe_u32 v12, v8, 24, 7
	v_cmp_ne_u32_e32 vcc, s68, v12
	v_mov_b32_e32 v13, 0x7f800001
	s_and_saveexec_b64 s[34:35], vcc
	s_cbranch_execz .LBB4_10912
; %bb.10911:                            ;   in Loop: Header=BB4_9658 Depth=3
	v_and_b32_e32 v22, 7, v2
	v_lshrrev_b32_e32 v23, 3, v12
	v_cmp_gt_u32_e32 vcc, 8, v12
	v_ffbh_u32_e32 v12, v22
	v_min_u32_e32 v26, 32, v12
	v_subrev_u32_e32 v12, 28, v26
	v_lshlrev_b64 v[12:13], v12, v[2:3]
	v_sub_u32_e32 v13, 29, v26
	v_and_b32_e32 v12, 7, v12
	v_cndmask_b32_e32 v13, v23, v13, vcc
	v_cndmask_b32_e32 v12, v22, v12, vcc
	v_lshlrev_b32_e32 v2, 24, v2
	v_lshlrev_b32_e32 v12, 20, v12
	v_and_b32_e32 v2, 0x80000000, v2
	v_lshl_add_u32 v13, v13, 23, v5
	v_or3_b32 v13, v2, v13, v12
.LBB4_10912:                            ;   in Loop: Header=BB4_9658 Depth=3
	s_or_b64 exec, exec, s[34:35]
.LBB4_10913:                            ;   in Loop: Header=BB4_9658 Depth=3
	s_or_b64 exec, exec, s[30:31]
.LBB4_10914:                            ;   in Loop: Header=BB4_9658 Depth=3
	s_or_b64 exec, exec, s[28:29]
	v_add_f32_e32 v12, v14, v13
	v_and_b32_e32 v2, 0x7f800000, v12
	v_cmp_ne_u64_e32 vcc, s[62:63], v[2:3]
                                        ; implicit-def: $vgpr51
	s_and_saveexec_b64 s[28:29], vcc
	s_xor_b64 s[30:31], exec, s[28:29]
	s_cbranch_execz .LBB4_10928
; %bb.10915:                            ;   in Loop: Header=BB4_9658 Depth=3
	v_and_b32_e32 v2, 0x7fffffff, v12
	v_cmp_gt_u64_e32 vcc, s[72:73], v[2:3]
	v_and_b32_sdwa v52, v12, s70 dst_sel:DWORD dst_unused:UNUSED_PAD src0_sel:BYTE_3 src1_sel:DWORD
                                        ; implicit-def: $vgpr51
	s_and_saveexec_b64 s[28:29], vcc
	s_xor_b64 s[34:35], exec, s[28:29]
	s_cbranch_execz .LBB4_10925
; %bb.10916:                            ;   in Loop: Header=BB4_9658 Depth=3
	v_mov_b32_e32 v51, 0
	v_cmp_ne_u32_e32 vcc, 0, v12
	s_and_saveexec_b64 s[36:37], vcc
	s_cbranch_execz .LBB4_10924
; %bb.10917:                            ;   in Loop: Header=BB4_9658 Depth=3
	v_bfe_u32 v51, v12, 23, 8
	v_and_b32_e32 v2, 0x7fffff, v12
	v_cmp_gt_u32_e64 s[28:29], s71, v51
	v_sub_u32_e32 v12, 0x79, v51
	v_cmp_eq_u32_e32 vcc, 0, v51
	v_cndmask_b32_e64 v12, 0, v12, s[28:29]
	v_mov_b32_e32 v14, 0x78
	v_cndmask_b32_e32 v54, v12, v14, vcc
	v_or_b32_e32 v13, 0x800000, v2
	v_add_u32_e32 v12, 20, v54
	v_cndmask_b32_e32 v2, v13, v2, vcc
	v_lshlrev_b64 v[12:13], v12, -1
	v_add_u32_e32 v14, 19, v54
	v_lshlrev_b64 v[26:27], v14, 1
	v_bfi_b32 v13, v13, 0, 0
	v_bfi_b32 v12, v12, 0, v2
	v_cmp_eq_u64_e64 s[28:29], v[12:13], v[26:27]
	v_lshrrev_b64 v[12:13], v54, v[2:3]
	v_mov_b32_e32 v14, v13
	v_mov_b32_e32 v13, v12
	s_and_saveexec_b64 s[38:39], s[28:29]
; %bb.10918:                            ;   in Loop: Header=BB4_9658 Depth=3
	v_bfe_u32 v2, v12, 20, 1
	v_add_co_u32_e64 v2, s[28:29], v12, v2
	v_add_co_u32_e64 v13, s[28:29], -1, v2
; %bb.10919:                            ;   in Loop: Header=BB4_9658 Depth=3
	s_or_b64 exec, exec, s[38:39]
	v_add_u32_e32 v2, 0xffffff81, v51
	v_mov_b32_e32 v14, 0xffffff82
	v_cndmask_b32_e32 v2, v2, v14, vcc
	v_lshrrev_b32_e32 v14, 23, v12
	v_add3_u32 v54, v54, v2, v14
	v_add_u32_e32 v51, 6, v54
	v_and_b32_e32 v2, 0xfffff, v13
	v_add_u32_e32 v2, v2, v12
	v_cmp_ne_u32_e32 vcc, 0, v51
                                        ; implicit-def: $vgpr12_vgpr13
                                        ; implicit-def: $vgpr14
	s_and_saveexec_b64 s[28:29], vcc
	s_xor_b64 s[28:29], exec, s[28:29]
; %bb.10920:                            ;   in Loop: Header=BB4_9658 Depth=3
	v_cmp_lt_u64_e32 vcc, s[74:75], v[2:3]
	v_add_u32_e32 v12, 7, v54
	v_cndmask_b32_e32 v14, v51, v12, vcc
	v_cndmask_b32_e64 v12, 0, 1, vcc
	v_lshrrev_b64 v[12:13], v12, v[2:3]
; %bb.10921:                            ;   in Loop: Header=BB4_9658 Depth=3
	s_andn2_saveexec_b64 s[28:29], s[28:29]
; %bb.10922:                            ;   in Loop: Header=BB4_9658 Depth=3
	v_mov_b32_e32 v13, v3
	v_bfe_u32 v14, v2, 23, 1
	v_mov_b32_e32 v12, v2
; %bb.10923:                            ;   in Loop: Header=BB4_9658 Depth=3
	s_or_b64 exec, exec, s[28:29]
	v_lshrrev_b64 v[12:13], 20, v[12:13]
	v_cmp_gt_i32_e32 vcc, 16, v14
	v_cndmask_b32_e32 v13, 0, v13, vcc
	v_cndmask_b32_e32 v12, 7, v12, vcc
	v_min_i32_e32 v2, 15, v14
	v_cmp_eq_u64_e64 s[28:29], 0, v[12:13]
	v_lshlrev_b32_e32 v2, 3, v2
	v_cmp_eq_u32_e32 vcc, 0, v14
	v_and_b32_e32 v2, 0xf8, v2
	v_and_or_b32 v2, v12, 7, v2
	s_and_b64 s[28:29], vcc, s[28:29]
	v_cndmask_b32_e64 v2, v2, 0, s[28:29]
	v_or_b32_e32 v51, v2, v52
.LBB4_10924:                            ;   in Loop: Header=BB4_9658 Depth=3
	s_or_b64 exec, exec, s[36:37]
                                        ; implicit-def: $vgpr52
.LBB4_10925:                            ;   in Loop: Header=BB4_9658 Depth=3
	s_andn2_saveexec_b64 s[28:29], s[34:35]
; %bb.10926:                            ;   in Loop: Header=BB4_9658 Depth=3
	v_or_b32_e32 v51, 0x7e, v52
; %bb.10927:                            ;   in Loop: Header=BB4_9658 Depth=3
	s_or_b64 exec, exec, s[28:29]
                                        ; implicit-def: $vgpr12
.LBB4_10928:                            ;   in Loop: Header=BB4_9658 Depth=3
	s_andn2_saveexec_b64 s[28:29], s[30:31]
; %bb.10929:                            ;   in Loop: Header=BB4_9658 Depth=3
	v_or_b32_sdwa v51, v12, s68 dst_sel:DWORD dst_unused:UNUSED_PAD src0_sel:BYTE_3 src1_sel:DWORD
; %bb.10930:                            ;   in Loop: Header=BB4_9658 Depth=3
	s_or_b64 exec, exec, s[28:29]
	v_lshl_or_b32 v39, v32, 8, v20
	v_lshlrev_b32_e32 v2, 16, v53
	v_lshlrev_b32_e32 v12, 24, v61
	v_or3_b32 v2, v2, v12, v39
	v_cmp_ne_u32_e32 vcc, 0, v20
	v_mov_b32_e32 v13, 0
	v_mov_b32_e32 v12, 0
	s_and_saveexec_b64 s[28:29], vcc
	s_cbranch_execz .LBB4_10936
; %bb.10931:                            ;   in Loop: Header=BB4_9658 Depth=3
	v_cmp_ne_u32_e32 vcc, s70, v20
	v_bfrev_b32_e32 v12, 1
	s_and_saveexec_b64 s[30:31], vcc
	s_cbranch_execz .LBB4_10935
; %bb.10932:                            ;   in Loop: Header=BB4_9658 Depth=3
	v_and_b32_e32 v14, 0x7f, v20
	v_cmp_ne_u32_e32 vcc, s68, v14
	v_mov_b32_e32 v12, 0x7f800001
	s_and_saveexec_b64 s[34:35], vcc
	s_cbranch_execz .LBB4_10934
; %bb.10933:                            ;   in Loop: Header=BB4_9658 Depth=3
	v_and_b32_e32 v12, 7, v20
	v_ffbh_u32_e32 v12, v12
	v_min_u32_e32 v12, 32, v12
	v_lshrrev_b32_e32 v20, 3, v14
	v_cmp_gt_u32_e32 vcc, 8, v14
	v_subrev_u32_e32 v14, 28, v12
	v_cndmask_b32_e32 v14, 0, v14, vcc
	v_lshlrev_b64 v[26:27], v14, v[2:3]
	v_sub_u32_e32 v12, 29, v12
	v_cndmask_b32_e32 v12, v20, v12, vcc
	v_lshlrev_b32_e32 v14, 20, v26
	v_lshlrev_b32_e32 v20, 24, v2
	v_and_b32_e32 v14, 0x700000, v14
	v_and_b32_e32 v20, 0x80000000, v20
	v_lshl_add_u32 v12, v12, 23, v5
	v_or3_b32 v12, v20, v12, v14
.LBB4_10934:                            ;   in Loop: Header=BB4_9658 Depth=3
	s_or_b64 exec, exec, s[34:35]
.LBB4_10935:                            ;   in Loop: Header=BB4_9658 Depth=3
	s_or_b64 exec, exec, s[30:31]
.LBB4_10936:                            ;   in Loop: Header=BB4_9658 Depth=3
	s_or_b64 exec, exec, s[28:29]
	v_cmp_ne_u16_sdwa vcc, v9, v3 src0_sel:BYTE_0 src1_sel:DWORD
	s_and_saveexec_b64 s[28:29], vcc
	s_cbranch_execz .LBB4_10942
; %bb.10937:                            ;   in Loop: Header=BB4_9658 Depth=3
	v_cmp_ne_u16_sdwa vcc, v9, s70 src0_sel:BYTE_0 src1_sel:DWORD
	v_bfrev_b32_e32 v13, 1
	s_and_saveexec_b64 s[30:31], vcc
	s_cbranch_execz .LBB4_10941
; %bb.10938:                            ;   in Loop: Header=BB4_9658 Depth=3
	v_and_b32_e32 v14, 0x7f, v9
	v_cmp_ne_u32_e32 vcc, s68, v14
	v_mov_b32_e32 v13, 0x7f800001
	s_and_saveexec_b64 s[34:35], vcc
	s_cbranch_execz .LBB4_10940
; %bb.10939:                            ;   in Loop: Header=BB4_9658 Depth=3
	v_and_b32_e32 v13, 7, v9
	v_ffbh_u32_e32 v13, v13
	v_min_u32_e32 v13, 32, v13
	v_lshrrev_b32_e32 v20, 3, v14
	v_cmp_gt_u32_e32 vcc, 8, v14
	v_subrev_u32_e32 v14, 28, v13
	v_sub_u32_e32 v13, 29, v13
	v_mov_b32_e32 v26, v9
	v_mov_b32_e32 v27, v3
	v_cndmask_b32_e32 v20, v20, v13, vcc
	v_cndmask_b32_e32 v13, 0, v14, vcc
	v_lshlrev_b64 v[13:14], v13, v[26:27]
	v_lshlrev_b32_e32 v14, 24, v26
	v_lshlrev_b32_e32 v13, 20, v13
	v_and_b32_e32 v13, 0x700000, v13
	v_and_b32_e32 v14, 0x80000000, v14
	v_lshl_add_u32 v20, v20, 23, v5
	v_or3_b32 v13, v14, v20, v13
.LBB4_10940:                            ;   in Loop: Header=BB4_9658 Depth=3
	s_or_b64 exec, exec, s[34:35]
.LBB4_10941:                            ;   in Loop: Header=BB4_9658 Depth=3
	s_or_b64 exec, exec, s[30:31]
.LBB4_10942:                            ;   in Loop: Header=BB4_9658 Depth=3
	s_or_b64 exec, exec, s[28:29]
	v_add_f32_e32 v12, v12, v13
	v_and_b32_e32 v13, 0x7f800000, v12
	v_mov_b32_e32 v14, v3
	v_cmp_ne_u64_e32 vcc, s[62:63], v[13:14]
                                        ; implicit-def: $vgpr20
	s_and_saveexec_b64 s[28:29], vcc
	s_xor_b64 s[30:31], exec, s[28:29]
	s_cbranch_execz .LBB4_10956
; %bb.10943:                            ;   in Loop: Header=BB4_9658 Depth=3
	v_and_b32_e32 v13, 0x7fffffff, v12
	v_mov_b32_e32 v14, v3
	v_cmp_gt_u64_e32 vcc, s[72:73], v[13:14]
	v_and_b32_sdwa v52, v12, s70 dst_sel:DWORD dst_unused:UNUSED_PAD src0_sel:BYTE_3 src1_sel:DWORD
                                        ; implicit-def: $vgpr20
	s_and_saveexec_b64 s[28:29], vcc
	s_xor_b64 s[34:35], exec, s[28:29]
	s_cbranch_execz .LBB4_10953
; %bb.10944:                            ;   in Loop: Header=BB4_9658 Depth=3
	v_mov_b32_e32 v20, 0
	v_cmp_ne_u32_e32 vcc, 0, v12
	s_and_saveexec_b64 s[36:37], vcc
	s_cbranch_execz .LBB4_10952
; %bb.10945:                            ;   in Loop: Header=BB4_9658 Depth=3
	v_bfe_u32 v20, v12, 23, 8
	v_and_b32_e32 v13, 0x7fffff, v12
	v_cmp_gt_u32_e64 s[28:29], s71, v20
	v_sub_u32_e32 v12, 0x79, v20
	v_cmp_eq_u32_e32 vcc, 0, v20
	v_cndmask_b32_e64 v12, 0, v12, s[28:29]
	v_mov_b32_e32 v22, 0x78
	v_or_b32_e32 v14, 0x800000, v13
	v_cndmask_b32_e32 v53, v12, v22, vcc
	v_cndmask_b32_e32 v12, v14, v13, vcc
	v_add_u32_e32 v14, 20, v53
	v_lshlrev_b64 v[26:27], v14, -1
	v_mov_b32_e32 v13, v3
	v_add_u32_e32 v14, 19, v53
	v_bfi_b32 v26, v26, 0, v12
	v_lshlrev_b64 v[54:55], v14, 1
	v_lshrrev_b64 v[12:13], v53, v[12:13]
	v_bfi_b32 v27, v27, 0, 0
	v_cmp_eq_u64_e64 s[28:29], v[26:27], v[54:55]
	v_mov_b32_e32 v14, v13
	v_mov_b32_e32 v13, v12
	s_and_saveexec_b64 s[38:39], s[28:29]
; %bb.10946:                            ;   in Loop: Header=BB4_9658 Depth=3
	v_bfe_u32 v13, v12, 20, 1
	v_add_co_u32_e64 v13, s[28:29], v12, v13
	v_add_co_u32_e64 v13, s[28:29], -1, v13
; %bb.10947:                            ;   in Loop: Header=BB4_9658 Depth=3
	s_or_b64 exec, exec, s[38:39]
	v_add_u32_e32 v14, 0xffffff81, v20
	v_mov_b32_e32 v20, 0xffffff82
	v_cndmask_b32_e32 v14, v14, v20, vcc
	v_lshrrev_b32_e32 v20, 23, v12
	v_add3_u32 v53, v53, v14, v20
	v_add_u32_e32 v20, 6, v53
	v_and_b32_e32 v13, 0xfffff, v13
	v_add_u32_e32 v12, v13, v12
	v_mov_b32_e32 v13, v3
	v_cmp_ne_u32_e32 vcc, 0, v20
                                        ; implicit-def: $vgpr14
	s_and_saveexec_b64 s[28:29], vcc
	s_xor_b64 s[28:29], exec, s[28:29]
; %bb.10948:                            ;   in Loop: Header=BB4_9658 Depth=3
	v_cmp_lt_u64_e32 vcc, s[74:75], v[12:13]
	v_add_u32_e32 v14, 7, v53
	v_cndmask_b32_e32 v14, v20, v14, vcc
	v_cndmask_b32_e64 v20, 0, 1, vcc
	v_lshrrev_b64 v[12:13], v20, v[12:13]
; %bb.10949:                            ;   in Loop: Header=BB4_9658 Depth=3
	s_andn2_saveexec_b64 s[28:29], s[28:29]
; %bb.10950:                            ;   in Loop: Header=BB4_9658 Depth=3
	v_bfe_u32 v14, v12, 23, 1
; %bb.10951:                            ;   in Loop: Header=BB4_9658 Depth=3
	s_or_b64 exec, exec, s[28:29]
	v_lshrrev_b64 v[12:13], 20, v[12:13]
	v_cmp_gt_i32_e32 vcc, 16, v14
	v_cndmask_b32_e32 v13, 0, v13, vcc
	v_cndmask_b32_e32 v12, 7, v12, vcc
	v_cmp_eq_u64_e64 s[28:29], 0, v[12:13]
	v_min_i32_e32 v13, 15, v14
	v_lshlrev_b32_e32 v13, 3, v13
	v_cmp_eq_u32_e32 vcc, 0, v14
	v_and_b32_e32 v13, 0xf8, v13
	v_and_or_b32 v12, v12, 7, v13
	s_and_b64 s[28:29], vcc, s[28:29]
	v_cndmask_b32_e64 v12, v12, 0, s[28:29]
	v_or_b32_e32 v20, v12, v52
.LBB4_10952:                            ;   in Loop: Header=BB4_9658 Depth=3
	s_or_b64 exec, exec, s[36:37]
                                        ; implicit-def: $vgpr52
.LBB4_10953:                            ;   in Loop: Header=BB4_9658 Depth=3
	s_andn2_saveexec_b64 s[28:29], s[34:35]
; %bb.10954:                            ;   in Loop: Header=BB4_9658 Depth=3
	v_or_b32_e32 v20, 0x7e, v52
; %bb.10955:                            ;   in Loop: Header=BB4_9658 Depth=3
	s_or_b64 exec, exec, s[28:29]
                                        ; implicit-def: $vgpr12
.LBB4_10956:                            ;   in Loop: Header=BB4_9658 Depth=3
	s_andn2_saveexec_b64 s[28:29], s[30:31]
; %bb.10957:                            ;   in Loop: Header=BB4_9658 Depth=3
	v_or_b32_sdwa v20, v12, s68 dst_sel:DWORD dst_unused:UNUSED_PAD src0_sel:BYTE_3 src1_sel:DWORD
; %bb.10958:                            ;   in Loop: Header=BB4_9658 Depth=3
	s_or_b64 exec, exec, s[28:29]
	v_lshrrev_b16_e32 v12, 8, v39
	v_cmp_ne_u16_e32 vcc, 0, v12
	v_mov_b32_e32 v13, 0
	v_mov_b32_e32 v14, 0
	s_and_saveexec_b64 s[28:29], vcc
	s_cbranch_execz .LBB4_10964
; %bb.10959:                            ;   in Loop: Header=BB4_9658 Depth=3
	v_cmp_ne_u16_e32 vcc, s70, v12
	v_bfrev_b32_e32 v14, 1
	s_and_saveexec_b64 s[30:31], vcc
	s_cbranch_execz .LBB4_10963
; %bb.10960:                            ;   in Loop: Header=BB4_9658 Depth=3
	v_and_b32_e32 v52, 0x7f, v12
	v_cmp_ne_u32_e32 vcc, s68, v52
	v_mov_b32_e32 v14, 0x7f800001
	s_and_saveexec_b64 s[34:35], vcc
	s_cbranch_execz .LBB4_10962
; %bb.10961:                            ;   in Loop: Header=BB4_9658 Depth=3
	v_and_b32_e32 v14, 7, v12
	v_ffbh_u32_e32 v23, v14
	v_min_u32_e32 v23, 32, v23
	v_subrev_u32_e32 v26, 28, v23
	v_lshlrev_b64 v[26:27], v26, v[12:13]
	v_lshrrev_b32_e32 v22, 3, v52
	v_cmp_gt_u32_e32 vcc, 8, v52
	v_sub_u32_e32 v12, 29, v23
	v_and_b32_e32 v23, 7, v26
	v_cndmask_b32_e32 v12, v22, v12, vcc
	v_cndmask_b32_e32 v14, v14, v23, vcc
	v_lshlrev_b32_e32 v22, 16, v39
	v_lshlrev_b32_e32 v14, 20, v14
	v_and_b32_e32 v22, 0x80000000, v22
	v_lshl_add_u32 v12, v12, 23, v5
	v_or3_b32 v14, v22, v12, v14
.LBB4_10962:                            ;   in Loop: Header=BB4_9658 Depth=3
	s_or_b64 exec, exec, s[34:35]
.LBB4_10963:                            ;   in Loop: Header=BB4_9658 Depth=3
	s_or_b64 exec, exec, s[30:31]
.LBB4_10964:                            ;   in Loop: Header=BB4_9658 Depth=3
	s_or_b64 exec, exec, s[28:29]
	v_lshrrev_b16_e32 v12, 8, v9
	v_cmp_ne_u16_e32 vcc, 0, v12
	s_and_saveexec_b64 s[28:29], vcc
	s_cbranch_execz .LBB4_10970
; %bb.10965:                            ;   in Loop: Header=BB4_9658 Depth=3
	v_cmp_ne_u16_e32 vcc, s70, v12
	v_bfrev_b32_e32 v13, 1
	s_and_saveexec_b64 s[30:31], vcc
	s_cbranch_execz .LBB4_10969
; %bb.10966:                            ;   in Loop: Header=BB4_9658 Depth=3
	v_and_b32_e32 v39, 0x7f, v12
	v_cmp_ne_u32_e32 vcc, s68, v39
	v_mov_b32_e32 v13, 0x7f800001
	s_and_saveexec_b64 s[34:35], vcc
	s_cbranch_execz .LBB4_10968
; %bb.10967:                            ;   in Loop: Header=BB4_9658 Depth=3
	v_and_b32_e32 v22, 7, v12
	v_ffbh_u32_e32 v13, v22
	v_min_u32_e32 v26, 32, v13
	v_subrev_u32_e32 v13, 28, v26
	v_lshlrev_b64 v[12:13], v13, v[12:13]
	v_lshrrev_b32_e32 v23, 3, v39
	v_cmp_gt_u32_e32 vcc, 8, v39
	v_sub_u32_e32 v13, 29, v26
	v_and_b32_e32 v12, 7, v12
	v_cndmask_b32_e32 v13, v23, v13, vcc
	v_cndmask_b32_e32 v12, v22, v12, vcc
	v_lshlrev_b32_e32 v22, 16, v9
	v_lshlrev_b32_e32 v12, 20, v12
	v_and_b32_e32 v22, 0x80000000, v22
	v_lshl_add_u32 v13, v13, 23, v5
	v_or3_b32 v13, v22, v13, v12
.LBB4_10968:                            ;   in Loop: Header=BB4_9658 Depth=3
	s_or_b64 exec, exec, s[34:35]
.LBB4_10969:                            ;   in Loop: Header=BB4_9658 Depth=3
	s_or_b64 exec, exec, s[30:31]
.LBB4_10970:                            ;   in Loop: Header=BB4_9658 Depth=3
	s_or_b64 exec, exec, s[28:29]
	v_add_f32_e32 v12, v14, v13
	v_and_b32_e32 v13, 0x7f800000, v12
	v_mov_b32_e32 v14, v3
	v_cmp_ne_u64_e32 vcc, s[62:63], v[13:14]
                                        ; implicit-def: $vgpr39
	s_and_saveexec_b64 s[28:29], vcc
	s_xor_b64 s[30:31], exec, s[28:29]
	s_cbranch_execz .LBB4_10984
; %bb.10971:                            ;   in Loop: Header=BB4_9658 Depth=3
	v_and_b32_e32 v13, 0x7fffffff, v12
	v_mov_b32_e32 v14, v3
	v_cmp_gt_u64_e32 vcc, s[72:73], v[13:14]
	v_and_b32_sdwa v52, v12, s70 dst_sel:DWORD dst_unused:UNUSED_PAD src0_sel:BYTE_3 src1_sel:DWORD
                                        ; implicit-def: $vgpr39
	s_and_saveexec_b64 s[28:29], vcc
	s_xor_b64 s[34:35], exec, s[28:29]
	s_cbranch_execz .LBB4_10981
; %bb.10972:                            ;   in Loop: Header=BB4_9658 Depth=3
	v_mov_b32_e32 v39, 0
	v_cmp_ne_u32_e32 vcc, 0, v12
	s_and_saveexec_b64 s[36:37], vcc
	s_cbranch_execz .LBB4_10980
; %bb.10973:                            ;   in Loop: Header=BB4_9658 Depth=3
	v_bfe_u32 v39, v12, 23, 8
	v_and_b32_e32 v13, 0x7fffff, v12
	v_cmp_gt_u32_e64 s[28:29], s71, v39
	v_sub_u32_e32 v12, 0x79, v39
	v_cmp_eq_u32_e32 vcc, 0, v39
	v_cndmask_b32_e64 v12, 0, v12, s[28:29]
	v_mov_b32_e32 v22, 0x78
	v_or_b32_e32 v14, 0x800000, v13
	v_cndmask_b32_e32 v53, v12, v22, vcc
	v_cndmask_b32_e32 v12, v14, v13, vcc
	v_add_u32_e32 v14, 20, v53
	v_lshlrev_b64 v[26:27], v14, -1
	v_mov_b32_e32 v13, v3
	v_add_u32_e32 v14, 19, v53
	v_bfi_b32 v26, v26, 0, v12
	v_lshlrev_b64 v[54:55], v14, 1
	v_lshrrev_b64 v[12:13], v53, v[12:13]
	v_bfi_b32 v27, v27, 0, 0
	v_cmp_eq_u64_e64 s[28:29], v[26:27], v[54:55]
	v_mov_b32_e32 v14, v13
	v_mov_b32_e32 v13, v12
	s_and_saveexec_b64 s[38:39], s[28:29]
; %bb.10974:                            ;   in Loop: Header=BB4_9658 Depth=3
	v_bfe_u32 v13, v12, 20, 1
	v_add_co_u32_e64 v13, s[28:29], v12, v13
	v_add_co_u32_e64 v13, s[28:29], -1, v13
; %bb.10975:                            ;   in Loop: Header=BB4_9658 Depth=3
	s_or_b64 exec, exec, s[38:39]
	v_add_u32_e32 v14, 0xffffff81, v39
	v_mov_b32_e32 v22, 0xffffff82
	v_cndmask_b32_e32 v14, v14, v22, vcc
	v_lshrrev_b32_e32 v22, 23, v12
	v_add3_u32 v53, v53, v14, v22
	v_add_u32_e32 v39, 6, v53
	v_and_b32_e32 v13, 0xfffff, v13
	v_add_u32_e32 v12, v13, v12
	v_mov_b32_e32 v13, v3
	v_cmp_ne_u32_e32 vcc, 0, v39
                                        ; implicit-def: $vgpr14
	s_and_saveexec_b64 s[28:29], vcc
	s_xor_b64 s[28:29], exec, s[28:29]
; %bb.10976:                            ;   in Loop: Header=BB4_9658 Depth=3
	v_cmp_lt_u64_e32 vcc, s[74:75], v[12:13]
	v_add_u32_e32 v14, 7, v53
	v_cndmask_b32_e64 v22, 0, 1, vcc
	v_lshrrev_b64 v[12:13], v22, v[12:13]
	v_cndmask_b32_e32 v14, v39, v14, vcc
; %bb.10977:                            ;   in Loop: Header=BB4_9658 Depth=3
	s_andn2_saveexec_b64 s[28:29], s[28:29]
; %bb.10978:                            ;   in Loop: Header=BB4_9658 Depth=3
	v_bfe_u32 v14, v12, 23, 1
; %bb.10979:                            ;   in Loop: Header=BB4_9658 Depth=3
	s_or_b64 exec, exec, s[28:29]
	v_lshrrev_b64 v[12:13], 20, v[12:13]
	v_cmp_gt_i32_e32 vcc, 16, v14
	v_cndmask_b32_e32 v13, 0, v13, vcc
	v_cndmask_b32_e32 v12, 7, v12, vcc
	v_cmp_eq_u64_e64 s[28:29], 0, v[12:13]
	v_min_i32_e32 v13, 15, v14
	v_lshlrev_b32_e32 v13, 3, v13
	v_cmp_eq_u32_e32 vcc, 0, v14
	v_and_b32_e32 v13, 0xf8, v13
	v_and_or_b32 v12, v12, 7, v13
	s_and_b64 s[28:29], vcc, s[28:29]
	v_cndmask_b32_e64 v12, v12, 0, s[28:29]
	v_or_b32_e32 v39, v12, v52
.LBB4_10980:                            ;   in Loop: Header=BB4_9658 Depth=3
	s_or_b64 exec, exec, s[36:37]
                                        ; implicit-def: $vgpr52
.LBB4_10981:                            ;   in Loop: Header=BB4_9658 Depth=3
	s_andn2_saveexec_b64 s[28:29], s[34:35]
; %bb.10982:                            ;   in Loop: Header=BB4_9658 Depth=3
	v_or_b32_e32 v39, 0x7e, v52
; %bb.10983:                            ;   in Loop: Header=BB4_9658 Depth=3
	s_or_b64 exec, exec, s[28:29]
                                        ; implicit-def: $vgpr12
.LBB4_10984:                            ;   in Loop: Header=BB4_9658 Depth=3
	s_andn2_saveexec_b64 s[28:29], s[30:31]
; %bb.10985:                            ;   in Loop: Header=BB4_9658 Depth=3
	v_or_b32_sdwa v39, v12, s68 dst_sel:DWORD dst_unused:UNUSED_PAD src0_sel:BYTE_3 src1_sel:DWORD
; %bb.10986:                            ;   in Loop: Header=BB4_9658 Depth=3
	s_or_b64 exec, exec, s[28:29]
	v_lshrrev_b32_e32 v12, 16, v2
	v_cmp_ne_u16_sdwa vcc, v12, v3 src0_sel:BYTE_0 src1_sel:DWORD
	v_mov_b32_e32 v13, 0
	v_mov_b32_e32 v14, 0
	s_and_saveexec_b64 s[28:29], vcc
	s_cbranch_execz .LBB4_10992
; %bb.10987:                            ;   in Loop: Header=BB4_9658 Depth=3
	v_cmp_ne_u16_sdwa vcc, v12, s70 src0_sel:BYTE_0 src1_sel:DWORD
	v_bfrev_b32_e32 v14, 1
	s_and_saveexec_b64 s[30:31], vcc
	s_cbranch_execz .LBB4_10991
; %bb.10988:                            ;   in Loop: Header=BB4_9658 Depth=3
	v_bfe_u32 v52, v2, 16, 7
	v_cmp_ne_u32_e32 vcc, s68, v52
	v_mov_b32_e32 v14, 0x7f800001
	s_and_saveexec_b64 s[34:35], vcc
	s_cbranch_execz .LBB4_10990
; %bb.10989:                            ;   in Loop: Header=BB4_9658 Depth=3
	v_and_b32_e32 v14, 7, v12
	v_ffbh_u32_e32 v23, v14
	v_min_u32_e32 v23, 32, v23
	v_subrev_u32_e32 v26, 28, v23
	v_lshlrev_b64 v[26:27], v26, v[12:13]
	v_lshrrev_b32_e32 v22, 3, v52
	v_cmp_gt_u32_e32 vcc, 8, v52
	v_sub_u32_e32 v23, 29, v23
	v_and_b32_e32 v26, 7, v26
	v_cndmask_b32_e32 v22, v22, v23, vcc
	v_cndmask_b32_e32 v14, v14, v26, vcc
	v_lshlrev_b32_e32 v12, 24, v12
	v_lshlrev_b32_e32 v14, 20, v14
	v_and_b32_e32 v12, 0x80000000, v12
	v_lshl_add_u32 v22, v22, 23, v5
	v_or3_b32 v14, v12, v22, v14
.LBB4_10990:                            ;   in Loop: Header=BB4_9658 Depth=3
	s_or_b64 exec, exec, s[34:35]
.LBB4_10991:                            ;   in Loop: Header=BB4_9658 Depth=3
	s_or_b64 exec, exec, s[30:31]
.LBB4_10992:                            ;   in Loop: Header=BB4_9658 Depth=3
	s_or_b64 exec, exec, s[28:29]
	v_lshrrev_b32_e32 v12, 16, v9
	v_cmp_ne_u16_sdwa vcc, v12, v3 src0_sel:BYTE_0 src1_sel:DWORD
	s_and_saveexec_b64 s[28:29], vcc
	s_cbranch_execz .LBB4_10998
; %bb.10993:                            ;   in Loop: Header=BB4_9658 Depth=3
	v_cmp_ne_u16_sdwa vcc, v12, s70 src0_sel:BYTE_0 src1_sel:DWORD
	v_bfrev_b32_e32 v13, 1
	s_and_saveexec_b64 s[30:31], vcc
	s_cbranch_execz .LBB4_10997
; %bb.10994:                            ;   in Loop: Header=BB4_9658 Depth=3
	v_bfe_u32 v52, v9, 16, 7
	v_cmp_ne_u32_e32 vcc, s68, v52
	v_mov_b32_e32 v13, 0x7f800001
	s_and_saveexec_b64 s[34:35], vcc
	s_cbranch_execz .LBB4_10996
; %bb.10995:                            ;   in Loop: Header=BB4_9658 Depth=3
	v_and_b32_e32 v22, 7, v12
	v_ffbh_u32_e32 v13, v22
	v_min_u32_e32 v26, 32, v13
	v_subrev_u32_e32 v13, 28, v26
	v_lshlrev_b64 v[12:13], v13, v[12:13]
	v_lshrrev_b32_e32 v23, 3, v52
	v_cmp_gt_u32_e32 vcc, 8, v52
	v_sub_u32_e32 v13, 29, v26
	v_and_b32_e32 v12, 7, v12
	v_cndmask_b32_e32 v13, v23, v13, vcc
	v_cndmask_b32_e32 v12, v22, v12, vcc
	v_lshlrev_b32_e32 v22, 8, v9
	v_lshlrev_b32_e32 v12, 20, v12
	v_and_b32_e32 v22, 0x80000000, v22
	v_lshl_add_u32 v13, v13, 23, v5
	v_or3_b32 v13, v22, v13, v12
.LBB4_10996:                            ;   in Loop: Header=BB4_9658 Depth=3
	s_or_b64 exec, exec, s[34:35]
.LBB4_10997:                            ;   in Loop: Header=BB4_9658 Depth=3
	s_or_b64 exec, exec, s[30:31]
.LBB4_10998:                            ;   in Loop: Header=BB4_9658 Depth=3
	s_or_b64 exec, exec, s[28:29]
	v_add_f32_e32 v12, v14, v13
	v_and_b32_e32 v13, 0x7f800000, v12
	v_mov_b32_e32 v14, v3
	v_cmp_ne_u64_e32 vcc, s[62:63], v[13:14]
                                        ; implicit-def: $vgpr14
	s_and_saveexec_b64 s[28:29], vcc
	s_xor_b64 s[30:31], exec, s[28:29]
	s_cbranch_execz .LBB4_11012
; %bb.10999:                            ;   in Loop: Header=BB4_9658 Depth=3
	v_and_b32_e32 v13, 0x7fffffff, v12
	v_mov_b32_e32 v14, v3
	v_cmp_gt_u64_e32 vcc, s[72:73], v[13:14]
	v_and_b32_sdwa v52, v12, s70 dst_sel:DWORD dst_unused:UNUSED_PAD src0_sel:BYTE_3 src1_sel:DWORD
                                        ; implicit-def: $vgpr14
	s_and_saveexec_b64 s[28:29], vcc
	s_xor_b64 s[34:35], exec, s[28:29]
	s_cbranch_execz .LBB4_11009
; %bb.11000:                            ;   in Loop: Header=BB4_9658 Depth=3
	v_mov_b32_e32 v14, 0
	v_cmp_ne_u32_e32 vcc, 0, v12
	s_and_saveexec_b64 s[36:37], vcc
	s_cbranch_execz .LBB4_11008
; %bb.11001:                            ;   in Loop: Header=BB4_9658 Depth=3
	v_bfe_u32 v53, v12, 23, 8
	v_and_b32_e32 v13, 0x7fffff, v12
	v_cmp_gt_u32_e64 s[28:29], s71, v53
	v_sub_u32_e32 v12, 0x79, v53
	v_cmp_eq_u32_e32 vcc, 0, v53
	v_cndmask_b32_e64 v12, 0, v12, s[28:29]
	v_mov_b32_e32 v22, 0x78
	v_or_b32_e32 v14, 0x800000, v13
	v_cndmask_b32_e32 v54, v12, v22, vcc
	v_cndmask_b32_e32 v12, v14, v13, vcc
	v_add_u32_e32 v14, 20, v54
	v_lshlrev_b64 v[26:27], v14, -1
	v_mov_b32_e32 v13, v3
	v_add_u32_e32 v14, 19, v54
	v_bfi_b32 v26, v26, 0, v12
	v_lshlrev_b64 v[55:56], v14, 1
	v_lshrrev_b64 v[12:13], v54, v[12:13]
	v_bfi_b32 v27, v27, 0, 0
	v_cmp_eq_u64_e64 s[28:29], v[26:27], v[55:56]
	v_mov_b32_e32 v14, v13
	v_mov_b32_e32 v13, v12
	s_and_saveexec_b64 s[38:39], s[28:29]
; %bb.11002:                            ;   in Loop: Header=BB4_9658 Depth=3
	v_bfe_u32 v13, v12, 20, 1
	v_add_co_u32_e64 v13, s[28:29], v12, v13
	v_add_co_u32_e64 v13, s[28:29], -1, v13
; %bb.11003:                            ;   in Loop: Header=BB4_9658 Depth=3
	s_or_b64 exec, exec, s[38:39]
	v_add_u32_e32 v14, 0xffffff81, v53
	v_mov_b32_e32 v22, 0xffffff82
	v_cndmask_b32_e32 v14, v14, v22, vcc
	v_lshrrev_b32_e32 v22, 23, v12
	v_add3_u32 v54, v54, v14, v22
	v_add_u32_e32 v53, 6, v54
	v_and_b32_e32 v13, 0xfffff, v13
	v_add_u32_e32 v12, v13, v12
	v_mov_b32_e32 v13, v3
	v_cmp_ne_u32_e32 vcc, 0, v53
                                        ; implicit-def: $vgpr14
	s_and_saveexec_b64 s[28:29], vcc
	s_xor_b64 s[28:29], exec, s[28:29]
; %bb.11004:                            ;   in Loop: Header=BB4_9658 Depth=3
	v_cmp_lt_u64_e32 vcc, s[74:75], v[12:13]
	v_add_u32_e32 v14, 7, v54
	v_cndmask_b32_e64 v22, 0, 1, vcc
	v_lshrrev_b64 v[12:13], v22, v[12:13]
	v_cndmask_b32_e32 v14, v53, v14, vcc
; %bb.11005:                            ;   in Loop: Header=BB4_9658 Depth=3
	s_andn2_saveexec_b64 s[28:29], s[28:29]
; %bb.11006:                            ;   in Loop: Header=BB4_9658 Depth=3
	v_bfe_u32 v14, v12, 23, 1
; %bb.11007:                            ;   in Loop: Header=BB4_9658 Depth=3
	s_or_b64 exec, exec, s[28:29]
	v_lshrrev_b64 v[12:13], 20, v[12:13]
	v_cmp_gt_i32_e32 vcc, 16, v14
	v_cndmask_b32_e32 v13, 0, v13, vcc
	v_cndmask_b32_e32 v12, 7, v12, vcc
	v_cmp_eq_u64_e64 s[28:29], 0, v[12:13]
	v_min_i32_e32 v13, 15, v14
	v_lshlrev_b32_e32 v13, 3, v13
	v_cmp_eq_u32_e32 vcc, 0, v14
	v_and_b32_e32 v13, 0xf8, v13
	v_and_or_b32 v12, v12, 7, v13
	s_and_b64 s[28:29], vcc, s[28:29]
	v_cndmask_b32_e64 v12, v12, 0, s[28:29]
	v_or_b32_e32 v14, v12, v52
.LBB4_11008:                            ;   in Loop: Header=BB4_9658 Depth=3
	s_or_b64 exec, exec, s[36:37]
                                        ; implicit-def: $vgpr52
.LBB4_11009:                            ;   in Loop: Header=BB4_9658 Depth=3
	s_andn2_saveexec_b64 s[28:29], s[34:35]
; %bb.11010:                            ;   in Loop: Header=BB4_9658 Depth=3
	v_or_b32_e32 v14, 0x7e, v52
; %bb.11011:                            ;   in Loop: Header=BB4_9658 Depth=3
	s_or_b64 exec, exec, s[28:29]
                                        ; implicit-def: $vgpr12
.LBB4_11012:                            ;   in Loop: Header=BB4_9658 Depth=3
	s_andn2_saveexec_b64 s[28:29], s[30:31]
; %bb.11013:                            ;   in Loop: Header=BB4_9658 Depth=3
	v_or_b32_sdwa v14, v12, s68 dst_sel:DWORD dst_unused:UNUSED_PAD src0_sel:BYTE_3 src1_sel:DWORD
; %bb.11014:                            ;   in Loop: Header=BB4_9658 Depth=3
	s_or_b64 exec, exec, s[28:29]
	v_cmp_lt_u32_e32 vcc, s57, v2
	v_mov_b32_e32 v13, 0
	v_mov_b32_e32 v52, 0
	s_and_saveexec_b64 s[28:29], vcc
	s_cbranch_execz .LBB4_11020
; %bb.11015:                            ;   in Loop: Header=BB4_9658 Depth=3
	v_lshrrev_b32_e32 v12, 24, v2
	v_cmp_ne_u32_sdwa vcc, v2, s70 src0_sel:BYTE_3 src1_sel:DWORD
	v_bfrev_b32_e32 v52, 1
	s_and_saveexec_b64 s[30:31], vcc
	s_cbranch_execz .LBB4_11019
; %bb.11016:                            ;   in Loop: Header=BB4_9658 Depth=3
	v_bfe_u32 v53, v2, 24, 7
	v_cmp_ne_u32_e32 vcc, s68, v53
	v_mov_b32_e32 v52, 0x7f800001
	s_and_saveexec_b64 s[34:35], vcc
	s_cbranch_execz .LBB4_11018
; %bb.11017:                            ;   in Loop: Header=BB4_9658 Depth=3
	v_and_b32_e32 v22, 7, v12
	v_ffbh_u32_e32 v26, v22
	v_min_u32_e32 v31, 32, v26
	v_subrev_u32_e32 v26, 28, v31
	v_lshlrev_b64 v[26:27], v26, v[12:13]
	v_lshrrev_b32_e32 v23, 3, v53
	v_cmp_gt_u32_e32 vcc, 8, v53
	v_sub_u32_e32 v12, 29, v31
	v_and_b32_e32 v26, 7, v26
	v_cndmask_b32_e32 v12, v23, v12, vcc
	v_mov_b32_e32 v23, 24
	v_cndmask_b32_e32 v22, v22, v26, vcc
	v_lshlrev_b32_sdwa v2, v23, v2 dst_sel:DWORD dst_unused:UNUSED_PAD src0_sel:DWORD src1_sel:BYTE_3
	v_lshlrev_b32_e32 v22, 20, v22
	v_and_b32_e32 v2, 0x80000000, v2
	v_lshl_add_u32 v12, v12, 23, v5
	v_or3_b32 v52, v2, v12, v22
.LBB4_11018:                            ;   in Loop: Header=BB4_9658 Depth=3
	s_or_b64 exec, exec, s[34:35]
.LBB4_11019:                            ;   in Loop: Header=BB4_9658 Depth=3
	s_or_b64 exec, exec, s[30:31]
.LBB4_11020:                            ;   in Loop: Header=BB4_9658 Depth=3
	s_or_b64 exec, exec, s[28:29]
	v_cmp_lt_u64_e32 vcc, s[56:57], v[8:9]
	s_and_saveexec_b64 s[28:29], vcc
	s_cbranch_execz .LBB4_11026
; %bb.11021:                            ;   in Loop: Header=BB4_9658 Depth=3
	v_lshrrev_b32_e32 v2, 24, v9
	v_cmp_ne_u32_e32 vcc, s70, v2
	v_bfrev_b32_e32 v13, 1
	s_and_saveexec_b64 s[30:31], vcc
	s_cbranch_execz .LBB4_11025
; %bb.11022:                            ;   in Loop: Header=BB4_9658 Depth=3
	v_bfe_u32 v8, v9, 24, 7
	v_cmp_ne_u32_e32 vcc, s68, v8
	v_mov_b32_e32 v13, 0x7f800001
	s_and_saveexec_b64 s[34:35], vcc
	s_cbranch_execz .LBB4_11024
; %bb.11023:                            ;   in Loop: Header=BB4_9658 Depth=3
	v_and_b32_e32 v12, 7, v2
	v_lshrrev_b32_e32 v13, 3, v8
	v_cmp_gt_u32_e32 vcc, 8, v8
	v_ffbh_u32_e32 v8, v12
	v_min_u32_e32 v22, 32, v8
	v_subrev_u32_e32 v8, 28, v22
	v_lshlrev_b64 v[8:9], v8, v[2:3]
	v_sub_u32_e32 v9, 29, v22
	v_and_b32_e32 v8, 7, v8
	v_cndmask_b32_e32 v9, v13, v9, vcc
	v_cndmask_b32_e32 v8, v12, v8, vcc
	v_lshlrev_b32_e32 v2, 24, v2
	v_lshlrev_b32_e32 v8, 20, v8
	v_and_b32_e32 v2, 0x80000000, v2
	v_lshl_add_u32 v9, v9, 23, v5
	v_or3_b32 v13, v2, v9, v8
.LBB4_11024:                            ;   in Loop: Header=BB4_9658 Depth=3
	s_or_b64 exec, exec, s[34:35]
.LBB4_11025:                            ;   in Loop: Header=BB4_9658 Depth=3
	s_or_b64 exec, exec, s[30:31]
.LBB4_11026:                            ;   in Loop: Header=BB4_9658 Depth=3
	s_or_b64 exec, exec, s[28:29]
	v_add_f32_e32 v8, v52, v13
	v_and_b32_e32 v2, 0x7f800000, v8
	v_cmp_ne_u64_e32 vcc, s[62:63], v[2:3]
                                        ; implicit-def: $vgpr52
	s_and_saveexec_b64 s[28:29], vcc
	s_xor_b64 s[30:31], exec, s[28:29]
	s_cbranch_execz .LBB4_11040
; %bb.11027:                            ;   in Loop: Header=BB4_9658 Depth=3
	v_and_b32_e32 v2, 0x7fffffff, v8
	v_cmp_gt_u64_e32 vcc, s[72:73], v[2:3]
	v_and_b32_sdwa v53, v8, s70 dst_sel:DWORD dst_unused:UNUSED_PAD src0_sel:BYTE_3 src1_sel:DWORD
                                        ; implicit-def: $vgpr52
	s_and_saveexec_b64 s[28:29], vcc
	s_xor_b64 s[34:35], exec, s[28:29]
	s_cbranch_execz .LBB4_11037
; %bb.11028:                            ;   in Loop: Header=BB4_9658 Depth=3
	v_mov_b32_e32 v52, 0
	v_cmp_ne_u32_e32 vcc, 0, v8
	s_and_saveexec_b64 s[36:37], vcc
	s_cbranch_execz .LBB4_11036
; %bb.11029:                            ;   in Loop: Header=BB4_9658 Depth=3
	v_bfe_u32 v52, v8, 23, 8
	v_and_b32_e32 v2, 0x7fffff, v8
	v_cmp_gt_u32_e64 s[28:29], s71, v52
	v_sub_u32_e32 v8, 0x79, v52
	v_cmp_eq_u32_e32 vcc, 0, v52
	v_cndmask_b32_e64 v8, 0, v8, s[28:29]
	v_mov_b32_e32 v12, 0x78
	v_cndmask_b32_e32 v54, v8, v12, vcc
	v_or_b32_e32 v9, 0x800000, v2
	v_add_u32_e32 v8, 20, v54
	v_cndmask_b32_e32 v2, v9, v2, vcc
	v_lshlrev_b64 v[8:9], v8, -1
	v_add_u32_e32 v12, 19, v54
	v_lshlrev_b64 v[12:13], v12, 1
	v_bfi_b32 v9, v9, 0, 0
	v_bfi_b32 v8, v8, 0, v2
	v_cmp_eq_u64_e64 s[28:29], v[8:9], v[12:13]
	v_lshrrev_b64 v[8:9], v54, v[2:3]
	v_mov_b32_e32 v13, v9
	v_mov_b32_e32 v12, v8
	s_and_saveexec_b64 s[38:39], s[28:29]
; %bb.11030:                            ;   in Loop: Header=BB4_9658 Depth=3
	v_bfe_u32 v2, v8, 20, 1
	v_add_co_u32_e64 v2, s[28:29], v8, v2
	v_add_co_u32_e64 v12, s[28:29], -1, v2
; %bb.11031:                            ;   in Loop: Header=BB4_9658 Depth=3
	s_or_b64 exec, exec, s[38:39]
	v_add_u32_e32 v2, 0xffffff81, v52
	v_mov_b32_e32 v9, 0xffffff82
	v_cndmask_b32_e32 v2, v2, v9, vcc
	v_lshrrev_b32_e32 v9, 23, v8
	v_add3_u32 v52, v54, v2, v9
	v_add_u32_e32 v13, 6, v52
	v_and_b32_e32 v2, 0xfffff, v12
	v_add_u32_e32 v2, v2, v8
	v_cmp_ne_u32_e32 vcc, 0, v13
                                        ; implicit-def: $vgpr8_vgpr9
                                        ; implicit-def: $vgpr12
	s_and_saveexec_b64 s[28:29], vcc
	s_xor_b64 s[28:29], exec, s[28:29]
; %bb.11032:                            ;   in Loop: Header=BB4_9658 Depth=3
	v_cmp_lt_u64_e32 vcc, s[74:75], v[2:3]
	v_add_u32_e32 v8, 7, v52
	v_cndmask_b32_e32 v12, v13, v8, vcc
	v_cndmask_b32_e64 v8, 0, 1, vcc
	v_lshrrev_b64 v[8:9], v8, v[2:3]
; %bb.11033:                            ;   in Loop: Header=BB4_9658 Depth=3
	s_andn2_saveexec_b64 s[28:29], s[28:29]
; %bb.11034:                            ;   in Loop: Header=BB4_9658 Depth=3
	v_mov_b32_e32 v9, v3
	v_bfe_u32 v12, v2, 23, 1
	v_mov_b32_e32 v8, v2
; %bb.11035:                            ;   in Loop: Header=BB4_9658 Depth=3
	s_or_b64 exec, exec, s[28:29]
	v_lshrrev_b64 v[8:9], 20, v[8:9]
	v_cmp_gt_i32_e32 vcc, 16, v12
	v_cndmask_b32_e32 v9, 0, v9, vcc
	v_cndmask_b32_e32 v8, 7, v8, vcc
	v_min_i32_e32 v2, 15, v12
	v_cmp_eq_u64_e64 s[28:29], 0, v[8:9]
	v_lshlrev_b32_e32 v2, 3, v2
	v_cmp_eq_u32_e32 vcc, 0, v12
	v_and_b32_e32 v2, 0xf8, v2
	v_and_or_b32 v2, v8, 7, v2
	s_and_b64 s[28:29], vcc, s[28:29]
	v_cndmask_b32_e64 v2, v2, 0, s[28:29]
	v_or_b32_e32 v52, v2, v53
.LBB4_11036:                            ;   in Loop: Header=BB4_9658 Depth=3
	s_or_b64 exec, exec, s[36:37]
                                        ; implicit-def: $vgpr53
.LBB4_11037:                            ;   in Loop: Header=BB4_9658 Depth=3
	s_andn2_saveexec_b64 s[28:29], s[34:35]
; %bb.11038:                            ;   in Loop: Header=BB4_9658 Depth=3
	v_or_b32_e32 v52, 0x7e, v53
; %bb.11039:                            ;   in Loop: Header=BB4_9658 Depth=3
	s_or_b64 exec, exec, s[28:29]
                                        ; implicit-def: $vgpr8
.LBB4_11040:                            ;   in Loop: Header=BB4_9658 Depth=3
	s_andn2_saveexec_b64 s[28:29], s[30:31]
; %bb.11041:                            ;   in Loop: Header=BB4_9658 Depth=3
	v_or_b32_sdwa v52, v8, s68 dst_sel:DWORD dst_unused:UNUSED_PAD src0_sel:BYTE_3 src1_sel:DWORD
; %bb.11042:                            ;   in Loop: Header=BB4_9658 Depth=3
	s_or_b64 exec, exec, s[28:29]
	buffer_load_dword v2, off, s[0:3], s33 offset:204 ; 4-byte Folded Reload
	v_lshlrev_b32_e32 v8, 24, v50
	v_cmp_ne_u32_e32 vcc, 0, v16
	v_mov_b32_e32 v9, 0
	s_waitcnt vmcnt(0)
	v_lshl_or_b32 v27, v2, 8, v16
	v_lshlrev_b32_e32 v2, 16, v58
	v_or3_b32 v2, v2, v8, v27
	v_mov_b32_e32 v8, 0
	s_and_saveexec_b64 s[28:29], vcc
	s_cbranch_execz .LBB4_11048
; %bb.11043:                            ;   in Loop: Header=BB4_9658 Depth=3
	v_cmp_ne_u32_e32 vcc, s70, v16
	v_bfrev_b32_e32 v9, 1
	s_and_saveexec_b64 s[30:31], vcc
	s_cbranch_execz .LBB4_11047
; %bb.11044:                            ;   in Loop: Header=BB4_9658 Depth=3
	v_and_b32_e32 v12, 0x7f, v16
	v_cmp_ne_u32_e32 vcc, s68, v12
	v_mov_b32_e32 v9, 0x7f800001
	s_and_saveexec_b64 s[34:35], vcc
	s_cbranch_execz .LBB4_11046
; %bb.11045:                            ;   in Loop: Header=BB4_9658 Depth=3
	v_and_b32_e32 v9, 7, v16
	v_ffbh_u32_e32 v9, v9
	v_min_u32_e32 v9, 32, v9
	v_lshrrev_b32_e32 v13, 3, v12
	v_cmp_gt_u32_e32 vcc, 8, v12
	v_subrev_u32_e32 v12, 28, v9
	v_sub_u32_e32 v9, 29, v9
	v_cndmask_b32_e32 v12, 0, v12, vcc
	v_cndmask_b32_e32 v9, v13, v9, vcc
	v_lshlrev_b64 v[12:13], v12, v[2:3]
	v_lshlrev_b32_e32 v13, 24, v2
	v_lshlrev_b32_e32 v12, 20, v12
	v_and_b32_e32 v12, 0x700000, v12
	v_and_b32_e32 v13, 0x80000000, v13
	v_lshl_add_u32 v9, v9, 23, v5
	v_or3_b32 v9, v13, v9, v12
.LBB4_11046:                            ;   in Loop: Header=BB4_9658 Depth=3
	s_or_b64 exec, exec, s[34:35]
.LBB4_11047:                            ;   in Loop: Header=BB4_9658 Depth=3
	s_or_b64 exec, exec, s[30:31]
.LBB4_11048:                            ;   in Loop: Header=BB4_9658 Depth=3
	s_or_b64 exec, exec, s[28:29]
	v_cmp_ne_u16_sdwa vcc, v10, v3 src0_sel:BYTE_0 src1_sel:DWORD
	s_and_saveexec_b64 s[28:29], vcc
	s_cbranch_execz .LBB4_11054
; %bb.11049:                            ;   in Loop: Header=BB4_9658 Depth=3
	v_cmp_ne_u16_sdwa vcc, v10, s70 src0_sel:BYTE_0 src1_sel:DWORD
	v_bfrev_b32_e32 v8, 1
	s_and_saveexec_b64 s[30:31], vcc
	s_cbranch_execz .LBB4_11053
; %bb.11050:                            ;   in Loop: Header=BB4_9658 Depth=3
	v_and_b32_e32 v12, 0x7f, v10
	v_cmp_ne_u32_e32 vcc, s68, v12
	v_mov_b32_e32 v8, 0x7f800001
	s_and_saveexec_b64 s[34:35], vcc
	s_cbranch_execz .LBB4_11052
; %bb.11051:                            ;   in Loop: Header=BB4_9658 Depth=3
	v_and_b32_e32 v8, 7, v10
	v_ffbh_u32_e32 v8, v8
	v_min_u32_e32 v8, 32, v8
	v_lshrrev_b32_e32 v13, 3, v12
	v_cmp_gt_u32_e32 vcc, 8, v12
	v_subrev_u32_e32 v12, 28, v8
	v_sub_u32_e32 v8, 29, v8
	v_cndmask_b32_e32 v12, 0, v12, vcc
	v_cndmask_b32_e32 v8, v13, v8, vcc
	v_lshlrev_b64 v[12:13], v12, v[10:11]
	v_lshlrev_b32_e32 v13, 24, v10
	v_lshlrev_b32_e32 v12, 20, v12
	v_and_b32_e32 v12, 0x700000, v12
	v_and_b32_e32 v13, 0x80000000, v13
	v_lshl_add_u32 v8, v8, 23, v5
	v_or3_b32 v8, v13, v8, v12
.LBB4_11052:                            ;   in Loop: Header=BB4_9658 Depth=3
	s_or_b64 exec, exec, s[34:35]
.LBB4_11053:                            ;   in Loop: Header=BB4_9658 Depth=3
	s_or_b64 exec, exec, s[30:31]
.LBB4_11054:                            ;   in Loop: Header=BB4_9658 Depth=3
	s_or_b64 exec, exec, s[28:29]
	v_add_f32_e32 v8, v9, v8
	v_and_b32_e32 v12, 0x7f800000, v8
	v_mov_b32_e32 v13, v3
	v_cmp_ne_u64_e32 vcc, s[62:63], v[12:13]
                                        ; implicit-def: $vgpr16
	s_and_saveexec_b64 s[28:29], vcc
	s_xor_b64 s[30:31], exec, s[28:29]
	s_cbranch_execz .LBB4_11068
; %bb.11055:                            ;   in Loop: Header=BB4_9658 Depth=3
	v_and_b32_e32 v12, 0x7fffffff, v8
	v_mov_b32_e32 v13, v3
	v_cmp_gt_u64_e32 vcc, s[72:73], v[12:13]
	v_and_b32_sdwa v50, v8, s70 dst_sel:DWORD dst_unused:UNUSED_PAD src0_sel:BYTE_3 src1_sel:DWORD
                                        ; implicit-def: $vgpr16
	s_and_saveexec_b64 s[28:29], vcc
	s_xor_b64 s[34:35], exec, s[28:29]
	s_cbranch_execz .LBB4_11065
; %bb.11056:                            ;   in Loop: Header=BB4_9658 Depth=3
	v_mov_b32_e32 v16, 0
	v_cmp_ne_u32_e32 vcc, 0, v8
	s_and_saveexec_b64 s[36:37], vcc
	s_cbranch_execz .LBB4_11064
; %bb.11057:                            ;   in Loop: Header=BB4_9658 Depth=3
	v_bfe_u32 v16, v8, 23, 8
	v_and_b32_e32 v9, 0x7fffff, v8
	v_cmp_gt_u32_e64 s[28:29], s71, v16
	v_sub_u32_e32 v8, 0x79, v16
	v_cmp_eq_u32_e32 vcc, 0, v16
	v_cndmask_b32_e64 v8, 0, v8, s[28:29]
	v_mov_b32_e32 v13, 0x78
	v_or_b32_e32 v12, 0x800000, v9
	v_cndmask_b32_e32 v53, v8, v13, vcc
	v_cndmask_b32_e32 v8, v12, v9, vcc
	v_add_u32_e32 v12, 20, v53
	v_lshlrev_b64 v[12:13], v12, -1
	v_mov_b32_e32 v9, v3
	v_add_u32_e32 v22, 19, v53
	v_bfi_b32 v12, v12, 0, v8
	v_lshlrev_b64 v[54:55], v22, 1
	v_lshrrev_b64 v[8:9], v53, v[8:9]
	v_bfi_b32 v13, v13, 0, 0
	v_cmp_eq_u64_e64 s[28:29], v[12:13], v[54:55]
	v_mov_b32_e32 v13, v9
	v_mov_b32_e32 v12, v8
	s_and_saveexec_b64 s[38:39], s[28:29]
; %bb.11058:                            ;   in Loop: Header=BB4_9658 Depth=3
	v_bfe_u32 v9, v8, 20, 1
	v_add_co_u32_e64 v9, s[28:29], v8, v9
	v_add_co_u32_e64 v12, s[28:29], -1, v9
; %bb.11059:                            ;   in Loop: Header=BB4_9658 Depth=3
	s_or_b64 exec, exec, s[38:39]
	v_add_u32_e32 v9, 0xffffff81, v16
	v_mov_b32_e32 v13, 0xffffff82
	v_cndmask_b32_e32 v9, v9, v13, vcc
	v_lshrrev_b32_e32 v13, 23, v8
	v_add3_u32 v16, v53, v9, v13
	v_add_u32_e32 v13, 6, v16
	v_and_b32_e32 v9, 0xfffff, v12
	v_add_u32_e32 v8, v9, v8
	v_mov_b32_e32 v9, v3
	v_cmp_ne_u32_e32 vcc, 0, v13
                                        ; implicit-def: $vgpr12
	s_and_saveexec_b64 s[28:29], vcc
	s_xor_b64 s[28:29], exec, s[28:29]
; %bb.11060:                            ;   in Loop: Header=BB4_9658 Depth=3
	v_cmp_lt_u64_e32 vcc, s[74:75], v[8:9]
	v_add_u32_e32 v12, 7, v16
	v_cndmask_b32_e32 v12, v13, v12, vcc
	v_cndmask_b32_e64 v13, 0, 1, vcc
	v_lshrrev_b64 v[8:9], v13, v[8:9]
; %bb.11061:                            ;   in Loop: Header=BB4_9658 Depth=3
	s_andn2_saveexec_b64 s[28:29], s[28:29]
; %bb.11062:                            ;   in Loop: Header=BB4_9658 Depth=3
	v_bfe_u32 v12, v8, 23, 1
; %bb.11063:                            ;   in Loop: Header=BB4_9658 Depth=3
	s_or_b64 exec, exec, s[28:29]
	v_lshrrev_b64 v[8:9], 20, v[8:9]
	v_cmp_gt_i32_e32 vcc, 16, v12
	v_cndmask_b32_e32 v9, 0, v9, vcc
	v_cndmask_b32_e32 v8, 7, v8, vcc
	v_cmp_eq_u64_e64 s[28:29], 0, v[8:9]
	v_min_i32_e32 v9, 15, v12
	v_lshlrev_b32_e32 v9, 3, v9
	v_cmp_eq_u32_e32 vcc, 0, v12
	v_and_b32_e32 v9, 0xf8, v9
	v_and_or_b32 v8, v8, 7, v9
	s_and_b64 s[28:29], vcc, s[28:29]
	v_cndmask_b32_e64 v8, v8, 0, s[28:29]
	v_or_b32_e32 v16, v8, v50
.LBB4_11064:                            ;   in Loop: Header=BB4_9658 Depth=3
	s_or_b64 exec, exec, s[36:37]
                                        ; implicit-def: $vgpr50
.LBB4_11065:                            ;   in Loop: Header=BB4_9658 Depth=3
	s_andn2_saveexec_b64 s[28:29], s[34:35]
; %bb.11066:                            ;   in Loop: Header=BB4_9658 Depth=3
	v_or_b32_e32 v16, 0x7e, v50
; %bb.11067:                            ;   in Loop: Header=BB4_9658 Depth=3
	s_or_b64 exec, exec, s[28:29]
                                        ; implicit-def: $vgpr8
.LBB4_11068:                            ;   in Loop: Header=BB4_9658 Depth=3
	s_andn2_saveexec_b64 s[28:29], s[30:31]
; %bb.11069:                            ;   in Loop: Header=BB4_9658 Depth=3
	v_or_b32_sdwa v16, v8, s68 dst_sel:DWORD dst_unused:UNUSED_PAD src0_sel:BYTE_3 src1_sel:DWORD
; %bb.11070:                            ;   in Loop: Header=BB4_9658 Depth=3
	s_or_b64 exec, exec, s[28:29]
	v_lshrrev_b16_e32 v8, 8, v27
	v_cmp_ne_u16_e32 vcc, 0, v8
	v_mov_b32_e32 v9, 0
	v_mov_b32_e32 v12, 0
	s_and_saveexec_b64 s[28:29], vcc
	s_cbranch_execz .LBB4_11076
; %bb.11071:                            ;   in Loop: Header=BB4_9658 Depth=3
	v_cmp_ne_u16_e32 vcc, s70, v8
	v_bfrev_b32_e32 v12, 1
	s_and_saveexec_b64 s[30:31], vcc
	s_cbranch_execz .LBB4_11075
; %bb.11072:                            ;   in Loop: Header=BB4_9658 Depth=3
	v_and_b32_e32 v13, 0x7f, v8
	v_cmp_ne_u32_e32 vcc, s68, v13
	v_mov_b32_e32 v12, 0x7f800001
	s_and_saveexec_b64 s[34:35], vcc
	s_cbranch_execz .LBB4_11074
; %bb.11073:                            ;   in Loop: Header=BB4_9658 Depth=3
	v_and_b32_e32 v22, 7, v8
	v_ffbh_u32_e32 v12, v22
	v_min_u32_e32 v26, 32, v12
	v_subrev_u32_e32 v12, 28, v26
	v_lshrrev_b32_e32 v23, 3, v13
	v_cmp_gt_u32_e32 vcc, 8, v13
	v_lshlrev_b64 v[12:13], v12, v[8:9]
	v_sub_u32_e32 v8, 29, v26
	v_and_b32_e32 v12, 7, v12
	v_cndmask_b32_e32 v8, v23, v8, vcc
	v_cndmask_b32_e32 v12, v22, v12, vcc
	v_lshlrev_b32_e32 v13, 16, v27
	v_lshlrev_b32_e32 v12, 20, v12
	v_and_b32_e32 v13, 0x80000000, v13
	v_lshl_add_u32 v8, v8, 23, v5
	v_or3_b32 v12, v13, v8, v12
.LBB4_11074:                            ;   in Loop: Header=BB4_9658 Depth=3
	s_or_b64 exec, exec, s[34:35]
.LBB4_11075:                            ;   in Loop: Header=BB4_9658 Depth=3
	s_or_b64 exec, exec, s[30:31]
.LBB4_11076:                            ;   in Loop: Header=BB4_9658 Depth=3
	s_or_b64 exec, exec, s[28:29]
	v_lshrrev_b16_e32 v8, 8, v10
	v_cmp_ne_u16_e32 vcc, 0, v8
	s_and_saveexec_b64 s[28:29], vcc
	s_cbranch_execz .LBB4_11082
; %bb.11077:                            ;   in Loop: Header=BB4_9658 Depth=3
	v_cmp_ne_u16_e32 vcc, s70, v8
	v_bfrev_b32_e32 v9, 1
	s_and_saveexec_b64 s[30:31], vcc
	s_cbranch_execz .LBB4_11081
; %bb.11078:                            ;   in Loop: Header=BB4_9658 Depth=3
	v_and_b32_e32 v13, 0x7f, v8
	v_cmp_ne_u32_e32 vcc, s68, v13
	v_mov_b32_e32 v9, 0x7f800001
	s_and_saveexec_b64 s[34:35], vcc
	s_cbranch_execz .LBB4_11080
; %bb.11079:                            ;   in Loop: Header=BB4_9658 Depth=3
	v_and_b32_e32 v22, 7, v8
	v_ffbh_u32_e32 v9, v22
	v_lshrrev_b32_e32 v23, 3, v13
	v_cmp_gt_u32_e32 vcc, 8, v13
	v_min_u32_e32 v13, 32, v9
	v_subrev_u32_e32 v9, 28, v13
	v_lshlrev_b64 v[8:9], v9, v[8:9]
	v_sub_u32_e32 v9, 29, v13
	v_and_b32_e32 v8, 7, v8
	v_cndmask_b32_e32 v9, v23, v9, vcc
	v_cndmask_b32_e32 v8, v22, v8, vcc
	v_lshlrev_b32_e32 v13, 16, v10
	v_lshlrev_b32_e32 v8, 20, v8
	v_and_b32_e32 v13, 0x80000000, v13
	v_lshl_add_u32 v9, v9, 23, v5
	v_or3_b32 v9, v13, v9, v8
.LBB4_11080:                            ;   in Loop: Header=BB4_9658 Depth=3
	s_or_b64 exec, exec, s[34:35]
.LBB4_11081:                            ;   in Loop: Header=BB4_9658 Depth=3
	s_or_b64 exec, exec, s[30:31]
.LBB4_11082:                            ;   in Loop: Header=BB4_9658 Depth=3
	s_or_b64 exec, exec, s[28:29]
	v_add_f32_e32 v8, v12, v9
	v_and_b32_e32 v12, 0x7f800000, v8
	v_mov_b32_e32 v13, v3
	v_cmp_ne_u64_e32 vcc, s[62:63], v[12:13]
                                        ; implicit-def: $vgpr27
	s_and_saveexec_b64 s[28:29], vcc
	s_xor_b64 s[30:31], exec, s[28:29]
	s_cbranch_execz .LBB4_11096
; %bb.11083:                            ;   in Loop: Header=BB4_9658 Depth=3
	v_and_b32_e32 v12, 0x7fffffff, v8
	v_mov_b32_e32 v13, v3
	v_cmp_gt_u64_e32 vcc, s[72:73], v[12:13]
	v_and_b32_sdwa v50, v8, s70 dst_sel:DWORD dst_unused:UNUSED_PAD src0_sel:BYTE_3 src1_sel:DWORD
                                        ; implicit-def: $vgpr27
	s_and_saveexec_b64 s[28:29], vcc
	s_xor_b64 s[34:35], exec, s[28:29]
	s_cbranch_execz .LBB4_11093
; %bb.11084:                            ;   in Loop: Header=BB4_9658 Depth=3
	v_mov_b32_e32 v27, 0
	v_cmp_ne_u32_e32 vcc, 0, v8
	s_and_saveexec_b64 s[36:37], vcc
	s_cbranch_execz .LBB4_11092
; %bb.11085:                            ;   in Loop: Header=BB4_9658 Depth=3
	v_bfe_u32 v27, v8, 23, 8
	v_and_b32_e32 v9, 0x7fffff, v8
	v_cmp_gt_u32_e64 s[28:29], s71, v27
	v_sub_u32_e32 v8, 0x79, v27
	v_cmp_eq_u32_e32 vcc, 0, v27
	v_cndmask_b32_e64 v8, 0, v8, s[28:29]
	v_mov_b32_e32 v13, 0x78
	v_or_b32_e32 v12, 0x800000, v9
	v_cndmask_b32_e32 v53, v8, v13, vcc
	v_cndmask_b32_e32 v8, v12, v9, vcc
	v_add_u32_e32 v12, 20, v53
	v_lshlrev_b64 v[12:13], v12, -1
	v_mov_b32_e32 v9, v3
	v_add_u32_e32 v22, 19, v53
	v_bfi_b32 v12, v12, 0, v8
	v_lshlrev_b64 v[54:55], v22, 1
	v_lshrrev_b64 v[8:9], v53, v[8:9]
	v_bfi_b32 v13, v13, 0, 0
	v_cmp_eq_u64_e64 s[28:29], v[12:13], v[54:55]
	v_mov_b32_e32 v13, v9
	v_mov_b32_e32 v12, v8
	s_and_saveexec_b64 s[38:39], s[28:29]
; %bb.11086:                            ;   in Loop: Header=BB4_9658 Depth=3
	v_bfe_u32 v9, v8, 20, 1
	v_add_co_u32_e64 v9, s[28:29], v8, v9
	v_add_co_u32_e64 v12, s[28:29], -1, v9
; %bb.11087:                            ;   in Loop: Header=BB4_9658 Depth=3
	s_or_b64 exec, exec, s[38:39]
	v_add_u32_e32 v9, 0xffffff81, v27
	v_mov_b32_e32 v13, 0xffffff82
	v_cndmask_b32_e32 v9, v9, v13, vcc
	v_lshrrev_b32_e32 v13, 23, v8
	v_add3_u32 v27, v53, v9, v13
	v_add_u32_e32 v13, 6, v27
	v_and_b32_e32 v9, 0xfffff, v12
	v_add_u32_e32 v8, v9, v8
	v_mov_b32_e32 v9, v3
	v_cmp_ne_u32_e32 vcc, 0, v13
                                        ; implicit-def: $vgpr12
	s_and_saveexec_b64 s[28:29], vcc
	s_xor_b64 s[28:29], exec, s[28:29]
; %bb.11088:                            ;   in Loop: Header=BB4_9658 Depth=3
	v_cmp_lt_u64_e32 vcc, s[74:75], v[8:9]
	v_add_u32_e32 v12, 7, v27
	v_cndmask_b32_e32 v12, v13, v12, vcc
	v_cndmask_b32_e64 v13, 0, 1, vcc
	v_lshrrev_b64 v[8:9], v13, v[8:9]
; %bb.11089:                            ;   in Loop: Header=BB4_9658 Depth=3
	s_andn2_saveexec_b64 s[28:29], s[28:29]
; %bb.11090:                            ;   in Loop: Header=BB4_9658 Depth=3
	v_bfe_u32 v12, v8, 23, 1
; %bb.11091:                            ;   in Loop: Header=BB4_9658 Depth=3
	s_or_b64 exec, exec, s[28:29]
	v_lshrrev_b64 v[8:9], 20, v[8:9]
	v_cmp_gt_i32_e32 vcc, 16, v12
	v_cndmask_b32_e32 v9, 0, v9, vcc
	v_cndmask_b32_e32 v8, 7, v8, vcc
	v_cmp_eq_u64_e64 s[28:29], 0, v[8:9]
	v_min_i32_e32 v9, 15, v12
	v_lshlrev_b32_e32 v9, 3, v9
	v_cmp_eq_u32_e32 vcc, 0, v12
	v_and_b32_e32 v9, 0xf8, v9
	v_and_or_b32 v8, v8, 7, v9
	s_and_b64 s[28:29], vcc, s[28:29]
	v_cndmask_b32_e64 v8, v8, 0, s[28:29]
	v_or_b32_e32 v27, v8, v50
.LBB4_11092:                            ;   in Loop: Header=BB4_9658 Depth=3
	s_or_b64 exec, exec, s[36:37]
                                        ; implicit-def: $vgpr50
.LBB4_11093:                            ;   in Loop: Header=BB4_9658 Depth=3
	s_andn2_saveexec_b64 s[28:29], s[34:35]
; %bb.11094:                            ;   in Loop: Header=BB4_9658 Depth=3
	v_or_b32_e32 v27, 0x7e, v50
; %bb.11095:                            ;   in Loop: Header=BB4_9658 Depth=3
	s_or_b64 exec, exec, s[28:29]
                                        ; implicit-def: $vgpr8
.LBB4_11096:                            ;   in Loop: Header=BB4_9658 Depth=3
	s_andn2_saveexec_b64 s[28:29], s[30:31]
; %bb.11097:                            ;   in Loop: Header=BB4_9658 Depth=3
	v_or_b32_sdwa v27, v8, s68 dst_sel:DWORD dst_unused:UNUSED_PAD src0_sel:BYTE_3 src1_sel:DWORD
; %bb.11098:                            ;   in Loop: Header=BB4_9658 Depth=3
	s_or_b64 exec, exec, s[28:29]
	v_lshrrev_b32_e32 v8, 16, v2
	v_cmp_ne_u16_sdwa vcc, v8, v3 src0_sel:BYTE_0 src1_sel:DWORD
	v_mov_b32_e32 v9, 0
	v_mov_b32_e32 v12, 0
	s_and_saveexec_b64 s[28:29], vcc
	s_cbranch_execz .LBB4_11104
; %bb.11099:                            ;   in Loop: Header=BB4_9658 Depth=3
	v_cmp_ne_u16_sdwa vcc, v8, s70 src0_sel:BYTE_0 src1_sel:DWORD
	v_bfrev_b32_e32 v12, 1
	s_and_saveexec_b64 s[30:31], vcc
	s_cbranch_execz .LBB4_11103
; %bb.11100:                            ;   in Loop: Header=BB4_9658 Depth=3
	v_bfe_u32 v13, v2, 16, 7
	v_cmp_ne_u32_e32 vcc, s68, v13
	v_mov_b32_e32 v12, 0x7f800001
	s_and_saveexec_b64 s[34:35], vcc
	s_cbranch_execz .LBB4_11102
; %bb.11101:                            ;   in Loop: Header=BB4_9658 Depth=3
	v_and_b32_e32 v22, 7, v8
	v_ffbh_u32_e32 v12, v22
	v_min_u32_e32 v26, 32, v12
	v_subrev_u32_e32 v12, 28, v26
	v_lshrrev_b32_e32 v23, 3, v13
	v_cmp_gt_u32_e32 vcc, 8, v13
	v_lshlrev_b64 v[12:13], v12, v[8:9]
	v_sub_u32_e32 v13, 29, v26
	v_and_b32_e32 v12, 7, v12
	v_cndmask_b32_e32 v13, v23, v13, vcc
	v_cndmask_b32_e32 v12, v22, v12, vcc
	v_lshlrev_b32_e32 v8, 24, v8
	v_lshlrev_b32_e32 v12, 20, v12
	v_and_b32_e32 v8, 0x80000000, v8
	v_lshl_add_u32 v13, v13, 23, v5
	v_or3_b32 v12, v8, v13, v12
.LBB4_11102:                            ;   in Loop: Header=BB4_9658 Depth=3
	s_or_b64 exec, exec, s[34:35]
.LBB4_11103:                            ;   in Loop: Header=BB4_9658 Depth=3
	s_or_b64 exec, exec, s[30:31]
.LBB4_11104:                            ;   in Loop: Header=BB4_9658 Depth=3
	s_or_b64 exec, exec, s[28:29]
	v_lshrrev_b32_e32 v8, 16, v10
	v_cmp_ne_u16_sdwa vcc, v8, v3 src0_sel:BYTE_0 src1_sel:DWORD
	s_and_saveexec_b64 s[28:29], vcc
	s_cbranch_execz .LBB4_11110
; %bb.11105:                            ;   in Loop: Header=BB4_9658 Depth=3
	v_cmp_ne_u16_sdwa vcc, v8, s70 src0_sel:BYTE_0 src1_sel:DWORD
	v_bfrev_b32_e32 v9, 1
	s_and_saveexec_b64 s[30:31], vcc
	s_cbranch_execz .LBB4_11109
; %bb.11106:                            ;   in Loop: Header=BB4_9658 Depth=3
	v_bfe_u32 v13, v10, 16, 7
	v_cmp_ne_u32_e32 vcc, s68, v13
	v_mov_b32_e32 v9, 0x7f800001
	s_and_saveexec_b64 s[34:35], vcc
	s_cbranch_execz .LBB4_11108
; %bb.11107:                            ;   in Loop: Header=BB4_9658 Depth=3
	v_and_b32_e32 v22, 7, v8
	v_ffbh_u32_e32 v9, v22
	v_lshrrev_b32_e32 v23, 3, v13
	v_cmp_gt_u32_e32 vcc, 8, v13
	v_min_u32_e32 v13, 32, v9
	v_subrev_u32_e32 v9, 28, v13
	v_lshlrev_b64 v[8:9], v9, v[8:9]
	v_sub_u32_e32 v9, 29, v13
	v_and_b32_e32 v8, 7, v8
	v_cndmask_b32_e32 v9, v23, v9, vcc
	v_cndmask_b32_e32 v8, v22, v8, vcc
	v_lshlrev_b32_e32 v13, 8, v10
	v_lshlrev_b32_e32 v8, 20, v8
	v_and_b32_e32 v13, 0x80000000, v13
	v_lshl_add_u32 v9, v9, 23, v5
	v_or3_b32 v9, v13, v9, v8
.LBB4_11108:                            ;   in Loop: Header=BB4_9658 Depth=3
	s_or_b64 exec, exec, s[34:35]
.LBB4_11109:                            ;   in Loop: Header=BB4_9658 Depth=3
	s_or_b64 exec, exec, s[30:31]
.LBB4_11110:                            ;   in Loop: Header=BB4_9658 Depth=3
	s_or_b64 exec, exec, s[28:29]
	v_add_f32_e32 v8, v12, v9
	v_and_b32_e32 v12, 0x7f800000, v8
	v_mov_b32_e32 v13, v3
	v_cmp_ne_u64_e32 vcc, s[62:63], v[12:13]
                                        ; implicit-def: $vgpr50
	s_and_saveexec_b64 s[28:29], vcc
	s_xor_b64 s[30:31], exec, s[28:29]
	s_cbranch_execz .LBB4_11124
; %bb.11111:                            ;   in Loop: Header=BB4_9658 Depth=3
	v_and_b32_e32 v12, 0x7fffffff, v8
	v_mov_b32_e32 v13, v3
	v_cmp_gt_u64_e32 vcc, s[72:73], v[12:13]
	v_and_b32_sdwa v53, v8, s70 dst_sel:DWORD dst_unused:UNUSED_PAD src0_sel:BYTE_3 src1_sel:DWORD
                                        ; implicit-def: $vgpr50
	s_and_saveexec_b64 s[28:29], vcc
	s_xor_b64 s[34:35], exec, s[28:29]
	s_cbranch_execz .LBB4_11121
; %bb.11112:                            ;   in Loop: Header=BB4_9658 Depth=3
	v_mov_b32_e32 v50, 0
	v_cmp_ne_u32_e32 vcc, 0, v8
	s_and_saveexec_b64 s[36:37], vcc
	s_cbranch_execz .LBB4_11120
; %bb.11113:                            ;   in Loop: Header=BB4_9658 Depth=3
	v_bfe_u32 v50, v8, 23, 8
	v_and_b32_e32 v9, 0x7fffff, v8
	v_cmp_gt_u32_e64 s[28:29], s71, v50
	v_sub_u32_e32 v8, 0x79, v50
	v_cmp_eq_u32_e32 vcc, 0, v50
	v_cndmask_b32_e64 v8, 0, v8, s[28:29]
	v_mov_b32_e32 v13, 0x78
	v_or_b32_e32 v12, 0x800000, v9
	v_cndmask_b32_e32 v54, v8, v13, vcc
	v_cndmask_b32_e32 v8, v12, v9, vcc
	v_add_u32_e32 v12, 20, v54
	v_lshlrev_b64 v[12:13], v12, -1
	v_mov_b32_e32 v9, v3
	v_add_u32_e32 v22, 19, v54
	v_bfi_b32 v12, v12, 0, v8
	v_lshlrev_b64 v[55:56], v22, 1
	v_lshrrev_b64 v[8:9], v54, v[8:9]
	v_bfi_b32 v13, v13, 0, 0
	v_cmp_eq_u64_e64 s[28:29], v[12:13], v[55:56]
	v_mov_b32_e32 v13, v9
	v_mov_b32_e32 v12, v8
	s_and_saveexec_b64 s[38:39], s[28:29]
; %bb.11114:                            ;   in Loop: Header=BB4_9658 Depth=3
	v_bfe_u32 v9, v8, 20, 1
	v_add_co_u32_e64 v9, s[28:29], v8, v9
	v_add_co_u32_e64 v12, s[28:29], -1, v9
; %bb.11115:                            ;   in Loop: Header=BB4_9658 Depth=3
	s_or_b64 exec, exec, s[38:39]
	v_add_u32_e32 v9, 0xffffff81, v50
	v_mov_b32_e32 v13, 0xffffff82
	v_cndmask_b32_e32 v9, v9, v13, vcc
	v_lshrrev_b32_e32 v13, 23, v8
	v_add3_u32 v50, v54, v9, v13
	v_add_u32_e32 v13, 6, v50
	v_and_b32_e32 v9, 0xfffff, v12
	v_add_u32_e32 v8, v9, v8
	v_mov_b32_e32 v9, v3
	v_cmp_ne_u32_e32 vcc, 0, v13
                                        ; implicit-def: $vgpr12
	s_and_saveexec_b64 s[28:29], vcc
	s_xor_b64 s[28:29], exec, s[28:29]
; %bb.11116:                            ;   in Loop: Header=BB4_9658 Depth=3
	v_cmp_lt_u64_e32 vcc, s[74:75], v[8:9]
	v_add_u32_e32 v12, 7, v50
	v_cndmask_b32_e32 v12, v13, v12, vcc
	v_cndmask_b32_e64 v13, 0, 1, vcc
	v_lshrrev_b64 v[8:9], v13, v[8:9]
; %bb.11117:                            ;   in Loop: Header=BB4_9658 Depth=3
	s_andn2_saveexec_b64 s[28:29], s[28:29]
; %bb.11118:                            ;   in Loop: Header=BB4_9658 Depth=3
	v_bfe_u32 v12, v8, 23, 1
; %bb.11119:                            ;   in Loop: Header=BB4_9658 Depth=3
	s_or_b64 exec, exec, s[28:29]
	v_lshrrev_b64 v[8:9], 20, v[8:9]
	v_cmp_gt_i32_e32 vcc, 16, v12
	v_cndmask_b32_e32 v9, 0, v9, vcc
	v_cndmask_b32_e32 v8, 7, v8, vcc
	v_cmp_eq_u64_e64 s[28:29], 0, v[8:9]
	v_min_i32_e32 v9, 15, v12
	v_lshlrev_b32_e32 v9, 3, v9
	v_cmp_eq_u32_e32 vcc, 0, v12
	v_and_b32_e32 v9, 0xf8, v9
	v_and_or_b32 v8, v8, 7, v9
	s_and_b64 s[28:29], vcc, s[28:29]
	v_cndmask_b32_e64 v8, v8, 0, s[28:29]
	v_or_b32_e32 v50, v8, v53
.LBB4_11120:                            ;   in Loop: Header=BB4_9658 Depth=3
	s_or_b64 exec, exec, s[36:37]
                                        ; implicit-def: $vgpr53
.LBB4_11121:                            ;   in Loop: Header=BB4_9658 Depth=3
	s_andn2_saveexec_b64 s[28:29], s[34:35]
; %bb.11122:                            ;   in Loop: Header=BB4_9658 Depth=3
	v_or_b32_e32 v50, 0x7e, v53
; %bb.11123:                            ;   in Loop: Header=BB4_9658 Depth=3
	s_or_b64 exec, exec, s[28:29]
                                        ; implicit-def: $vgpr8
.LBB4_11124:                            ;   in Loop: Header=BB4_9658 Depth=3
	s_andn2_saveexec_b64 s[28:29], s[30:31]
; %bb.11125:                            ;   in Loop: Header=BB4_9658 Depth=3
	v_or_b32_sdwa v50, v8, s68 dst_sel:DWORD dst_unused:UNUSED_PAD src0_sel:BYTE_3 src1_sel:DWORD
; %bb.11126:                            ;   in Loop: Header=BB4_9658 Depth=3
	s_or_b64 exec, exec, s[28:29]
	v_cmp_lt_u32_e32 vcc, s57, v2
	v_mov_b32_e32 v9, 0
	v_mov_b32_e32 v12, 0
	s_and_saveexec_b64 s[28:29], vcc
	s_cbranch_execz .LBB4_11132
; %bb.11127:                            ;   in Loop: Header=BB4_9658 Depth=3
	v_lshrrev_b32_e32 v8, 24, v2
	v_cmp_ne_u32_sdwa vcc, v2, s70 src0_sel:BYTE_3 src1_sel:DWORD
	v_bfrev_b32_e32 v12, 1
	s_and_saveexec_b64 s[30:31], vcc
	s_cbranch_execz .LBB4_11131
; %bb.11128:                            ;   in Loop: Header=BB4_9658 Depth=3
	v_bfe_u32 v13, v2, 24, 7
	v_cmp_ne_u32_e32 vcc, s68, v13
	v_mov_b32_e32 v12, 0x7f800001
	s_and_saveexec_b64 s[34:35], vcc
	s_cbranch_execz .LBB4_11130
; %bb.11129:                            ;   in Loop: Header=BB4_9658 Depth=3
	v_and_b32_e32 v22, 7, v8
	v_ffbh_u32_e32 v12, v22
	v_min_u32_e32 v26, 32, v12
	v_subrev_u32_e32 v12, 28, v26
	v_lshrrev_b32_e32 v23, 3, v13
	v_cmp_gt_u32_e32 vcc, 8, v13
	v_lshlrev_b64 v[12:13], v12, v[8:9]
	v_sub_u32_e32 v8, 29, v26
	v_and_b32_e32 v12, 7, v12
	v_mov_b32_e32 v13, 24
	v_cndmask_b32_e32 v8, v23, v8, vcc
	v_cndmask_b32_e32 v12, v22, v12, vcc
	v_lshlrev_b32_sdwa v2, v13, v2 dst_sel:DWORD dst_unused:UNUSED_PAD src0_sel:DWORD src1_sel:BYTE_3
	v_lshlrev_b32_e32 v12, 20, v12
	v_and_b32_e32 v2, 0x80000000, v2
	v_lshl_add_u32 v8, v8, 23, v5
	v_or3_b32 v12, v2, v8, v12
.LBB4_11130:                            ;   in Loop: Header=BB4_9658 Depth=3
	s_or_b64 exec, exec, s[34:35]
.LBB4_11131:                            ;   in Loop: Header=BB4_9658 Depth=3
	s_or_b64 exec, exec, s[30:31]
.LBB4_11132:                            ;   in Loop: Header=BB4_9658 Depth=3
	s_or_b64 exec, exec, s[28:29]
	v_cmp_lt_u32_e32 vcc, s57, v10
	s_and_saveexec_b64 s[28:29], vcc
	s_cbranch_execz .LBB4_11138
; %bb.11133:                            ;   in Loop: Header=BB4_9658 Depth=3
	v_lshrrev_b32_e32 v2, 24, v10
	v_cmp_ne_u32_e32 vcc, s70, v2
	v_bfrev_b32_e32 v9, 1
	s_and_saveexec_b64 s[30:31], vcc
	s_cbranch_execz .LBB4_11137
; %bb.11134:                            ;   in Loop: Header=BB4_9658 Depth=3
	v_bfe_u32 v8, v10, 24, 7
	v_cmp_ne_u32_e32 vcc, s68, v8
	v_mov_b32_e32 v9, 0x7f800001
	s_and_saveexec_b64 s[34:35], vcc
	s_cbranch_execz .LBB4_11136
; %bb.11135:                            ;   in Loop: Header=BB4_9658 Depth=3
	v_and_b32_e32 v13, 7, v2
	v_lshrrev_b32_e32 v22, 3, v8
	v_cmp_gt_u32_e32 vcc, 8, v8
	v_ffbh_u32_e32 v8, v13
	v_min_u32_e32 v23, 32, v8
	v_subrev_u32_e32 v8, 28, v23
	v_lshlrev_b64 v[8:9], v8, v[2:3]
	v_sub_u32_e32 v9, 29, v23
	v_and_b32_e32 v8, 7, v8
	v_cndmask_b32_e32 v9, v22, v9, vcc
	v_cndmask_b32_e32 v8, v13, v8, vcc
	v_lshlrev_b32_e32 v2, 24, v2
	v_lshlrev_b32_e32 v8, 20, v8
	v_and_b32_e32 v2, 0x80000000, v2
	v_lshl_add_u32 v9, v9, 23, v5
	v_or3_b32 v9, v2, v9, v8
.LBB4_11136:                            ;   in Loop: Header=BB4_9658 Depth=3
	s_or_b64 exec, exec, s[34:35]
.LBB4_11137:                            ;   in Loop: Header=BB4_9658 Depth=3
	s_or_b64 exec, exec, s[30:31]
.LBB4_11138:                            ;   in Loop: Header=BB4_9658 Depth=3
	s_or_b64 exec, exec, s[28:29]
	v_add_f32_e32 v8, v12, v9
	v_and_b32_e32 v2, 0x7f800000, v8
	v_cmp_ne_u64_e32 vcc, s[62:63], v[2:3]
                                        ; implicit-def: $vgpr53
	s_and_saveexec_b64 s[28:29], vcc
	s_xor_b64 s[30:31], exec, s[28:29]
	s_cbranch_execz .LBB4_11152
; %bb.11139:                            ;   in Loop: Header=BB4_9658 Depth=3
	v_and_b32_e32 v2, 0x7fffffff, v8
	v_cmp_gt_u64_e32 vcc, s[72:73], v[2:3]
	v_and_b32_sdwa v54, v8, s70 dst_sel:DWORD dst_unused:UNUSED_PAD src0_sel:BYTE_3 src1_sel:DWORD
                                        ; implicit-def: $vgpr53
	s_and_saveexec_b64 s[28:29], vcc
	s_xor_b64 s[34:35], exec, s[28:29]
	s_cbranch_execz .LBB4_11149
; %bb.11140:                            ;   in Loop: Header=BB4_9658 Depth=3
	v_mov_b32_e32 v53, 0
	v_cmp_ne_u32_e32 vcc, 0, v8
	s_and_saveexec_b64 s[36:37], vcc
	s_cbranch_execz .LBB4_11148
; %bb.11141:                            ;   in Loop: Header=BB4_9658 Depth=3
	v_bfe_u32 v53, v8, 23, 8
	v_and_b32_e32 v2, 0x7fffff, v8
	v_cmp_gt_u32_e64 s[28:29], s71, v53
	v_sub_u32_e32 v8, 0x79, v53
	v_cmp_eq_u32_e32 vcc, 0, v53
	v_cndmask_b32_e64 v8, 0, v8, s[28:29]
	v_mov_b32_e32 v12, 0x78
	v_cndmask_b32_e32 v55, v8, v12, vcc
	v_or_b32_e32 v9, 0x800000, v2
	v_add_u32_e32 v8, 20, v55
	v_cndmask_b32_e32 v2, v9, v2, vcc
	v_lshlrev_b64 v[8:9], v8, -1
	v_add_u32_e32 v12, 19, v55
	v_lshlrev_b64 v[12:13], v12, 1
	v_bfi_b32 v9, v9, 0, 0
	v_bfi_b32 v8, v8, 0, v2
	v_cmp_eq_u64_e64 s[28:29], v[8:9], v[12:13]
	v_lshrrev_b64 v[8:9], v55, v[2:3]
	v_mov_b32_e32 v13, v9
	v_mov_b32_e32 v12, v8
	s_and_saveexec_b64 s[38:39], s[28:29]
; %bb.11142:                            ;   in Loop: Header=BB4_9658 Depth=3
	v_bfe_u32 v2, v8, 20, 1
	v_add_co_u32_e64 v2, s[28:29], v8, v2
	v_add_co_u32_e64 v12, s[28:29], -1, v2
; %bb.11143:                            ;   in Loop: Header=BB4_9658 Depth=3
	s_or_b64 exec, exec, s[38:39]
	v_add_u32_e32 v2, 0xffffff81, v53
	v_mov_b32_e32 v9, 0xffffff82
	v_cndmask_b32_e32 v2, v2, v9, vcc
	v_lshrrev_b32_e32 v9, 23, v8
	v_add3_u32 v53, v55, v2, v9
	v_add_u32_e32 v13, 6, v53
	v_and_b32_e32 v2, 0xfffff, v12
	v_add_u32_e32 v2, v2, v8
	v_cmp_ne_u32_e32 vcc, 0, v13
                                        ; implicit-def: $vgpr8_vgpr9
                                        ; implicit-def: $vgpr12
	s_and_saveexec_b64 s[28:29], vcc
	s_xor_b64 s[28:29], exec, s[28:29]
; %bb.11144:                            ;   in Loop: Header=BB4_9658 Depth=3
	v_cmp_lt_u64_e32 vcc, s[74:75], v[2:3]
	v_add_u32_e32 v8, 7, v53
	v_cndmask_b32_e32 v12, v13, v8, vcc
	v_cndmask_b32_e64 v8, 0, 1, vcc
	v_lshrrev_b64 v[8:9], v8, v[2:3]
; %bb.11145:                            ;   in Loop: Header=BB4_9658 Depth=3
	s_andn2_saveexec_b64 s[28:29], s[28:29]
; %bb.11146:                            ;   in Loop: Header=BB4_9658 Depth=3
	v_mov_b32_e32 v9, v3
	v_bfe_u32 v12, v2, 23, 1
	v_mov_b32_e32 v8, v2
; %bb.11147:                            ;   in Loop: Header=BB4_9658 Depth=3
	s_or_b64 exec, exec, s[28:29]
	v_lshrrev_b64 v[8:9], 20, v[8:9]
	v_cmp_gt_i32_e32 vcc, 16, v12
	v_cndmask_b32_e32 v9, 0, v9, vcc
	v_cndmask_b32_e32 v8, 7, v8, vcc
	v_min_i32_e32 v2, 15, v12
	v_cmp_eq_u64_e64 s[28:29], 0, v[8:9]
	v_lshlrev_b32_e32 v2, 3, v2
	v_cmp_eq_u32_e32 vcc, 0, v12
	v_and_b32_e32 v2, 0xf8, v2
	v_and_or_b32 v2, v8, 7, v2
	s_and_b64 s[28:29], vcc, s[28:29]
	v_cndmask_b32_e64 v2, v2, 0, s[28:29]
	v_or_b32_e32 v53, v2, v54
.LBB4_11148:                            ;   in Loop: Header=BB4_9658 Depth=3
	s_or_b64 exec, exec, s[36:37]
                                        ; implicit-def: $vgpr54
.LBB4_11149:                            ;   in Loop: Header=BB4_9658 Depth=3
	s_andn2_saveexec_b64 s[28:29], s[34:35]
; %bb.11150:                            ;   in Loop: Header=BB4_9658 Depth=3
	v_or_b32_e32 v53, 0x7e, v54
; %bb.11151:                            ;   in Loop: Header=BB4_9658 Depth=3
	s_or_b64 exec, exec, s[28:29]
                                        ; implicit-def: $vgpr8
.LBB4_11152:                            ;   in Loop: Header=BB4_9658 Depth=3
	s_andn2_saveexec_b64 s[28:29], s[30:31]
; %bb.11153:                            ;   in Loop: Header=BB4_9658 Depth=3
	v_or_b32_sdwa v53, v8, s68 dst_sel:DWORD dst_unused:UNUSED_PAD src0_sel:BYTE_3 src1_sel:DWORD
; %bb.11154:                            ;   in Loop: Header=BB4_9658 Depth=3
	s_or_b64 exec, exec, s[28:29]
	buffer_load_dword v9, off, s[0:3], s33 offset:148 ; 4-byte Folded Reload
	v_lshlrev_b32_e32 v2, 24, v24
	v_lshlrev_b32_e32 v8, 16, v18
	v_cmp_ne_u32_e32 vcc, 0, v6
	s_waitcnt vmcnt(0)
	v_lshl_or_b32 v18, v9, 8, v6
	v_or3_b32 v2, v8, v2, v18
	v_mov_b32_e32 v9, 0
	v_mov_b32_e32 v8, 0
	s_and_saveexec_b64 s[28:29], vcc
	s_cbranch_execz .LBB4_11160
; %bb.11155:                            ;   in Loop: Header=BB4_9658 Depth=3
	v_cmp_ne_u32_e32 vcc, s70, v6
	v_bfrev_b32_e32 v8, 1
	s_and_saveexec_b64 s[30:31], vcc
	s_cbranch_execz .LBB4_11159
; %bb.11156:                            ;   in Loop: Header=BB4_9658 Depth=3
	v_and_b32_e32 v12, 0x7f, v6
	v_cmp_ne_u32_e32 vcc, s68, v12
	v_mov_b32_e32 v8, 0x7f800001
	s_and_saveexec_b64 s[34:35], vcc
	s_cbranch_execz .LBB4_11158
; %bb.11157:                            ;   in Loop: Header=BB4_9658 Depth=3
	v_and_b32_e32 v6, 7, v6
	v_ffbh_u32_e32 v6, v6
	v_min_u32_e32 v6, 32, v6
	v_lshrrev_b32_e32 v8, 3, v12
	v_cmp_gt_u32_e32 vcc, 8, v12
	v_subrev_u32_e32 v12, 28, v6
	v_sub_u32_e32 v6, 29, v6
	v_cndmask_b32_e32 v6, v8, v6, vcc
	v_cndmask_b32_e32 v8, 0, v12, vcc
	v_lshlrev_b64 v[12:13], v8, v[2:3]
	v_lshl_add_u32 v6, v6, 23, v5
	v_lshlrev_b32_e32 v8, 20, v12
	v_lshlrev_b32_e32 v12, 24, v2
	v_and_b32_e32 v8, 0x700000, v8
	v_and_b32_e32 v12, 0x80000000, v12
	v_or3_b32 v8, v12, v6, v8
.LBB4_11158:                            ;   in Loop: Header=BB4_9658 Depth=3
	s_or_b64 exec, exec, s[34:35]
.LBB4_11159:                            ;   in Loop: Header=BB4_9658 Depth=3
	s_or_b64 exec, exec, s[30:31]
.LBB4_11160:                            ;   in Loop: Header=BB4_9658 Depth=3
	s_or_b64 exec, exec, s[28:29]
	v_cmp_ne_u16_sdwa vcc, v11, v3 src0_sel:BYTE_0 src1_sel:DWORD
	s_and_saveexec_b64 s[28:29], vcc
	s_cbranch_execz .LBB4_11166
; %bb.11161:                            ;   in Loop: Header=BB4_9658 Depth=3
	v_cmp_ne_u16_sdwa vcc, v11, s70 src0_sel:BYTE_0 src1_sel:DWORD
	v_bfrev_b32_e32 v9, 1
	s_and_saveexec_b64 s[30:31], vcc
	s_cbranch_execz .LBB4_11165
; %bb.11162:                            ;   in Loop: Header=BB4_9658 Depth=3
	v_and_b32_e32 v6, 0x7f, v11
	v_cmp_ne_u32_e32 vcc, s68, v6
	v_mov_b32_e32 v9, 0x7f800001
	s_and_saveexec_b64 s[34:35], vcc
	s_cbranch_execz .LBB4_11164
; %bb.11163:                            ;   in Loop: Header=BB4_9658 Depth=3
	v_and_b32_e32 v9, 7, v11
	v_lshrrev_b32_e32 v22, 3, v6
	v_cmp_gt_u32_e32 vcc, 8, v6
	v_ffbh_u32_e32 v6, v9
	v_min_u32_e32 v6, 32, v6
	v_subrev_u32_e32 v9, 28, v6
	v_mov_b32_e32 v12, v11
	v_mov_b32_e32 v13, v3
	v_cndmask_b32_e32 v9, 0, v9, vcc
	v_lshlrev_b64 v[54:55], v9, v[12:13]
	v_sub_u32_e32 v6, 29, v6
	v_cndmask_b32_e32 v6, v22, v6, vcc
	v_lshlrev_b32_e32 v9, 20, v54
	v_lshlrev_b32_e32 v12, 24, v12
	v_and_b32_e32 v9, 0x700000, v9
	v_and_b32_e32 v12, 0x80000000, v12
	v_lshl_add_u32 v6, v6, 23, v5
	v_or3_b32 v9, v12, v6, v9
.LBB4_11164:                            ;   in Loop: Header=BB4_9658 Depth=3
	s_or_b64 exec, exec, s[34:35]
.LBB4_11165:                            ;   in Loop: Header=BB4_9658 Depth=3
	s_or_b64 exec, exec, s[30:31]
.LBB4_11166:                            ;   in Loop: Header=BB4_9658 Depth=3
	s_or_b64 exec, exec, s[28:29]
	v_add_f32_e32 v8, v8, v9
	v_and_b32_e32 v12, 0x7f800000, v8
	v_mov_b32_e32 v13, v3
	v_cmp_ne_u64_e32 vcc, s[62:63], v[12:13]
                                        ; implicit-def: $vgpr6
	s_and_saveexec_b64 s[28:29], vcc
	s_xor_b64 s[30:31], exec, s[28:29]
	s_cbranch_execz .LBB4_11180
; %bb.11167:                            ;   in Loop: Header=BB4_9658 Depth=3
	v_and_b32_e32 v12, 0x7fffffff, v8
	v_mov_b32_e32 v13, v3
	v_cmp_gt_u64_e32 vcc, s[72:73], v[12:13]
	v_and_b32_sdwa v24, v8, s70 dst_sel:DWORD dst_unused:UNUSED_PAD src0_sel:BYTE_3 src1_sel:DWORD
                                        ; implicit-def: $vgpr6
	s_and_saveexec_b64 s[28:29], vcc
	s_xor_b64 s[34:35], exec, s[28:29]
	s_cbranch_execz .LBB4_11177
; %bb.11168:                            ;   in Loop: Header=BB4_9658 Depth=3
	v_mov_b32_e32 v6, 0
	v_cmp_ne_u32_e32 vcc, 0, v8
	s_and_saveexec_b64 s[36:37], vcc
	s_cbranch_execz .LBB4_11176
; %bb.11169:                            ;   in Loop: Header=BB4_9658 Depth=3
	v_bfe_u32 v6, v8, 23, 8
	v_and_b32_e32 v9, 0x7fffff, v8
	v_cmp_gt_u32_e64 s[28:29], s71, v6
	v_sub_u32_e32 v8, 0x79, v6
	v_cmp_eq_u32_e32 vcc, 0, v6
	v_cndmask_b32_e64 v8, 0, v8, s[28:29]
	v_mov_b32_e32 v13, 0x78
	v_or_b32_e32 v12, 0x800000, v9
	v_cndmask_b32_e32 v31, v8, v13, vcc
	v_cndmask_b32_e32 v8, v12, v9, vcc
	v_add_u32_e32 v12, 20, v31
	v_lshlrev_b64 v[12:13], v12, -1
	v_mov_b32_e32 v9, v3
	v_add_u32_e32 v22, 19, v31
	v_bfi_b32 v12, v12, 0, v8
	v_lshlrev_b64 v[54:55], v22, 1
	v_lshrrev_b64 v[8:9], v31, v[8:9]
	v_bfi_b32 v13, v13, 0, 0
	v_cmp_eq_u64_e64 s[28:29], v[12:13], v[54:55]
	v_mov_b32_e32 v13, v9
	v_mov_b32_e32 v12, v8
	s_and_saveexec_b64 s[38:39], s[28:29]
; %bb.11170:                            ;   in Loop: Header=BB4_9658 Depth=3
	v_bfe_u32 v9, v8, 20, 1
	v_add_co_u32_e64 v9, s[28:29], v8, v9
	v_add_co_u32_e64 v12, s[28:29], -1, v9
; %bb.11171:                            ;   in Loop: Header=BB4_9658 Depth=3
	s_or_b64 exec, exec, s[38:39]
	v_add_u32_e32 v6, 0xffffff81, v6
	v_mov_b32_e32 v9, 0xffffff82
	v_cndmask_b32_e32 v6, v6, v9, vcc
	v_lshrrev_b32_e32 v9, 23, v8
	v_add3_u32 v31, v31, v6, v9
	v_add_u32_e32 v13, 6, v31
	v_and_b32_e32 v6, 0xfffff, v12
	v_add_u32_e32 v8, v6, v8
	v_mov_b32_e32 v9, v3
	v_cmp_ne_u32_e32 vcc, 0, v13
                                        ; implicit-def: $vgpr6
	s_and_saveexec_b64 s[28:29], vcc
	s_xor_b64 s[28:29], exec, s[28:29]
; %bb.11172:                            ;   in Loop: Header=BB4_9658 Depth=3
	v_cmp_lt_u64_e32 vcc, s[74:75], v[8:9]
	v_add_u32_e32 v6, 7, v31
	v_cndmask_b32_e64 v12, 0, 1, vcc
	v_lshrrev_b64 v[8:9], v12, v[8:9]
	v_cndmask_b32_e32 v6, v13, v6, vcc
; %bb.11173:                            ;   in Loop: Header=BB4_9658 Depth=3
	s_andn2_saveexec_b64 s[28:29], s[28:29]
; %bb.11174:                            ;   in Loop: Header=BB4_9658 Depth=3
	v_bfe_u32 v6, v8, 23, 1
; %bb.11175:                            ;   in Loop: Header=BB4_9658 Depth=3
	s_or_b64 exec, exec, s[28:29]
	v_lshrrev_b64 v[8:9], 20, v[8:9]
	v_cmp_gt_i32_e32 vcc, 16, v6
	v_cndmask_b32_e32 v9, 0, v9, vcc
	v_cndmask_b32_e32 v8, 7, v8, vcc
	v_cmp_eq_u32_e32 vcc, 0, v6
	v_min_i32_e32 v6, 15, v6
	v_cmp_eq_u64_e64 s[28:29], 0, v[8:9]
	v_lshlrev_b32_e32 v6, 3, v6
	v_and_b32_e32 v6, 0xf8, v6
	v_and_or_b32 v6, v8, 7, v6
	s_and_b64 s[28:29], vcc, s[28:29]
	v_cndmask_b32_e64 v6, v6, 0, s[28:29]
	v_or_b32_e32 v6, v6, v24
.LBB4_11176:                            ;   in Loop: Header=BB4_9658 Depth=3
	s_or_b64 exec, exec, s[36:37]
                                        ; implicit-def: $vgpr24
.LBB4_11177:                            ;   in Loop: Header=BB4_9658 Depth=3
	s_andn2_saveexec_b64 s[28:29], s[34:35]
; %bb.11178:                            ;   in Loop: Header=BB4_9658 Depth=3
	v_or_b32_e32 v6, 0x7e, v24
; %bb.11179:                            ;   in Loop: Header=BB4_9658 Depth=3
	s_or_b64 exec, exec, s[28:29]
                                        ; implicit-def: $vgpr8
.LBB4_11180:                            ;   in Loop: Header=BB4_9658 Depth=3
	s_andn2_saveexec_b64 s[28:29], s[30:31]
; %bb.11181:                            ;   in Loop: Header=BB4_9658 Depth=3
	v_or_b32_sdwa v6, v8, s68 dst_sel:DWORD dst_unused:UNUSED_PAD src0_sel:BYTE_3 src1_sel:DWORD
; %bb.11182:                            ;   in Loop: Header=BB4_9658 Depth=3
	s_or_b64 exec, exec, s[28:29]
	v_lshrrev_b16_e32 v8, 8, v18
	v_cmp_ne_u16_e32 vcc, 0, v8
	v_mov_b32_e32 v9, 0
	v_mov_b32_e32 v12, 0
	s_and_saveexec_b64 s[28:29], vcc
	s_cbranch_execz .LBB4_11188
; %bb.11183:                            ;   in Loop: Header=BB4_9658 Depth=3
	v_cmp_ne_u16_e32 vcc, s70, v8
	v_bfrev_b32_e32 v12, 1
	s_and_saveexec_b64 s[30:31], vcc
	s_cbranch_execz .LBB4_11187
; %bb.11184:                            ;   in Loop: Header=BB4_9658 Depth=3
	v_and_b32_e32 v13, 0x7f, v8
	v_cmp_ne_u32_e32 vcc, s68, v13
	v_mov_b32_e32 v12, 0x7f800001
	s_and_saveexec_b64 s[34:35], vcc
	s_cbranch_execz .LBB4_11186
; %bb.11185:                            ;   in Loop: Header=BB4_9658 Depth=3
	v_and_b32_e32 v22, 7, v8
	v_ffbh_u32_e32 v12, v22
	v_min_u32_e32 v24, 32, v12
	v_subrev_u32_e32 v12, 28, v24
	v_lshrrev_b32_e32 v23, 3, v13
	v_cmp_gt_u32_e32 vcc, 8, v13
	v_lshlrev_b64 v[12:13], v12, v[8:9]
	v_sub_u32_e32 v8, 29, v24
	v_and_b32_e32 v12, 7, v12
	v_cndmask_b32_e32 v8, v23, v8, vcc
	v_cndmask_b32_e32 v12, v22, v12, vcc
	v_lshlrev_b32_e32 v13, 16, v18
	v_lshlrev_b32_e32 v12, 20, v12
	v_and_b32_e32 v13, 0x80000000, v13
	v_lshl_add_u32 v8, v8, 23, v5
	v_or3_b32 v12, v13, v8, v12
.LBB4_11186:                            ;   in Loop: Header=BB4_9658 Depth=3
	s_or_b64 exec, exec, s[34:35]
.LBB4_11187:                            ;   in Loop: Header=BB4_9658 Depth=3
	s_or_b64 exec, exec, s[30:31]
.LBB4_11188:                            ;   in Loop: Header=BB4_9658 Depth=3
	s_or_b64 exec, exec, s[28:29]
	v_lshrrev_b16_e32 v8, 8, v11
	v_cmp_ne_u16_e32 vcc, 0, v8
	s_and_saveexec_b64 s[28:29], vcc
	s_cbranch_execz .LBB4_11194
; %bb.11189:                            ;   in Loop: Header=BB4_9658 Depth=3
	v_cmp_ne_u16_e32 vcc, s70, v8
	v_bfrev_b32_e32 v9, 1
	s_and_saveexec_b64 s[30:31], vcc
	s_cbranch_execz .LBB4_11193
; %bb.11190:                            ;   in Loop: Header=BB4_9658 Depth=3
	v_and_b32_e32 v13, 0x7f, v8
	v_cmp_ne_u32_e32 vcc, s68, v13
	v_mov_b32_e32 v9, 0x7f800001
	s_and_saveexec_b64 s[34:35], vcc
	s_cbranch_execz .LBB4_11192
; %bb.11191:                            ;   in Loop: Header=BB4_9658 Depth=3
	v_and_b32_e32 v18, 7, v8
	v_ffbh_u32_e32 v9, v18
	v_lshrrev_b32_e32 v22, 3, v13
	v_cmp_gt_u32_e32 vcc, 8, v13
	v_min_u32_e32 v13, 32, v9
	v_subrev_u32_e32 v9, 28, v13
	v_lshlrev_b64 v[8:9], v9, v[8:9]
	v_sub_u32_e32 v9, 29, v13
	v_and_b32_e32 v8, 7, v8
	v_cndmask_b32_e32 v9, v22, v9, vcc
	v_cndmask_b32_e32 v8, v18, v8, vcc
	v_lshlrev_b32_e32 v13, 16, v11
	v_lshlrev_b32_e32 v8, 20, v8
	v_and_b32_e32 v13, 0x80000000, v13
	v_lshl_add_u32 v9, v9, 23, v5
	v_or3_b32 v9, v13, v9, v8
.LBB4_11192:                            ;   in Loop: Header=BB4_9658 Depth=3
	s_or_b64 exec, exec, s[34:35]
.LBB4_11193:                            ;   in Loop: Header=BB4_9658 Depth=3
	s_or_b64 exec, exec, s[30:31]
.LBB4_11194:                            ;   in Loop: Header=BB4_9658 Depth=3
	s_or_b64 exec, exec, s[28:29]
	v_add_f32_e32 v8, v12, v9
	v_and_b32_e32 v12, 0x7f800000, v8
	v_mov_b32_e32 v13, v3
	v_cmp_ne_u64_e32 vcc, s[62:63], v[12:13]
                                        ; implicit-def: $vgpr18
	s_and_saveexec_b64 s[28:29], vcc
	s_xor_b64 s[30:31], exec, s[28:29]
	s_cbranch_execz .LBB4_11208
; %bb.11195:                            ;   in Loop: Header=BB4_9658 Depth=3
	v_and_b32_e32 v12, 0x7fffffff, v8
	v_mov_b32_e32 v13, v3
	v_cmp_gt_u64_e32 vcc, s[72:73], v[12:13]
	v_and_b32_sdwa v24, v8, s70 dst_sel:DWORD dst_unused:UNUSED_PAD src0_sel:BYTE_3 src1_sel:DWORD
                                        ; implicit-def: $vgpr18
	s_and_saveexec_b64 s[28:29], vcc
	s_xor_b64 s[34:35], exec, s[28:29]
	s_cbranch_execz .LBB4_11205
; %bb.11196:                            ;   in Loop: Header=BB4_9658 Depth=3
	v_mov_b32_e32 v18, 0
	v_cmp_ne_u32_e32 vcc, 0, v8
	s_and_saveexec_b64 s[36:37], vcc
	s_cbranch_execz .LBB4_11204
; %bb.11197:                            ;   in Loop: Header=BB4_9658 Depth=3
	v_bfe_u32 v18, v8, 23, 8
	v_and_b32_e32 v9, 0x7fffff, v8
	v_cmp_gt_u32_e64 s[28:29], s71, v18
	v_sub_u32_e32 v8, 0x79, v18
	v_cmp_eq_u32_e32 vcc, 0, v18
	v_cndmask_b32_e64 v8, 0, v8, s[28:29]
	v_mov_b32_e32 v13, 0x78
	v_or_b32_e32 v12, 0x800000, v9
	v_cndmask_b32_e32 v31, v8, v13, vcc
	v_cndmask_b32_e32 v8, v12, v9, vcc
	v_add_u32_e32 v12, 20, v31
	v_lshlrev_b64 v[12:13], v12, -1
	v_mov_b32_e32 v9, v3
	v_add_u32_e32 v22, 19, v31
	v_bfi_b32 v12, v12, 0, v8
	v_lshlrev_b64 v[54:55], v22, 1
	v_lshrrev_b64 v[8:9], v31, v[8:9]
	v_bfi_b32 v13, v13, 0, 0
	v_cmp_eq_u64_e64 s[28:29], v[12:13], v[54:55]
	v_mov_b32_e32 v13, v9
	v_mov_b32_e32 v12, v8
	s_and_saveexec_b64 s[38:39], s[28:29]
; %bb.11198:                            ;   in Loop: Header=BB4_9658 Depth=3
	v_bfe_u32 v9, v8, 20, 1
	v_add_co_u32_e64 v9, s[28:29], v8, v9
	v_add_co_u32_e64 v12, s[28:29], -1, v9
; %bb.11199:                            ;   in Loop: Header=BB4_9658 Depth=3
	s_or_b64 exec, exec, s[38:39]
	v_add_u32_e32 v9, 0xffffff81, v18
	v_mov_b32_e32 v13, 0xffffff82
	v_cndmask_b32_e32 v9, v9, v13, vcc
	v_lshrrev_b32_e32 v13, 23, v8
	v_add3_u32 v18, v31, v9, v13
	v_add_u32_e32 v13, 6, v18
	v_and_b32_e32 v9, 0xfffff, v12
	v_add_u32_e32 v8, v9, v8
	v_mov_b32_e32 v9, v3
	v_cmp_ne_u32_e32 vcc, 0, v13
                                        ; implicit-def: $vgpr12
	s_and_saveexec_b64 s[28:29], vcc
	s_xor_b64 s[28:29], exec, s[28:29]
; %bb.11200:                            ;   in Loop: Header=BB4_9658 Depth=3
	v_cmp_lt_u64_e32 vcc, s[74:75], v[8:9]
	v_add_u32_e32 v12, 7, v18
	v_cndmask_b32_e32 v12, v13, v12, vcc
	v_cndmask_b32_e64 v13, 0, 1, vcc
	v_lshrrev_b64 v[8:9], v13, v[8:9]
; %bb.11201:                            ;   in Loop: Header=BB4_9658 Depth=3
	s_andn2_saveexec_b64 s[28:29], s[28:29]
; %bb.11202:                            ;   in Loop: Header=BB4_9658 Depth=3
	v_bfe_u32 v12, v8, 23, 1
; %bb.11203:                            ;   in Loop: Header=BB4_9658 Depth=3
	s_or_b64 exec, exec, s[28:29]
	v_lshrrev_b64 v[8:9], 20, v[8:9]
	v_cmp_gt_i32_e32 vcc, 16, v12
	v_cndmask_b32_e32 v9, 0, v9, vcc
	v_cndmask_b32_e32 v8, 7, v8, vcc
	v_cmp_eq_u64_e64 s[28:29], 0, v[8:9]
	v_min_i32_e32 v9, 15, v12
	v_lshlrev_b32_e32 v9, 3, v9
	v_cmp_eq_u32_e32 vcc, 0, v12
	v_and_b32_e32 v9, 0xf8, v9
	v_and_or_b32 v8, v8, 7, v9
	s_and_b64 s[28:29], vcc, s[28:29]
	v_cndmask_b32_e64 v8, v8, 0, s[28:29]
	v_or_b32_e32 v18, v8, v24
.LBB4_11204:                            ;   in Loop: Header=BB4_9658 Depth=3
	s_or_b64 exec, exec, s[36:37]
                                        ; implicit-def: $vgpr24
.LBB4_11205:                            ;   in Loop: Header=BB4_9658 Depth=3
	s_andn2_saveexec_b64 s[28:29], s[34:35]
; %bb.11206:                            ;   in Loop: Header=BB4_9658 Depth=3
	v_or_b32_e32 v18, 0x7e, v24
; %bb.11207:                            ;   in Loop: Header=BB4_9658 Depth=3
	s_or_b64 exec, exec, s[28:29]
                                        ; implicit-def: $vgpr8
.LBB4_11208:                            ;   in Loop: Header=BB4_9658 Depth=3
	s_andn2_saveexec_b64 s[28:29], s[30:31]
; %bb.11209:                            ;   in Loop: Header=BB4_9658 Depth=3
	v_or_b32_sdwa v18, v8, s68 dst_sel:DWORD dst_unused:UNUSED_PAD src0_sel:BYTE_3 src1_sel:DWORD
; %bb.11210:                            ;   in Loop: Header=BB4_9658 Depth=3
	s_or_b64 exec, exec, s[28:29]
	v_lshrrev_b32_e32 v8, 16, v2
	v_cmp_ne_u16_sdwa vcc, v8, v3 src0_sel:BYTE_0 src1_sel:DWORD
	v_mov_b32_e32 v9, 0
	v_mov_b32_e32 v12, 0
	s_and_saveexec_b64 s[28:29], vcc
	s_cbranch_execz .LBB4_11216
; %bb.11211:                            ;   in Loop: Header=BB4_9658 Depth=3
	v_cmp_ne_u16_sdwa vcc, v8, s70 src0_sel:BYTE_0 src1_sel:DWORD
	v_bfrev_b32_e32 v12, 1
	s_and_saveexec_b64 s[30:31], vcc
	s_cbranch_execz .LBB4_11215
; %bb.11212:                            ;   in Loop: Header=BB4_9658 Depth=3
	v_bfe_u32 v13, v2, 16, 7
	v_cmp_ne_u32_e32 vcc, s68, v13
	v_mov_b32_e32 v12, 0x7f800001
	s_and_saveexec_b64 s[34:35], vcc
	s_cbranch_execz .LBB4_11214
; %bb.11213:                            ;   in Loop: Header=BB4_9658 Depth=3
	v_and_b32_e32 v22, 7, v8
	v_ffbh_u32_e32 v12, v22
	v_min_u32_e32 v24, 32, v12
	v_subrev_u32_e32 v12, 28, v24
	v_lshrrev_b32_e32 v23, 3, v13
	v_cmp_gt_u32_e32 vcc, 8, v13
	v_lshlrev_b64 v[12:13], v12, v[8:9]
	v_sub_u32_e32 v13, 29, v24
	v_and_b32_e32 v12, 7, v12
	v_cndmask_b32_e32 v13, v23, v13, vcc
	v_cndmask_b32_e32 v12, v22, v12, vcc
	v_lshlrev_b32_e32 v8, 24, v8
	v_lshlrev_b32_e32 v12, 20, v12
	v_and_b32_e32 v8, 0x80000000, v8
	v_lshl_add_u32 v13, v13, 23, v5
	v_or3_b32 v12, v8, v13, v12
.LBB4_11214:                            ;   in Loop: Header=BB4_9658 Depth=3
	s_or_b64 exec, exec, s[34:35]
.LBB4_11215:                            ;   in Loop: Header=BB4_9658 Depth=3
	s_or_b64 exec, exec, s[30:31]
.LBB4_11216:                            ;   in Loop: Header=BB4_9658 Depth=3
	s_or_b64 exec, exec, s[28:29]
	v_lshrrev_b32_e32 v8, 16, v11
	v_cmp_ne_u16_sdwa vcc, v8, v3 src0_sel:BYTE_0 src1_sel:DWORD
	s_and_saveexec_b64 s[28:29], vcc
	s_cbranch_execz .LBB4_11222
; %bb.11217:                            ;   in Loop: Header=BB4_9658 Depth=3
	v_cmp_ne_u16_sdwa vcc, v8, s70 src0_sel:BYTE_0 src1_sel:DWORD
	v_bfrev_b32_e32 v9, 1
	s_and_saveexec_b64 s[30:31], vcc
	s_cbranch_execz .LBB4_11221
; %bb.11218:                            ;   in Loop: Header=BB4_9658 Depth=3
	v_bfe_u32 v13, v11, 16, 7
	v_cmp_ne_u32_e32 vcc, s68, v13
	v_mov_b32_e32 v9, 0x7f800001
	s_and_saveexec_b64 s[34:35], vcc
	s_cbranch_execz .LBB4_11220
; %bb.11219:                            ;   in Loop: Header=BB4_9658 Depth=3
	v_and_b32_e32 v22, 7, v8
	v_ffbh_u32_e32 v9, v22
	v_lshrrev_b32_e32 v23, 3, v13
	v_cmp_gt_u32_e32 vcc, 8, v13
	v_min_u32_e32 v13, 32, v9
	v_subrev_u32_e32 v9, 28, v13
	v_lshlrev_b64 v[8:9], v9, v[8:9]
	v_sub_u32_e32 v9, 29, v13
	v_and_b32_e32 v8, 7, v8
	v_cndmask_b32_e32 v9, v23, v9, vcc
	v_cndmask_b32_e32 v8, v22, v8, vcc
	v_lshlrev_b32_e32 v13, 8, v11
	v_lshlrev_b32_e32 v8, 20, v8
	v_and_b32_e32 v13, 0x80000000, v13
	v_lshl_add_u32 v9, v9, 23, v5
	v_or3_b32 v9, v13, v9, v8
.LBB4_11220:                            ;   in Loop: Header=BB4_9658 Depth=3
	s_or_b64 exec, exec, s[34:35]
.LBB4_11221:                            ;   in Loop: Header=BB4_9658 Depth=3
	s_or_b64 exec, exec, s[30:31]
.LBB4_11222:                            ;   in Loop: Header=BB4_9658 Depth=3
	s_or_b64 exec, exec, s[28:29]
	v_add_f32_e32 v8, v12, v9
	v_and_b32_e32 v12, 0x7f800000, v8
	v_mov_b32_e32 v13, v3
	v_cmp_ne_u64_e32 vcc, s[62:63], v[12:13]
                                        ; implicit-def: $vgpr12
	s_and_saveexec_b64 s[28:29], vcc
	s_xor_b64 s[30:31], exec, s[28:29]
	s_cbranch_execz .LBB4_11236
; %bb.11223:                            ;   in Loop: Header=BB4_9658 Depth=3
	v_and_b32_e32 v12, 0x7fffffff, v8
	v_mov_b32_e32 v13, v3
	v_cmp_gt_u64_e32 vcc, s[72:73], v[12:13]
	v_and_b32_sdwa v24, v8, s70 dst_sel:DWORD dst_unused:UNUSED_PAD src0_sel:BYTE_3 src1_sel:DWORD
                                        ; implicit-def: $vgpr12
	s_and_saveexec_b64 s[28:29], vcc
	s_xor_b64 s[34:35], exec, s[28:29]
	s_cbranch_execz .LBB4_11233
; %bb.11224:                            ;   in Loop: Header=BB4_9658 Depth=3
	v_mov_b32_e32 v12, 0
	v_cmp_ne_u32_e32 vcc, 0, v8
	s_and_saveexec_b64 s[36:37], vcc
	s_cbranch_execz .LBB4_11232
; %bb.11225:                            ;   in Loop: Header=BB4_9658 Depth=3
	v_bfe_u32 v31, v8, 23, 8
	v_and_b32_e32 v9, 0x7fffff, v8
	v_cmp_gt_u32_e64 s[28:29], s71, v31
	v_sub_u32_e32 v8, 0x79, v31
	v_cmp_eq_u32_e32 vcc, 0, v31
	v_cndmask_b32_e64 v8, 0, v8, s[28:29]
	v_mov_b32_e32 v13, 0x78
	v_or_b32_e32 v12, 0x800000, v9
	v_cndmask_b32_e32 v54, v8, v13, vcc
	v_cndmask_b32_e32 v8, v12, v9, vcc
	v_add_u32_e32 v12, 20, v54
	v_lshlrev_b64 v[12:13], v12, -1
	v_mov_b32_e32 v9, v3
	v_add_u32_e32 v22, 19, v54
	v_bfi_b32 v12, v12, 0, v8
	v_lshlrev_b64 v[55:56], v22, 1
	v_lshrrev_b64 v[8:9], v54, v[8:9]
	v_bfi_b32 v13, v13, 0, 0
	v_cmp_eq_u64_e64 s[28:29], v[12:13], v[55:56]
	v_mov_b32_e32 v13, v9
	v_mov_b32_e32 v12, v8
	s_and_saveexec_b64 s[38:39], s[28:29]
; %bb.11226:                            ;   in Loop: Header=BB4_9658 Depth=3
	v_bfe_u32 v9, v8, 20, 1
	v_add_co_u32_e64 v9, s[28:29], v8, v9
	v_add_co_u32_e64 v12, s[28:29], -1, v9
; %bb.11227:                            ;   in Loop: Header=BB4_9658 Depth=3
	s_or_b64 exec, exec, s[38:39]
	v_add_u32_e32 v9, 0xffffff81, v31
	v_mov_b32_e32 v13, 0xffffff82
	v_cndmask_b32_e32 v9, v9, v13, vcc
	v_lshrrev_b32_e32 v13, 23, v8
	v_add3_u32 v31, v54, v9, v13
	v_add_u32_e32 v13, 6, v31
	v_and_b32_e32 v9, 0xfffff, v12
	v_add_u32_e32 v8, v9, v8
	v_mov_b32_e32 v9, v3
	v_cmp_ne_u32_e32 vcc, 0, v13
                                        ; implicit-def: $vgpr12
	s_and_saveexec_b64 s[28:29], vcc
	s_xor_b64 s[28:29], exec, s[28:29]
; %bb.11228:                            ;   in Loop: Header=BB4_9658 Depth=3
	v_cmp_lt_u64_e32 vcc, s[74:75], v[8:9]
	v_add_u32_e32 v12, 7, v31
	v_cndmask_b32_e32 v12, v13, v12, vcc
	v_cndmask_b32_e64 v13, 0, 1, vcc
	v_lshrrev_b64 v[8:9], v13, v[8:9]
; %bb.11229:                            ;   in Loop: Header=BB4_9658 Depth=3
	s_andn2_saveexec_b64 s[28:29], s[28:29]
; %bb.11230:                            ;   in Loop: Header=BB4_9658 Depth=3
	v_bfe_u32 v12, v8, 23, 1
; %bb.11231:                            ;   in Loop: Header=BB4_9658 Depth=3
	s_or_b64 exec, exec, s[28:29]
	v_lshrrev_b64 v[8:9], 20, v[8:9]
	v_cmp_gt_i32_e32 vcc, 16, v12
	v_cndmask_b32_e32 v9, 0, v9, vcc
	v_cndmask_b32_e32 v8, 7, v8, vcc
	v_cmp_eq_u64_e64 s[28:29], 0, v[8:9]
	v_min_i32_e32 v9, 15, v12
	v_lshlrev_b32_e32 v9, 3, v9
	v_cmp_eq_u32_e32 vcc, 0, v12
	v_and_b32_e32 v9, 0xf8, v9
	v_and_or_b32 v8, v8, 7, v9
	s_and_b64 s[28:29], vcc, s[28:29]
	v_cndmask_b32_e64 v8, v8, 0, s[28:29]
	v_or_b32_e32 v12, v8, v24
.LBB4_11232:                            ;   in Loop: Header=BB4_9658 Depth=3
	s_or_b64 exec, exec, s[36:37]
                                        ; implicit-def: $vgpr24
.LBB4_11233:                            ;   in Loop: Header=BB4_9658 Depth=3
	s_andn2_saveexec_b64 s[28:29], s[34:35]
; %bb.11234:                            ;   in Loop: Header=BB4_9658 Depth=3
	v_or_b32_e32 v12, 0x7e, v24
; %bb.11235:                            ;   in Loop: Header=BB4_9658 Depth=3
	s_or_b64 exec, exec, s[28:29]
                                        ; implicit-def: $vgpr8
.LBB4_11236:                            ;   in Loop: Header=BB4_9658 Depth=3
	s_andn2_saveexec_b64 s[28:29], s[30:31]
; %bb.11237:                            ;   in Loop: Header=BB4_9658 Depth=3
	v_or_b32_sdwa v12, v8, s68 dst_sel:DWORD dst_unused:UNUSED_PAD src0_sel:BYTE_3 src1_sel:DWORD
; %bb.11238:                            ;   in Loop: Header=BB4_9658 Depth=3
	s_or_b64 exec, exec, s[28:29]
	v_cmp_lt_u32_e32 vcc, s57, v2
	v_mov_b32_e32 v9, 0
	v_mov_b32_e32 v13, 0
	s_and_saveexec_b64 s[28:29], vcc
	s_cbranch_execz .LBB4_11244
; %bb.11239:                            ;   in Loop: Header=BB4_9658 Depth=3
	v_lshrrev_b32_e32 v8, 24, v2
	v_cmp_ne_u32_sdwa vcc, v2, s70 src0_sel:BYTE_3 src1_sel:DWORD
	v_bfrev_b32_e32 v13, 1
	s_and_saveexec_b64 s[30:31], vcc
	s_cbranch_execz .LBB4_11243
; %bb.11240:                            ;   in Loop: Header=BB4_9658 Depth=3
	v_bfe_u32 v24, v2, 24, 7
	v_cmp_ne_u32_e32 vcc, s68, v24
	v_mov_b32_e32 v13, 0x7f800001
	s_and_saveexec_b64 s[34:35], vcc
	s_cbranch_execz .LBB4_11242
; %bb.11241:                            ;   in Loop: Header=BB4_9658 Depth=3
	v_and_b32_e32 v13, 7, v8
	v_ffbh_u32_e32 v23, v13
	v_min_u32_e32 v23, 32, v23
	v_lshrrev_b32_e32 v22, 3, v24
	v_cmp_gt_u32_e32 vcc, 8, v24
	v_subrev_u32_e32 v24, 28, v23
	v_lshlrev_b64 v[54:55], v24, v[8:9]
	v_sub_u32_e32 v8, 29, v23
	v_and_b32_e32 v23, 7, v54
	v_cndmask_b32_e32 v8, v22, v8, vcc
	v_mov_b32_e32 v22, 24
	v_cndmask_b32_e32 v13, v13, v23, vcc
	v_lshlrev_b32_sdwa v2, v22, v2 dst_sel:DWORD dst_unused:UNUSED_PAD src0_sel:DWORD src1_sel:BYTE_3
	v_lshlrev_b32_e32 v13, 20, v13
	v_and_b32_e32 v2, 0x80000000, v2
	v_lshl_add_u32 v8, v8, 23, v5
	v_or3_b32 v13, v2, v8, v13
.LBB4_11242:                            ;   in Loop: Header=BB4_9658 Depth=3
	s_or_b64 exec, exec, s[34:35]
.LBB4_11243:                            ;   in Loop: Header=BB4_9658 Depth=3
	s_or_b64 exec, exec, s[30:31]
.LBB4_11244:                            ;   in Loop: Header=BB4_9658 Depth=3
	s_or_b64 exec, exec, s[28:29]
	v_cmp_lt_u64_e32 vcc, s[56:57], v[10:11]
	s_and_saveexec_b64 s[28:29], vcc
	s_cbranch_execz .LBB4_11250
; %bb.11245:                            ;   in Loop: Header=BB4_9658 Depth=3
	v_lshrrev_b32_e32 v2, 24, v11
	v_cmp_ne_u32_e32 vcc, s70, v2
	v_bfrev_b32_e32 v9, 1
	s_and_saveexec_b64 s[30:31], vcc
	s_cbranch_execz .LBB4_11249
; %bb.11246:                            ;   in Loop: Header=BB4_9658 Depth=3
	v_bfe_u32 v8, v11, 24, 7
	v_cmp_ne_u32_e32 vcc, s68, v8
	v_mov_b32_e32 v9, 0x7f800001
	s_and_saveexec_b64 s[34:35], vcc
	s_cbranch_execz .LBB4_11248
; %bb.11247:                            ;   in Loop: Header=BB4_9658 Depth=3
	v_and_b32_e32 v10, 7, v2
	v_lshrrev_b32_e32 v11, 3, v8
	v_cmp_gt_u32_e32 vcc, 8, v8
	v_ffbh_u32_e32 v8, v10
	v_min_u32_e32 v22, 32, v8
	v_subrev_u32_e32 v8, 28, v22
	v_lshlrev_b64 v[8:9], v8, v[2:3]
	v_sub_u32_e32 v9, 29, v22
	v_and_b32_e32 v8, 7, v8
	v_cndmask_b32_e32 v9, v11, v9, vcc
	v_cndmask_b32_e32 v8, v10, v8, vcc
	v_lshlrev_b32_e32 v2, 24, v2
	v_lshlrev_b32_e32 v8, 20, v8
	v_and_b32_e32 v2, 0x80000000, v2
	v_lshl_add_u32 v9, v9, 23, v5
	v_or3_b32 v9, v2, v9, v8
.LBB4_11248:                            ;   in Loop: Header=BB4_9658 Depth=3
	s_or_b64 exec, exec, s[34:35]
.LBB4_11249:                            ;   in Loop: Header=BB4_9658 Depth=3
	s_or_b64 exec, exec, s[30:31]
.LBB4_11250:                            ;   in Loop: Header=BB4_9658 Depth=3
	s_or_b64 exec, exec, s[28:29]
	v_add_f32_e32 v8, v13, v9
	v_and_b32_e32 v2, 0x7f800000, v8
	v_cmp_ne_u64_e32 vcc, s[62:63], v[2:3]
                                        ; implicit-def: $vgpr2
	s_and_saveexec_b64 s[28:29], vcc
	s_xor_b64 s[30:31], exec, s[28:29]
	s_cbranch_execz .LBB4_11264
; %bb.11251:                            ;   in Loop: Header=BB4_9658 Depth=3
	v_and_b32_e32 v2, 0x7fffffff, v8
	v_cmp_gt_u64_e32 vcc, s[72:73], v[2:3]
	v_and_b32_sdwa v11, v8, s70 dst_sel:DWORD dst_unused:UNUSED_PAD src0_sel:BYTE_3 src1_sel:DWORD
                                        ; implicit-def: $vgpr2
	s_and_saveexec_b64 s[28:29], vcc
	s_xor_b64 s[34:35], exec, s[28:29]
	s_cbranch_execz .LBB4_11261
; %bb.11252:                            ;   in Loop: Header=BB4_9658 Depth=3
	v_mov_b32_e32 v2, 0
	v_cmp_ne_u32_e32 vcc, 0, v8
	s_and_saveexec_b64 s[36:37], vcc
	s_cbranch_execz .LBB4_11260
; %bb.11253:                            ;   in Loop: Header=BB4_9658 Depth=3
	v_bfe_u32 v13, v8, 23, 8
	v_and_b32_e32 v2, 0x7fffff, v8
	v_cmp_gt_u32_e64 s[28:29], s71, v13
	v_sub_u32_e32 v8, 0x79, v13
	v_cmp_eq_u32_e32 vcc, 0, v13
	v_cndmask_b32_e64 v8, 0, v8, s[28:29]
	v_mov_b32_e32 v10, 0x78
	v_cndmask_b32_e32 v24, v8, v10, vcc
	v_or_b32_e32 v9, 0x800000, v2
	v_add_u32_e32 v8, 20, v24
	v_cndmask_b32_e32 v2, v9, v2, vcc
	v_lshlrev_b64 v[8:9], v8, -1
	v_add_u32_e32 v10, 19, v24
	v_lshlrev_b64 v[54:55], v10, 1
	v_bfi_b32 v9, v9, 0, 0
	v_bfi_b32 v8, v8, 0, v2
	v_cmp_eq_u64_e64 s[28:29], v[8:9], v[54:55]
	v_lshrrev_b64 v[8:9], v24, v[2:3]
	v_mov_b32_e32 v10, v9
	v_mov_b32_e32 v9, v8
	s_and_saveexec_b64 s[38:39], s[28:29]
; %bb.11254:                            ;   in Loop: Header=BB4_9658 Depth=3
	v_bfe_u32 v2, v8, 20, 1
	v_add_co_u32_e64 v2, s[28:29], v8, v2
	v_add_co_u32_e64 v9, s[28:29], -1, v2
; %bb.11255:                            ;   in Loop: Header=BB4_9658 Depth=3
	s_or_b64 exec, exec, s[38:39]
	v_add_u32_e32 v2, 0xffffff81, v13
	v_mov_b32_e32 v10, 0xffffff82
	v_cndmask_b32_e32 v2, v2, v10, vcc
	v_lshrrev_b32_e32 v10, 23, v8
	v_add3_u32 v24, v24, v2, v10
	v_add_u32_e32 v13, 6, v24
	v_and_b32_e32 v2, 0xfffff, v9
	v_add_u32_e32 v2, v2, v8
	v_cmp_ne_u32_e32 vcc, 0, v13
                                        ; implicit-def: $vgpr8_vgpr9
                                        ; implicit-def: $vgpr10
	s_and_saveexec_b64 s[28:29], vcc
	s_xor_b64 s[28:29], exec, s[28:29]
; %bb.11256:                            ;   in Loop: Header=BB4_9658 Depth=3
	v_cmp_lt_u64_e32 vcc, s[74:75], v[2:3]
	v_add_u32_e32 v8, 7, v24
	v_cndmask_b32_e32 v10, v13, v8, vcc
	v_cndmask_b32_e64 v8, 0, 1, vcc
	v_lshrrev_b64 v[8:9], v8, v[2:3]
; %bb.11257:                            ;   in Loop: Header=BB4_9658 Depth=3
	s_andn2_saveexec_b64 s[28:29], s[28:29]
; %bb.11258:                            ;   in Loop: Header=BB4_9658 Depth=3
	v_mov_b32_e32 v9, v3
	v_bfe_u32 v10, v2, 23, 1
	v_mov_b32_e32 v8, v2
; %bb.11259:                            ;   in Loop: Header=BB4_9658 Depth=3
	s_or_b64 exec, exec, s[28:29]
	v_lshrrev_b64 v[8:9], 20, v[8:9]
	v_cmp_gt_i32_e32 vcc, 16, v10
	v_cndmask_b32_e32 v9, 0, v9, vcc
	v_cndmask_b32_e32 v8, 7, v8, vcc
	v_min_i32_e32 v2, 15, v10
	v_cmp_eq_u64_e64 s[28:29], 0, v[8:9]
	v_lshlrev_b32_e32 v2, 3, v2
	v_cmp_eq_u32_e32 vcc, 0, v10
	v_and_b32_e32 v2, 0xf8, v2
	v_and_or_b32 v2, v8, 7, v2
	s_and_b64 s[28:29], vcc, s[28:29]
	v_cndmask_b32_e64 v2, v2, 0, s[28:29]
	v_or_b32_e32 v2, v2, v11
.LBB4_11260:                            ;   in Loop: Header=BB4_9658 Depth=3
	s_or_b64 exec, exec, s[36:37]
                                        ; implicit-def: $vgpr11
.LBB4_11261:                            ;   in Loop: Header=BB4_9658 Depth=3
	s_andn2_saveexec_b64 s[28:29], s[34:35]
; %bb.11262:                            ;   in Loop: Header=BB4_9658 Depth=3
	v_or_b32_e32 v2, 0x7e, v11
; %bb.11263:                            ;   in Loop: Header=BB4_9658 Depth=3
	s_or_b64 exec, exec, s[28:29]
                                        ; implicit-def: $vgpr8
.LBB4_11264:                            ;   in Loop: Header=BB4_9658 Depth=3
	s_andn2_saveexec_b64 s[28:29], s[30:31]
	s_cbranch_execz .LBB4_9657
; %bb.11265:                            ;   in Loop: Header=BB4_9658 Depth=3
	v_or_b32_sdwa v2, v8, s68 dst_sel:DWORD dst_unused:UNUSED_PAD src0_sel:BYTE_3 src1_sel:DWORD
	s_branch .LBB4_9657
.LBB4_11266:                            ;   in Loop: Header=BB4_6132 Depth=2
	s_or_b64 exec, exec, s[42:43]
	buffer_load_dword v1, off, s[0:3], s33 offset:220 ; 4-byte Folded Reload
.LBB4_11267:                            ;   in Loop: Header=BB4_6132 Depth=2
	s_or_b64 exec, exec, s[40:41]
	s_waitcnt vmcnt(0)
	v_lshlrev_b32_e32 v16, 11, v1
	buffer_load_dword v1, off, s[0:3], s33 offset:228 ; 4-byte Folded Reload
	s_mov_b64 s[28:29], 0
                                        ; implicit-def: $vgpr6
                                        ; implicit-def: $vgpr7
	s_waitcnt vmcnt(0)
	v_cmp_ne_u32_e32 vcc, v1, v16
	v_mov_b32_e32 v1, 0
	s_and_saveexec_b64 s[42:43], vcc
	s_cbranch_execz .LBB4_12081
; %bb.11268:                            ;   in Loop: Header=BB4_6132 Depth=2
	buffer_load_dword v1, off, s[0:3], s33 offset:228 ; 4-byte Folded Reload
	v_lshlrev_b32_e32 v0, 6, v0
	s_waitcnt vmcnt(0)
	v_sub_u32_e32 v4, v1, v16
	buffer_load_dword v1, off, s[0:3], s33 offset:336 ; 4-byte Folded Reload
	s_waitcnt vmcnt(0)
	v_sub_u32_e32 v0, v1, v0
	v_ashrrev_i32_e32 v1, 31, v0
	v_lshrrev_b32_e32 v1, 26, v1
	v_add_u32_e32 v1, v0, v1
	v_ashrrev_i32_e32 v7, 6, v1
	v_and_b32_e32 v1, 0xffffffc0, v1
	v_sub_u32_e32 v0, v0, v1
	v_lshlrev_b32_e32 v1, 4, v0
	v_lshl_add_u32 v2, v7, 10, v1
	v_ashrrev_i32_e32 v1, 31, v4
	v_lshrrev_b32_e32 v1, 22, v1
	v_add_u32_e32 v1, v4, v1
	v_ashrrev_i32_e32 v8, 10, v1
	v_and_b32_e32 v1, 0xfffffc00, v1
	v_sub_u32_e32 v6, v4, v1
	v_cmp_lt_i32_e64 s[28:29], 15, v6
	v_sub_u32_e32 v18, v4, v2
	v_addc_co_u32_e64 v4, vcc, 0, v8, s[28:29]
	v_sub_u32_e32 v7, v4, v7
	v_cmp_lt_i32_e32 vcc, 15, v18
	s_and_saveexec_b64 s[30:31], vcc
	s_cbranch_execz .LBB4_12080
; %bb.11269:                            ;   in Loop: Header=BB4_6132 Depth=2
	s_trap 2
	ds_read_b64 v[8:9], v0
	buffer_load_dword v10, off, s[0:3], s33 offset:236 ; 4-byte Folded Reload
	buffer_load_dword v11, off, s[0:3], s33 offset:240 ; 4-byte Folded Reload
	v_add_u32_e32 v2, v2, v16
	v_ashrrev_i32_e32 v4, 31, v2
	s_mov_b64 s[34:35], 0
	s_waitcnt lgkmcnt(0)
	v_readfirstlane_b32 s40, v8
	s_and_b32 s41, s40, 7
	s_flbit_i32_b32 s41, s41
	s_min_u32 s41, s41, 32
	s_and_b32 s44, s40, 0x7f
	s_bfe_u32 s45, s40, 0x40003
	s_waitcnt vmcnt(1)
	v_add_co_u32_e32 v12, vcc, v2, v10
	s_waitcnt vmcnt(0)
	v_addc_co_u32_e32 v13, vcc, v4, v11, vcc
	buffer_load_dword v10, off, s[0:3], s33 offset:248 ; 4-byte Folded Reload
	buffer_load_dword v11, off, s[0:3], s33 offset:252 ; 4-byte Folded Reload
	v_add_co_u32_e32 v14, vcc, v8, v2
	v_addc_co_u32_e32 v15, vcc, v9, v4, vcc
	s_waitcnt vmcnt(1)
	v_add_co_u32_e32 v42, vcc, v2, v10
	s_waitcnt vmcnt(0)
	v_addc_co_u32_e32 v43, vcc, v4, v11, vcc
	s_sub_i32 vcc_lo, s41, 28
	s_sub_i32 s41, 29, s41
	s_cmp_lt_u32 s44, 8
	s_cselect_b32 vcc_lo, vcc_lo, 0
	s_cselect_b32 s41, s41, s45
	v_lshlrev_b64 v[8:9], vcc_lo, v[8:9]
	s_lshl_b32 s45, s40, 24
	s_lshl_b32 s41, s41, 23
	s_and_b32 s45, s45, 0x80000000
	s_add_i32 s41, s41, 0x3c000000
	v_lshlrev_b32_e32 v2, 20, v8
	s_or_b32 s41, s45, s41
	v_and_b32_e32 v2, 0x700000, v2
	s_cmpk_lg_i32 s44, 0x7f
	v_or_b32_e32 v2, s41, v2
	s_cselect_b64 vcc, -1, 0
	v_mov_b32_e32 v4, 0x7f800001
	v_cndmask_b32_e32 v20, v4, v2, vcc
	s_and_b32 s44, s40, 0xff
	s_branch .LBB4_11271
.LBB4_11270:                            ;   in Loop: Header=BB4_11271 Depth=3
	s_or_b64 exec, exec, s[40:41]
	v_lshl_or_b32 v8, v36, 8, v28
	v_lshlrev_b32_e32 v9, 16, v38
	v_lshlrev_b32_e32 v10, 24, v30
	v_or3_b32 v9, v8, v9, v10
	v_lshl_or_b32 v4, v21, 8, v4
	v_lshlrev_b32_e32 v8, 16, v26
	v_lshlrev_b32_e32 v10, 24, v34
	v_or3_b32 v8, v4, v8, v10
	;; [unrolled: 4-line block ×3, first 2 shown]
	v_lshlrev_b32_e32 v2, 24, v2
	v_lshlrev_b32_e32 v4, 16, v27
	v_lshl_or_b32 v11, v25, 8, v17
	v_or3_b32 v11, v11, v4, v2
	buffer_load_dword v2, off, s[0:3], s33 offset:92 ; 4-byte Folded Reload
	s_waitcnt vmcnt(0)
	v_add_co_u32_e32 v12, vcc, v12, v2
	v_addc_co_u32_e32 v13, vcc, 0, v13, vcc
	v_add_co_u32_e32 v14, vcc, v14, v2
	v_addc_co_u32_e32 v15, vcc, 0, v15, vcc
	global_store_dwordx4 v[42:43], v[8:11], off glc slc
	v_add_co_u32_e32 v42, vcc, v42, v2
	v_sub_u32_e32 v18, v18, v2
	buffer_load_dword v2, off, s[0:3], s33 offset:88 ; 4-byte Folded Reload
	v_addc_co_u32_e32 v43, vcc, 0, v43, vcc
	v_cmp_gt_i32_e32 vcc, 16, v18
	s_or_b64 s[34:35], vcc, s[34:35]
	s_waitcnt vmcnt(0)
	v_sub_u32_e32 v7, v7, v2
	s_andn2_b64 exec, exec, s[34:35]
	s_cbranch_execz .LBB4_12079
.LBB4_11271:                            ;   Parent Loop BB4_47 Depth=1
                                        ;     Parent Loop BB4_6132 Depth=2
                                        ; =>    This Inner Loop Header: Depth=3
	s_cmpk_lt_i32 s44, 0x80
	s_cbranch_scc1 .LBB4_11275
; %bb.11272:                            ;   in Loop: Header=BB4_11271 Depth=3
	s_and_b32 s45, 0xffff, s44
	s_mov_b64 s[40:41], -1
	s_cmpk_eq_i32 s45, 0x80
	s_cbranch_scc0 .LBB4_11274
; %bb.11273:                            ;   in Loop: Header=BB4_11271 Depth=3
	s_mov_b64 s[40:41], 0
.LBB4_11274:                            ;   in Loop: Header=BB4_11271 Depth=3
	s_brev_b32 s45, 1
	s_branch .LBB4_11277
.LBB4_11275:                            ;   in Loop: Header=BB4_11271 Depth=3
	s_mov_b64 s[40:41], 0
	s_brev_b32 s45, 1
	s_cbranch_execz .LBB4_11277
; %bb.11276:                            ;   in Loop: Header=BB4_11271 Depth=3
	s_and_b32 s40, 0xffff, s44
	s_cmp_lg_u32 s40, 0
	s_mov_b32 s45, 0
	s_cselect_b64 s[40:41], -1, 0
.LBB4_11277:                            ;   in Loop: Header=BB4_11271 Depth=3
	s_andn2_b64 vcc, exec, s[40:41]
	v_mov_b32_e32 v21, s45
	s_cbranch_vccnz .LBB4_11279
; %bb.11278:                            ;   in Loop: Header=BB4_11271 Depth=3
	v_mov_b32_e32 v21, v20
.LBB4_11279:                            ;   in Loop: Header=BB4_11271 Depth=3
	global_load_dwordx4 v[8:11], v[12:13], off glc slc
	v_mov_b32_e32 v2, 0
	s_waitcnt vmcnt(0)
	v_cmp_ne_u16_sdwa vcc, v8, v3 src0_sel:BYTE_0 src1_sel:DWORD
	s_and_saveexec_b64 s[40:41], vcc
	s_cbranch_execz .LBB4_11285
; %bb.11280:                            ;   in Loop: Header=BB4_11271 Depth=3
	v_cmp_ne_u16_sdwa vcc, v8, s70 src0_sel:BYTE_0 src1_sel:DWORD
	v_bfrev_b32_e32 v2, 1
	s_and_saveexec_b64 s[36:37], vcc
	s_cbranch_execz .LBB4_11284
; %bb.11281:                            ;   in Loop: Header=BB4_11271 Depth=3
	v_and_b32_e32 v4, 0x7f, v8
	v_cmp_ne_u32_e32 vcc, s68, v4
	v_mov_b32_e32 v2, 0x7f800001
	s_and_saveexec_b64 s[38:39], vcc
	s_cbranch_execz .LBB4_11283
; %bb.11282:                            ;   in Loop: Header=BB4_11271 Depth=3
	v_and_b32_e32 v2, 7, v8
	v_ffbh_u32_e32 v2, v2
	v_min_u32_e32 v2, 32, v2
	v_lshrrev_b32_e32 v17, 3, v4
	v_cmp_gt_u32_e32 vcc, 8, v4
	v_subrev_u32_e32 v4, 28, v2
	v_cndmask_b32_e32 v4, 0, v4, vcc
	v_lshlrev_b64 v[24:25], v4, v[8:9]
	v_sub_u32_e32 v2, 29, v2
	v_cndmask_b32_e32 v2, v17, v2, vcc
	v_lshlrev_b32_e32 v4, 20, v24
	v_lshlrev_b32_e32 v17, 24, v8
	v_and_b32_e32 v4, 0x700000, v4
	v_and_b32_e32 v17, 0x80000000, v17
	v_lshl_add_u32 v2, v2, 23, v5
	v_or3_b32 v2, v17, v2, v4
.LBB4_11283:                            ;   in Loop: Header=BB4_11271 Depth=3
	s_or_b64 exec, exec, s[38:39]
.LBB4_11284:                            ;   in Loop: Header=BB4_11271 Depth=3
	s_or_b64 exec, exec, s[36:37]
.LBB4_11285:                            ;   in Loop: Header=BB4_11271 Depth=3
	s_or_b64 exec, exec, s[40:41]
	v_mul_f32_e32 v24, v21, v2
	v_and_b32_e32 v2, 0x7f800000, v24
	v_cmp_ne_u64_e32 vcc, s[62:63], v[2:3]
                                        ; implicit-def: $vgpr4
	s_and_saveexec_b64 s[40:41], vcc
	s_xor_b64 s[36:37], exec, s[40:41]
	s_cbranch_execz .LBB4_11299
; %bb.11286:                            ;   in Loop: Header=BB4_11271 Depth=3
	v_and_b32_e32 v2, 0x7fffffff, v24
	v_cmp_gt_u64_e32 vcc, s[72:73], v[2:3]
	v_and_b32_sdwa v17, v24, s70 dst_sel:DWORD dst_unused:UNUSED_PAD src0_sel:BYTE_3 src1_sel:DWORD
                                        ; implicit-def: $vgpr4
	s_and_saveexec_b64 s[40:41], vcc
	s_xor_b64 s[38:39], exec, s[40:41]
	s_cbranch_execz .LBB4_11296
; %bb.11287:                            ;   in Loop: Header=BB4_11271 Depth=3
	v_mov_b32_e32 v4, 0
	v_cmp_ne_u32_e32 vcc, 0, v24
	s_and_saveexec_b64 s[48:49], vcc
	s_cbranch_execz .LBB4_11295
; %bb.11288:                            ;   in Loop: Header=BB4_11271 Depth=3
	v_bfe_u32 v4, v24, 23, 8
	v_cmp_gt_u32_e64 s[40:41], s71, v4
	v_sub_u32_e32 v22, 0x79, v4
	v_and_b32_e32 v2, 0x7fffff, v24
	v_cmp_eq_u32_e32 vcc, 0, v4
	v_cndmask_b32_e64 v22, 0, v22, s[40:41]
	v_mov_b32_e32 v24, 0x78
	v_cndmask_b32_e32 v24, v22, v24, vcc
	v_or_b32_e32 v23, 0x800000, v2
	v_add_u32_e32 v22, 20, v24
	v_cndmask_b32_e32 v2, v23, v2, vcc
	v_lshlrev_b64 v[25:26], v22, -1
	v_add_u32_e32 v22, 19, v24
	v_lshlrev_b64 v[27:28], v22, 1
	v_lshrrev_b64 v[44:45], v24, v[2:3]
	v_bfi_b32 v26, v26, 0, 0
	v_bfi_b32 v25, v25, 0, v2
	v_cmp_eq_u64_e64 s[40:41], v[25:26], v[27:28]
	v_mov_b32_e32 v46, v45
	v_mov_b32_e32 v45, v44
	s_and_saveexec_b64 s[50:51], s[40:41]
; %bb.11289:                            ;   in Loop: Header=BB4_11271 Depth=3
	v_bfe_u32 v2, v44, 20, 1
	v_add_co_u32_e64 v2, s[40:41], v44, v2
	v_add_co_u32_e64 v45, s[40:41], -1, v2
; %bb.11290:                            ;   in Loop: Header=BB4_11271 Depth=3
	s_or_b64 exec, exec, s[50:51]
	v_add_u32_e32 v2, 0xffffff81, v4
	v_mov_b32_e32 v4, 0xffffff82
	v_cndmask_b32_e32 v2, v2, v4, vcc
	v_lshrrev_b32_e32 v4, 23, v44
	v_add3_u32 v25, v24, v2, v4
	v_add_u32_e32 v24, 6, v25
	v_and_b32_e32 v2, 0xfffff, v45
	v_add_u32_e32 v2, v2, v44
	v_cmp_ne_u32_e32 vcc, 0, v24
                                        ; implicit-def: $vgpr44_vgpr45
                                        ; implicit-def: $vgpr4
	s_and_saveexec_b64 s[40:41], vcc
	s_xor_b64 s[40:41], exec, s[40:41]
; %bb.11291:                            ;   in Loop: Header=BB4_11271 Depth=3
	v_cmp_lt_u64_e32 vcc, s[74:75], v[2:3]
	v_add_u32_e32 v4, 7, v25
	v_cndmask_b32_e64 v22, 0, 1, vcc
	v_cndmask_b32_e32 v4, v24, v4, vcc
	v_lshrrev_b64 v[44:45], v22, v[2:3]
; %bb.11292:                            ;   in Loop: Header=BB4_11271 Depth=3
	s_andn2_saveexec_b64 s[40:41], s[40:41]
; %bb.11293:                            ;   in Loop: Header=BB4_11271 Depth=3
	v_mov_b32_e32 v45, v3
	v_bfe_u32 v4, v2, 23, 1
	v_mov_b32_e32 v44, v2
; %bb.11294:                            ;   in Loop: Header=BB4_11271 Depth=3
	s_or_b64 exec, exec, s[40:41]
	v_lshrrev_b64 v[24:25], 20, v[44:45]
	v_cmp_gt_i32_e32 vcc, 16, v4
	v_cndmask_b32_e32 v25, 0, v25, vcc
	v_cndmask_b32_e32 v24, 7, v24, vcc
	v_min_i32_e32 v2, 15, v4
	v_cmp_eq_u64_e64 s[40:41], 0, v[24:25]
	v_lshlrev_b32_e32 v2, 3, v2
	v_cmp_eq_u32_e32 vcc, 0, v4
	v_and_b32_e32 v2, 0xf8, v2
	v_and_or_b32 v2, v24, 7, v2
	s_and_b64 s[40:41], vcc, s[40:41]
	v_cndmask_b32_e64 v2, v2, 0, s[40:41]
	v_or_b32_e32 v4, v2, v17
.LBB4_11295:                            ;   in Loop: Header=BB4_11271 Depth=3
	s_or_b64 exec, exec, s[48:49]
                                        ; implicit-def: $vgpr17
.LBB4_11296:                            ;   in Loop: Header=BB4_11271 Depth=3
	s_andn2_saveexec_b64 s[40:41], s[38:39]
; %bb.11297:                            ;   in Loop: Header=BB4_11271 Depth=3
	v_or_b32_e32 v4, 0x7e, v17
; %bb.11298:                            ;   in Loop: Header=BB4_11271 Depth=3
	s_or_b64 exec, exec, s[40:41]
                                        ; implicit-def: $vgpr24
.LBB4_11299:                            ;   in Loop: Header=BB4_11271 Depth=3
	s_andn2_saveexec_b64 s[40:41], s[36:37]
; %bb.11300:                            ;   in Loop: Header=BB4_11271 Depth=3
	v_or_b32_sdwa v4, v24, s68 dst_sel:DWORD dst_unused:UNUSED_PAD src0_sel:BYTE_3 src1_sel:DWORD
; %bb.11301:                            ;   in Loop: Header=BB4_11271 Depth=3
	s_or_b64 exec, exec, s[40:41]
	v_lshrrev_b16_e32 v2, 8, v8
	v_cmp_ne_u16_e32 vcc, 0, v2
	v_mov_b32_e32 v17, 0
	s_and_saveexec_b64 s[40:41], vcc
	s_cbranch_execz .LBB4_11307
; %bb.11302:                            ;   in Loop: Header=BB4_11271 Depth=3
	v_cmp_ne_u16_e32 vcc, s70, v2
	v_bfrev_b32_e32 v17, 1
	s_and_saveexec_b64 s[36:37], vcc
	s_cbranch_execz .LBB4_11306
; %bb.11303:                            ;   in Loop: Header=BB4_11271 Depth=3
	v_and_b32_e32 v24, 0x7f, v2
	v_cmp_ne_u32_e32 vcc, s68, v24
	v_mov_b32_e32 v17, 0x7f800001
	s_and_saveexec_b64 s[38:39], vcc
	s_cbranch_execz .LBB4_11305
; %bb.11304:                            ;   in Loop: Header=BB4_11271 Depth=3
	v_and_b32_e32 v17, 7, v2
	v_ffbh_u32_e32 v23, v17
	v_min_u32_e32 v23, 32, v23
	v_lshrrev_b32_e32 v22, 3, v24
	v_cmp_gt_u32_e32 vcc, 8, v24
	v_subrev_u32_e32 v24, 28, v23
	v_lshlrev_b64 v[24:25], v24, v[2:3]
	v_sub_u32_e32 v2, 29, v23
	v_and_b32_e32 v23, 7, v24
	v_cndmask_b32_e32 v2, v22, v2, vcc
	v_cndmask_b32_e32 v17, v17, v23, vcc
	v_lshlrev_b32_e32 v22, 16, v8
	v_lshlrev_b32_e32 v17, 20, v17
	v_and_b32_e32 v22, 0x80000000, v22
	v_lshl_add_u32 v2, v2, 23, v5
	v_or3_b32 v17, v22, v2, v17
.LBB4_11305:                            ;   in Loop: Header=BB4_11271 Depth=3
	s_or_b64 exec, exec, s[38:39]
.LBB4_11306:                            ;   in Loop: Header=BB4_11271 Depth=3
	s_or_b64 exec, exec, s[36:37]
.LBB4_11307:                            ;   in Loop: Header=BB4_11271 Depth=3
	s_or_b64 exec, exec, s[40:41]
	v_mul_f32_e32 v24, v21, v17
	v_and_b32_e32 v2, 0x7f800000, v24
	v_cmp_ne_u64_e32 vcc, s[62:63], v[2:3]
                                        ; implicit-def: $vgpr26
	s_and_saveexec_b64 s[40:41], vcc
	s_xor_b64 s[36:37], exec, s[40:41]
	s_cbranch_execz .LBB4_11321
; %bb.11308:                            ;   in Loop: Header=BB4_11271 Depth=3
	v_and_b32_e32 v2, 0x7fffffff, v24
	v_cmp_gt_u64_e32 vcc, s[72:73], v[2:3]
	v_and_b32_sdwa v17, v24, s70 dst_sel:DWORD dst_unused:UNUSED_PAD src0_sel:BYTE_3 src1_sel:DWORD
                                        ; implicit-def: $vgpr26
	s_and_saveexec_b64 s[40:41], vcc
	s_xor_b64 s[38:39], exec, s[40:41]
	s_cbranch_execz .LBB4_11318
; %bb.11309:                            ;   in Loop: Header=BB4_11271 Depth=3
	v_mov_b32_e32 v26, 0
	v_cmp_ne_u32_e32 vcc, 0, v24
	s_and_saveexec_b64 s[48:49], vcc
	s_cbranch_execz .LBB4_11317
; %bb.11310:                            ;   in Loop: Header=BB4_11271 Depth=3
	v_and_b32_e32 v2, 0x7fffff, v24
	v_bfe_u32 v24, v24, 23, 8
	v_cmp_gt_u32_e64 s[40:41], s71, v24
	v_sub_u32_e32 v22, 0x79, v24
	v_cmp_eq_u32_e32 vcc, 0, v24
	v_cndmask_b32_e64 v22, 0, v22, s[40:41]
	v_mov_b32_e32 v25, 0x78
	v_cndmask_b32_e32 v25, v22, v25, vcc
	v_or_b32_e32 v23, 0x800000, v2
	v_add_u32_e32 v22, 20, v25
	v_cndmask_b32_e32 v2, v23, v2, vcc
	v_lshlrev_b64 v[26:27], v22, -1
	v_add_u32_e32 v22, 19, v25
	v_lshlrev_b64 v[28:29], v22, 1
	v_lshrrev_b64 v[44:45], v25, v[2:3]
	v_bfi_b32 v27, v27, 0, 0
	v_bfi_b32 v26, v26, 0, v2
	v_cmp_eq_u64_e64 s[40:41], v[26:27], v[28:29]
	v_mov_b32_e32 v46, v45
	v_mov_b32_e32 v45, v44
	s_and_saveexec_b64 s[50:51], s[40:41]
; %bb.11311:                            ;   in Loop: Header=BB4_11271 Depth=3
	v_bfe_u32 v2, v44, 20, 1
	v_add_co_u32_e64 v2, s[40:41], v44, v2
	v_add_co_u32_e64 v45, s[40:41], -1, v2
; %bb.11312:                            ;   in Loop: Header=BB4_11271 Depth=3
	s_or_b64 exec, exec, s[50:51]
	v_add_u32_e32 v2, 0xffffff81, v24
	v_mov_b32_e32 v22, 0xffffff82
	v_cndmask_b32_e32 v2, v2, v22, vcc
	v_lshrrev_b32_e32 v22, 23, v44
	v_add3_u32 v26, v25, v2, v22
	v_add_u32_e32 v25, 6, v26
	v_and_b32_e32 v2, 0xfffff, v45
	v_add_u32_e32 v2, v2, v44
	v_cmp_ne_u32_e32 vcc, 0, v25
                                        ; implicit-def: $vgpr44_vgpr45
                                        ; implicit-def: $vgpr24
	s_and_saveexec_b64 s[40:41], vcc
	s_xor_b64 s[40:41], exec, s[40:41]
; %bb.11313:                            ;   in Loop: Header=BB4_11271 Depth=3
	v_cmp_lt_u64_e32 vcc, s[74:75], v[2:3]
	v_add_u32_e32 v22, 7, v26
	v_cndmask_b32_e32 v24, v25, v22, vcc
	v_cndmask_b32_e64 v22, 0, 1, vcc
	v_lshrrev_b64 v[44:45], v22, v[2:3]
; %bb.11314:                            ;   in Loop: Header=BB4_11271 Depth=3
	s_andn2_saveexec_b64 s[40:41], s[40:41]
; %bb.11315:                            ;   in Loop: Header=BB4_11271 Depth=3
	v_mov_b32_e32 v45, v3
	v_bfe_u32 v24, v2, 23, 1
	v_mov_b32_e32 v44, v2
; %bb.11316:                            ;   in Loop: Header=BB4_11271 Depth=3
	s_or_b64 exec, exec, s[40:41]
	v_lshrrev_b64 v[25:26], 20, v[44:45]
	v_cmp_gt_i32_e32 vcc, 16, v24
	v_cndmask_b32_e32 v26, 0, v26, vcc
	v_cndmask_b32_e32 v25, 7, v25, vcc
	v_min_i32_e32 v2, 15, v24
	v_cmp_eq_u64_e64 s[40:41], 0, v[25:26]
	v_lshlrev_b32_e32 v2, 3, v2
	v_cmp_eq_u32_e32 vcc, 0, v24
	v_and_b32_e32 v2, 0xf8, v2
	v_and_or_b32 v2, v25, 7, v2
	s_and_b64 s[40:41], vcc, s[40:41]
	v_cndmask_b32_e64 v2, v2, 0, s[40:41]
	v_or_b32_e32 v26, v2, v17
.LBB4_11317:                            ;   in Loop: Header=BB4_11271 Depth=3
	s_or_b64 exec, exec, s[48:49]
                                        ; implicit-def: $vgpr17
.LBB4_11318:                            ;   in Loop: Header=BB4_11271 Depth=3
	s_andn2_saveexec_b64 s[40:41], s[38:39]
; %bb.11319:                            ;   in Loop: Header=BB4_11271 Depth=3
	v_or_b32_e32 v26, 0x7e, v17
; %bb.11320:                            ;   in Loop: Header=BB4_11271 Depth=3
	s_or_b64 exec, exec, s[40:41]
                                        ; implicit-def: $vgpr24
.LBB4_11321:                            ;   in Loop: Header=BB4_11271 Depth=3
	s_andn2_saveexec_b64 s[40:41], s[36:37]
; %bb.11322:                            ;   in Loop: Header=BB4_11271 Depth=3
	v_or_b32_sdwa v26, v24, s68 dst_sel:DWORD dst_unused:UNUSED_PAD src0_sel:BYTE_3 src1_sel:DWORD
; %bb.11323:                            ;   in Loop: Header=BB4_11271 Depth=3
	s_or_b64 exec, exec, s[40:41]
	v_lshrrev_b32_e32 v2, 16, v8
	v_cmp_ne_u16_sdwa vcc, v2, v3 src0_sel:BYTE_0 src1_sel:DWORD
	v_mov_b32_e32 v17, 0
	s_and_saveexec_b64 s[40:41], vcc
	s_cbranch_execz .LBB4_11329
; %bb.11324:                            ;   in Loop: Header=BB4_11271 Depth=3
	v_cmp_ne_u16_sdwa vcc, v2, s70 src0_sel:BYTE_0 src1_sel:DWORD
	v_bfrev_b32_e32 v17, 1
	s_and_saveexec_b64 s[36:37], vcc
	s_cbranch_execz .LBB4_11328
; %bb.11325:                            ;   in Loop: Header=BB4_11271 Depth=3
	v_bfe_u32 v24, v8, 16, 7
	v_cmp_ne_u32_e32 vcc, s68, v24
	v_mov_b32_e32 v17, 0x7f800001
	s_and_saveexec_b64 s[38:39], vcc
	s_cbranch_execz .LBB4_11327
; %bb.11326:                            ;   in Loop: Header=BB4_11271 Depth=3
	v_and_b32_e32 v17, 7, v2
	v_ffbh_u32_e32 v23, v17
	v_min_u32_e32 v23, 32, v23
	v_lshrrev_b32_e32 v22, 3, v24
	v_cmp_gt_u32_e32 vcc, 8, v24
	v_subrev_u32_e32 v24, 28, v23
	v_lshlrev_b64 v[24:25], v24, v[2:3]
	v_sub_u32_e32 v23, 29, v23
	v_and_b32_e32 v24, 7, v24
	v_cndmask_b32_e32 v22, v22, v23, vcc
	v_cndmask_b32_e32 v17, v17, v24, vcc
	v_lshlrev_b32_e32 v2, 24, v2
	v_lshlrev_b32_e32 v17, 20, v17
	v_and_b32_e32 v2, 0x80000000, v2
	v_lshl_add_u32 v22, v22, 23, v5
	v_or3_b32 v17, v2, v22, v17
.LBB4_11327:                            ;   in Loop: Header=BB4_11271 Depth=3
	s_or_b64 exec, exec, s[38:39]
.LBB4_11328:                            ;   in Loop: Header=BB4_11271 Depth=3
	s_or_b64 exec, exec, s[36:37]
.LBB4_11329:                            ;   in Loop: Header=BB4_11271 Depth=3
	s_or_b64 exec, exec, s[40:41]
	v_mul_f32_e32 v24, v21, v17
	v_and_b32_e32 v2, 0x7f800000, v24
	v_cmp_ne_u64_e32 vcc, s[62:63], v[2:3]
                                        ; implicit-def: $vgpr34
	s_and_saveexec_b64 s[40:41], vcc
	s_xor_b64 s[36:37], exec, s[40:41]
	s_cbranch_execz .LBB4_11343
; %bb.11330:                            ;   in Loop: Header=BB4_11271 Depth=3
	v_and_b32_e32 v2, 0x7fffffff, v24
	v_cmp_gt_u64_e32 vcc, s[72:73], v[2:3]
	v_and_b32_sdwa v17, v24, s70 dst_sel:DWORD dst_unused:UNUSED_PAD src0_sel:BYTE_3 src1_sel:DWORD
                                        ; implicit-def: $vgpr34
	s_and_saveexec_b64 s[40:41], vcc
	s_xor_b64 s[38:39], exec, s[40:41]
	s_cbranch_execz .LBB4_11340
; %bb.11331:                            ;   in Loop: Header=BB4_11271 Depth=3
	v_mov_b32_e32 v34, 0
	v_cmp_ne_u32_e32 vcc, 0, v24
	s_and_saveexec_b64 s[48:49], vcc
	s_cbranch_execz .LBB4_11339
; %bb.11332:                            ;   in Loop: Header=BB4_11271 Depth=3
	v_and_b32_e32 v2, 0x7fffff, v24
	v_bfe_u32 v24, v24, 23, 8
	v_cmp_gt_u32_e64 s[40:41], s71, v24
	v_sub_u32_e32 v22, 0x79, v24
	v_cmp_eq_u32_e32 vcc, 0, v24
	v_cndmask_b32_e64 v22, 0, v22, s[40:41]
	v_mov_b32_e32 v25, 0x78
	v_cndmask_b32_e32 v25, v22, v25, vcc
	v_or_b32_e32 v23, 0x800000, v2
	v_add_u32_e32 v22, 20, v25
	v_cndmask_b32_e32 v2, v23, v2, vcc
	v_lshlrev_b64 v[27:28], v22, -1
	v_add_u32_e32 v22, 19, v25
	v_lshlrev_b64 v[29:30], v22, 1
	v_lshrrev_b64 v[44:45], v25, v[2:3]
	v_bfi_b32 v28, v28, 0, 0
	v_bfi_b32 v27, v27, 0, v2
	v_cmp_eq_u64_e64 s[40:41], v[27:28], v[29:30]
	v_mov_b32_e32 v46, v45
	v_mov_b32_e32 v45, v44
	s_and_saveexec_b64 s[50:51], s[40:41]
; %bb.11333:                            ;   in Loop: Header=BB4_11271 Depth=3
	v_bfe_u32 v2, v44, 20, 1
	v_add_co_u32_e64 v2, s[40:41], v44, v2
	v_add_co_u32_e64 v45, s[40:41], -1, v2
; %bb.11334:                            ;   in Loop: Header=BB4_11271 Depth=3
	s_or_b64 exec, exec, s[50:51]
	v_add_u32_e32 v2, 0xffffff81, v24
	v_mov_b32_e32 v22, 0xffffff82
	v_cndmask_b32_e32 v2, v2, v22, vcc
	v_lshrrev_b32_e32 v22, 23, v44
	v_add3_u32 v27, v25, v2, v22
	v_add_u32_e32 v25, 6, v27
	v_and_b32_e32 v2, 0xfffff, v45
	v_add_u32_e32 v2, v2, v44
	v_cmp_ne_u32_e32 vcc, 0, v25
                                        ; implicit-def: $vgpr44_vgpr45
                                        ; implicit-def: $vgpr24
	s_and_saveexec_b64 s[40:41], vcc
	s_xor_b64 s[40:41], exec, s[40:41]
; %bb.11335:                            ;   in Loop: Header=BB4_11271 Depth=3
	v_cmp_lt_u64_e32 vcc, s[74:75], v[2:3]
	v_add_u32_e32 v22, 7, v27
	v_cndmask_b32_e32 v24, v25, v22, vcc
	v_cndmask_b32_e64 v22, 0, 1, vcc
	v_lshrrev_b64 v[44:45], v22, v[2:3]
; %bb.11336:                            ;   in Loop: Header=BB4_11271 Depth=3
	s_andn2_saveexec_b64 s[40:41], s[40:41]
; %bb.11337:                            ;   in Loop: Header=BB4_11271 Depth=3
	v_mov_b32_e32 v45, v3
	v_bfe_u32 v24, v2, 23, 1
	v_mov_b32_e32 v44, v2
; %bb.11338:                            ;   in Loop: Header=BB4_11271 Depth=3
	s_or_b64 exec, exec, s[40:41]
	v_lshrrev_b64 v[27:28], 20, v[44:45]
	v_cmp_gt_i32_e32 vcc, 16, v24
	v_cndmask_b32_e32 v28, 0, v28, vcc
	v_cndmask_b32_e32 v27, 7, v27, vcc
	v_min_i32_e32 v2, 15, v24
	v_cmp_eq_u64_e64 s[40:41], 0, v[27:28]
	v_lshlrev_b32_e32 v2, 3, v2
	v_cmp_eq_u32_e32 vcc, 0, v24
	v_and_b32_e32 v2, 0xf8, v2
	v_and_or_b32 v2, v27, 7, v2
	s_and_b64 s[40:41], vcc, s[40:41]
	v_cndmask_b32_e64 v2, v2, 0, s[40:41]
	v_or_b32_e32 v34, v2, v17
.LBB4_11339:                            ;   in Loop: Header=BB4_11271 Depth=3
	s_or_b64 exec, exec, s[48:49]
                                        ; implicit-def: $vgpr17
.LBB4_11340:                            ;   in Loop: Header=BB4_11271 Depth=3
	s_andn2_saveexec_b64 s[40:41], s[38:39]
; %bb.11341:                            ;   in Loop: Header=BB4_11271 Depth=3
	v_or_b32_e32 v34, 0x7e, v17
; %bb.11342:                            ;   in Loop: Header=BB4_11271 Depth=3
	s_or_b64 exec, exec, s[40:41]
                                        ; implicit-def: $vgpr24
.LBB4_11343:                            ;   in Loop: Header=BB4_11271 Depth=3
	s_andn2_saveexec_b64 s[40:41], s[36:37]
; %bb.11344:                            ;   in Loop: Header=BB4_11271 Depth=3
	v_or_b32_sdwa v34, v24, s68 dst_sel:DWORD dst_unused:UNUSED_PAD src0_sel:BYTE_3 src1_sel:DWORD
; %bb.11345:                            ;   in Loop: Header=BB4_11271 Depth=3
	s_or_b64 exec, exec, s[40:41]
	v_cmp_lt_u32_e32 vcc, s57, v8
	v_mov_b32_e32 v17, 0
	s_and_saveexec_b64 s[40:41], vcc
	s_cbranch_execz .LBB4_11351
; %bb.11346:                            ;   in Loop: Header=BB4_11271 Depth=3
	v_lshrrev_b32_e32 v2, 24, v8
	v_cmp_ne_u32_e32 vcc, s70, v2
	v_bfrev_b32_e32 v17, 1
	s_and_saveexec_b64 s[36:37], vcc
	s_cbranch_execz .LBB4_11350
; %bb.11347:                            ;   in Loop: Header=BB4_11271 Depth=3
	v_bfe_u32 v24, v8, 24, 7
	v_cmp_ne_u32_e32 vcc, s68, v24
	v_mov_b32_e32 v17, 0x7f800001
	s_and_saveexec_b64 s[38:39], vcc
	s_cbranch_execz .LBB4_11349
; %bb.11348:                            ;   in Loop: Header=BB4_11271 Depth=3
	v_and_b32_e32 v17, 7, v2
	v_ffbh_u32_e32 v23, v17
	v_min_u32_e32 v23, 32, v23
	v_lshrrev_b32_e32 v22, 3, v24
	v_cmp_gt_u32_e32 vcc, 8, v24
	v_subrev_u32_e32 v24, 28, v23
	v_lshlrev_b64 v[24:25], v24, v[2:3]
	v_sub_u32_e32 v23, 29, v23
	v_and_b32_e32 v24, 7, v24
	v_cndmask_b32_e32 v22, v22, v23, vcc
	v_cndmask_b32_e32 v17, v17, v24, vcc
	v_lshlrev_b32_e32 v2, 24, v2
	v_lshlrev_b32_e32 v17, 20, v17
	v_and_b32_e32 v2, 0x80000000, v2
	v_lshl_add_u32 v22, v22, 23, v5
	v_or3_b32 v17, v2, v22, v17
.LBB4_11349:                            ;   in Loop: Header=BB4_11271 Depth=3
	s_or_b64 exec, exec, s[38:39]
.LBB4_11350:                            ;   in Loop: Header=BB4_11271 Depth=3
	s_or_b64 exec, exec, s[36:37]
.LBB4_11351:                            ;   in Loop: Header=BB4_11271 Depth=3
	s_or_b64 exec, exec, s[40:41]
	v_mul_f32_e32 v24, v21, v17
	v_and_b32_e32 v2, 0x7f800000, v24
	v_cmp_ne_u64_e32 vcc, s[62:63], v[2:3]
                                        ; implicit-def: $vgpr48
	s_and_saveexec_b64 s[40:41], vcc
	s_xor_b64 s[36:37], exec, s[40:41]
	s_cbranch_execz .LBB4_11365
; %bb.11352:                            ;   in Loop: Header=BB4_11271 Depth=3
	v_and_b32_e32 v2, 0x7fffffff, v24
	v_cmp_gt_u64_e32 vcc, s[72:73], v[2:3]
	v_and_b32_sdwa v17, v24, s70 dst_sel:DWORD dst_unused:UNUSED_PAD src0_sel:BYTE_3 src1_sel:DWORD
                                        ; implicit-def: $vgpr48
	s_and_saveexec_b64 s[40:41], vcc
	s_xor_b64 s[38:39], exec, s[40:41]
	s_cbranch_execz .LBB4_11362
; %bb.11353:                            ;   in Loop: Header=BB4_11271 Depth=3
	v_mov_b32_e32 v48, 0
	v_cmp_ne_u32_e32 vcc, 0, v24
	s_and_saveexec_b64 s[48:49], vcc
	s_cbranch_execz .LBB4_11361
; %bb.11354:                            ;   in Loop: Header=BB4_11271 Depth=3
	v_and_b32_e32 v2, 0x7fffff, v24
	v_bfe_u32 v24, v24, 23, 8
	v_cmp_gt_u32_e64 s[40:41], s71, v24
	v_sub_u32_e32 v22, 0x79, v24
	v_cmp_eq_u32_e32 vcc, 0, v24
	v_cndmask_b32_e64 v22, 0, v22, s[40:41]
	v_mov_b32_e32 v25, 0x78
	v_cndmask_b32_e32 v25, v22, v25, vcc
	v_or_b32_e32 v23, 0x800000, v2
	v_add_u32_e32 v22, 20, v25
	v_cndmask_b32_e32 v2, v23, v2, vcc
	v_lshlrev_b64 v[27:28], v22, -1
	v_add_u32_e32 v22, 19, v25
	v_lshlrev_b64 v[29:30], v22, 1
	v_lshrrev_b64 v[44:45], v25, v[2:3]
	v_bfi_b32 v28, v28, 0, 0
	v_bfi_b32 v27, v27, 0, v2
	v_cmp_eq_u64_e64 s[40:41], v[27:28], v[29:30]
	v_mov_b32_e32 v46, v45
	v_mov_b32_e32 v45, v44
	s_and_saveexec_b64 s[50:51], s[40:41]
; %bb.11355:                            ;   in Loop: Header=BB4_11271 Depth=3
	v_bfe_u32 v2, v44, 20, 1
	v_add_co_u32_e64 v2, s[40:41], v44, v2
	v_add_co_u32_e64 v45, s[40:41], -1, v2
; %bb.11356:                            ;   in Loop: Header=BB4_11271 Depth=3
	s_or_b64 exec, exec, s[50:51]
	v_add_u32_e32 v2, 0xffffff81, v24
	v_mov_b32_e32 v22, 0xffffff82
	v_cndmask_b32_e32 v2, v2, v22, vcc
	v_lshrrev_b32_e32 v22, 23, v44
	v_add3_u32 v27, v25, v2, v22
	v_add_u32_e32 v25, 6, v27
	v_and_b32_e32 v2, 0xfffff, v45
	v_add_u32_e32 v2, v2, v44
	v_cmp_ne_u32_e32 vcc, 0, v25
                                        ; implicit-def: $vgpr44_vgpr45
                                        ; implicit-def: $vgpr24
	s_and_saveexec_b64 s[40:41], vcc
	s_xor_b64 s[40:41], exec, s[40:41]
; %bb.11357:                            ;   in Loop: Header=BB4_11271 Depth=3
	v_cmp_lt_u64_e32 vcc, s[74:75], v[2:3]
	v_add_u32_e32 v22, 7, v27
	v_cndmask_b32_e32 v24, v25, v22, vcc
	v_cndmask_b32_e64 v22, 0, 1, vcc
	v_lshrrev_b64 v[44:45], v22, v[2:3]
; %bb.11358:                            ;   in Loop: Header=BB4_11271 Depth=3
	s_andn2_saveexec_b64 s[40:41], s[40:41]
; %bb.11359:                            ;   in Loop: Header=BB4_11271 Depth=3
	v_mov_b32_e32 v45, v3
	v_mov_b32_e32 v44, v2
	v_bfe_u32 v24, v2, 23, 1
; %bb.11360:                            ;   in Loop: Header=BB4_11271 Depth=3
	s_or_b64 exec, exec, s[40:41]
	v_lshrrev_b64 v[27:28], 20, v[44:45]
	v_cmp_gt_i32_e32 vcc, 16, v24
	v_cndmask_b32_e32 v28, 0, v28, vcc
	v_cndmask_b32_e32 v27, 7, v27, vcc
	v_min_i32_e32 v2, 15, v24
	v_cmp_eq_u64_e64 s[40:41], 0, v[27:28]
	v_lshlrev_b32_e32 v2, 3, v2
	v_cmp_eq_u32_e32 vcc, 0, v24
	v_and_b32_e32 v2, 0xf8, v2
	v_and_or_b32 v2, v27, 7, v2
	s_and_b64 s[40:41], vcc, s[40:41]
	v_cndmask_b32_e64 v2, v2, 0, s[40:41]
	v_or_b32_e32 v48, v2, v17
.LBB4_11361:                            ;   in Loop: Header=BB4_11271 Depth=3
	s_or_b64 exec, exec, s[48:49]
                                        ; implicit-def: $vgpr17
.LBB4_11362:                            ;   in Loop: Header=BB4_11271 Depth=3
	s_andn2_saveexec_b64 s[40:41], s[38:39]
; %bb.11363:                            ;   in Loop: Header=BB4_11271 Depth=3
	v_or_b32_e32 v48, 0x7e, v17
; %bb.11364:                            ;   in Loop: Header=BB4_11271 Depth=3
	s_or_b64 exec, exec, s[40:41]
                                        ; implicit-def: $vgpr24
.LBB4_11365:                            ;   in Loop: Header=BB4_11271 Depth=3
	s_andn2_saveexec_b64 s[40:41], s[36:37]
; %bb.11366:                            ;   in Loop: Header=BB4_11271 Depth=3
	v_or_b32_sdwa v48, v24, s68 dst_sel:DWORD dst_unused:UNUSED_PAD src0_sel:BYTE_3 src1_sel:DWORD
; %bb.11367:                            ;   in Loop: Header=BB4_11271 Depth=3
	s_or_b64 exec, exec, s[40:41]
	v_mov_b32_e32 v2, v9
	v_cmp_ne_u16_sdwa vcc, v9, v3 src0_sel:BYTE_0 src1_sel:DWORD
	v_mov_b32_e32 v17, 0
	s_and_saveexec_b64 s[40:41], vcc
	s_cbranch_execz .LBB4_11373
; %bb.11368:                            ;   in Loop: Header=BB4_11271 Depth=3
	v_cmp_ne_u16_sdwa vcc, v9, s70 src0_sel:BYTE_0 src1_sel:DWORD
	v_bfrev_b32_e32 v17, 1
	s_and_saveexec_b64 s[36:37], vcc
	s_cbranch_execz .LBB4_11372
; %bb.11369:                            ;   in Loop: Header=BB4_11271 Depth=3
	v_and_b32_e32 v24, 0x7f, v9
	v_cmp_ne_u32_e32 vcc, s68, v24
	v_mov_b32_e32 v17, 0x7f800001
	s_and_saveexec_b64 s[38:39], vcc
	s_cbranch_execz .LBB4_11371
; %bb.11370:                            ;   in Loop: Header=BB4_11271 Depth=3
	v_and_b32_e32 v17, 7, v9
	v_ffbh_u32_e32 v17, v17
	v_min_u32_e32 v17, 32, v17
	v_lshrrev_b32_e32 v22, 3, v24
	v_cmp_gt_u32_e32 vcc, 8, v24
	v_subrev_u32_e32 v23, 28, v17
	v_sub_u32_e32 v17, 29, v17
	v_cndmask_b32_e32 v17, v22, v17, vcc
	v_cndmask_b32_e32 v22, 0, v23, vcc
	v_lshlrev_b64 v[24:25], v22, v[2:3]
	v_lshlrev_b32_e32 v23, 24, v2
	v_lshlrev_b32_e32 v22, 20, v24
	v_and_b32_e32 v22, 0x700000, v22
	v_and_b32_e32 v23, 0x80000000, v23
	v_lshl_add_u32 v17, v17, 23, v5
	v_or3_b32 v17, v23, v17, v22
.LBB4_11371:                            ;   in Loop: Header=BB4_11271 Depth=3
	s_or_b64 exec, exec, s[38:39]
.LBB4_11372:                            ;   in Loop: Header=BB4_11271 Depth=3
	s_or_b64 exec, exec, s[36:37]
.LBB4_11373:                            ;   in Loop: Header=BB4_11271 Depth=3
	s_or_b64 exec, exec, s[40:41]
	v_mul_f32_e32 v24, v21, v17
	v_and_b32_e32 v27, 0x7f800000, v24
	v_mov_b32_e32 v28, v3
	v_cmp_ne_u64_e32 vcc, s[62:63], v[27:28]
                                        ; implicit-def: $vgpr28
	s_and_saveexec_b64 s[40:41], vcc
	s_xor_b64 s[36:37], exec, s[40:41]
	s_cbranch_execz .LBB4_11387
; %bb.11374:                            ;   in Loop: Header=BB4_11271 Depth=3
	v_and_b32_e32 v27, 0x7fffffff, v24
	v_mov_b32_e32 v28, v3
	v_cmp_gt_u64_e32 vcc, s[72:73], v[27:28]
	v_and_b32_sdwa v17, v24, s70 dst_sel:DWORD dst_unused:UNUSED_PAD src0_sel:BYTE_3 src1_sel:DWORD
                                        ; implicit-def: $vgpr28
	s_and_saveexec_b64 s[40:41], vcc
	s_xor_b64 s[38:39], exec, s[40:41]
	s_cbranch_execz .LBB4_11384
; %bb.11375:                            ;   in Loop: Header=BB4_11271 Depth=3
	v_mov_b32_e32 v28, 0
	v_cmp_ne_u32_e32 vcc, 0, v24
	s_and_saveexec_b64 s[48:49], vcc
	s_cbranch_execz .LBB4_11383
; %bb.11376:                            ;   in Loop: Header=BB4_11271 Depth=3
	v_and_b32_e32 v22, 0x7fffff, v24
	v_bfe_u32 v24, v24, 23, 8
	v_cmp_gt_u32_e64 s[40:41], s71, v24
	v_sub_u32_e32 v23, 0x79, v24
	v_cmp_eq_u32_e32 vcc, 0, v24
	v_cndmask_b32_e64 v23, 0, v23, s[40:41]
	v_mov_b32_e32 v25, 0x78
	v_or_b32_e32 v27, 0x800000, v22
	v_cndmask_b32_e32 v25, v23, v25, vcc
	v_cndmask_b32_e32 v27, v27, v22, vcc
	v_add_u32_e32 v22, 20, v25
	v_mov_b32_e32 v28, v3
	v_lshlrev_b64 v[29:30], v22, -1
	v_add_u32_e32 v22, 19, v25
	v_lshlrev_b64 v[35:36], v22, 1
	v_lshrrev_b64 v[44:45], v25, v[27:28]
	v_bfi_b32 v30, v30, 0, 0
	v_bfi_b32 v29, v29, 0, v27
	v_cmp_eq_u64_e64 s[40:41], v[29:30], v[35:36]
	v_mov_b32_e32 v46, v45
	v_mov_b32_e32 v45, v44
	s_and_saveexec_b64 s[50:51], s[40:41]
; %bb.11377:                            ;   in Loop: Header=BB4_11271 Depth=3
	v_bfe_u32 v22, v44, 20, 1
	v_add_co_u32_e64 v22, s[40:41], v44, v22
	v_add_co_u32_e64 v45, s[40:41], -1, v22
; %bb.11378:                            ;   in Loop: Header=BB4_11271 Depth=3
	s_or_b64 exec, exec, s[50:51]
	v_add_u32_e32 v22, 0xffffff81, v24
	v_mov_b32_e32 v23, 0xffffff82
	v_cndmask_b32_e32 v22, v22, v23, vcc
	v_lshrrev_b32_e32 v23, 23, v44
	v_add3_u32 v27, v25, v22, v23
	v_add_u32_e32 v25, 6, v27
	v_and_b32_e32 v22, 0xfffff, v45
	v_add_u32_e32 v44, v22, v44
	v_mov_b32_e32 v45, v3
	v_cmp_ne_u32_e32 vcc, 0, v25
                                        ; implicit-def: $vgpr24
	s_and_saveexec_b64 s[40:41], vcc
	s_xor_b64 s[40:41], exec, s[40:41]
; %bb.11379:                            ;   in Loop: Header=BB4_11271 Depth=3
	v_cmp_lt_u64_e32 vcc, s[74:75], v[44:45]
	v_add_u32_e32 v22, 7, v27
	v_cndmask_b32_e32 v24, v25, v22, vcc
	v_cndmask_b32_e64 v22, 0, 1, vcc
	v_lshrrev_b64 v[44:45], v22, v[44:45]
; %bb.11380:                            ;   in Loop: Header=BB4_11271 Depth=3
	s_andn2_saveexec_b64 s[40:41], s[40:41]
; %bb.11381:                            ;   in Loop: Header=BB4_11271 Depth=3
	v_bfe_u32 v24, v44, 23, 1
; %bb.11382:                            ;   in Loop: Header=BB4_11271 Depth=3
	s_or_b64 exec, exec, s[40:41]
	v_lshrrev_b64 v[27:28], 20, v[44:45]
	v_cmp_gt_i32_e32 vcc, 16, v24
	v_cndmask_b32_e32 v28, 0, v28, vcc
	v_cndmask_b32_e32 v27, 7, v27, vcc
	v_min_i32_e32 v22, 15, v24
	v_cmp_eq_u64_e64 s[40:41], 0, v[27:28]
	v_lshlrev_b32_e32 v22, 3, v22
	v_cmp_eq_u32_e32 vcc, 0, v24
	v_and_b32_e32 v22, 0xf8, v22
	v_and_or_b32 v22, v27, 7, v22
	s_and_b64 s[40:41], vcc, s[40:41]
	v_cndmask_b32_e64 v22, v22, 0, s[40:41]
	v_or_b32_e32 v28, v22, v17
.LBB4_11383:                            ;   in Loop: Header=BB4_11271 Depth=3
	s_or_b64 exec, exec, s[48:49]
                                        ; implicit-def: $vgpr17
.LBB4_11384:                            ;   in Loop: Header=BB4_11271 Depth=3
	s_andn2_saveexec_b64 s[40:41], s[38:39]
; %bb.11385:                            ;   in Loop: Header=BB4_11271 Depth=3
	v_or_b32_e32 v28, 0x7e, v17
; %bb.11386:                            ;   in Loop: Header=BB4_11271 Depth=3
	s_or_b64 exec, exec, s[40:41]
                                        ; implicit-def: $vgpr24
.LBB4_11387:                            ;   in Loop: Header=BB4_11271 Depth=3
	s_andn2_saveexec_b64 s[40:41], s[36:37]
; %bb.11388:                            ;   in Loop: Header=BB4_11271 Depth=3
	v_or_b32_sdwa v28, v24, s68 dst_sel:DWORD dst_unused:UNUSED_PAD src0_sel:BYTE_3 src1_sel:DWORD
; %bb.11389:                            ;   in Loop: Header=BB4_11271 Depth=3
	s_or_b64 exec, exec, s[40:41]
	v_lshrrev_b16_e32 v30, 8, v2
	v_cmp_ne_u16_e32 vcc, 0, v30
	v_mov_b32_e32 v17, 0
	s_and_saveexec_b64 s[40:41], vcc
	s_cbranch_execz .LBB4_11395
; %bb.11390:                            ;   in Loop: Header=BB4_11271 Depth=3
	v_cmp_ne_u16_e32 vcc, s70, v30
	v_bfrev_b32_e32 v17, 1
	s_and_saveexec_b64 s[36:37], vcc
	s_cbranch_execz .LBB4_11394
; %bb.11391:                            ;   in Loop: Header=BB4_11271 Depth=3
	v_and_b32_e32 v24, 0x7f, v30
	v_cmp_ne_u32_e32 vcc, s68, v24
	v_mov_b32_e32 v17, 0x7f800001
	s_and_saveexec_b64 s[38:39], vcc
	s_cbranch_execz .LBB4_11393
; %bb.11392:                            ;   in Loop: Header=BB4_11271 Depth=3
	v_and_b32_e32 v17, 7, v30
	v_ffbh_u32_e32 v23, v17
	v_min_u32_e32 v23, 32, v23
	v_lshrrev_b32_e32 v22, 3, v24
	v_cmp_gt_u32_e32 vcc, 8, v24
	v_subrev_u32_e32 v24, 28, v23
	v_lshlrev_b64 v[24:25], v24, v[30:31]
	v_sub_u32_e32 v23, 29, v23
	v_and_b32_e32 v24, 7, v24
	v_cndmask_b32_e32 v22, v22, v23, vcc
	v_cndmask_b32_e32 v17, v17, v24, vcc
	v_lshlrev_b32_e32 v2, 16, v2
	v_lshlrev_b32_e32 v17, 20, v17
	v_and_b32_e32 v2, 0x80000000, v2
	v_lshl_add_u32 v22, v22, 23, v5
	v_or3_b32 v17, v2, v22, v17
.LBB4_11393:                            ;   in Loop: Header=BB4_11271 Depth=3
	s_or_b64 exec, exec, s[38:39]
.LBB4_11394:                            ;   in Loop: Header=BB4_11271 Depth=3
	s_or_b64 exec, exec, s[36:37]
.LBB4_11395:                            ;   in Loop: Header=BB4_11271 Depth=3
	s_or_b64 exec, exec, s[40:41]
	v_mul_f32_e32 v24, v21, v17
	v_and_b32_e32 v2, 0x7f800000, v24
	v_cmp_ne_u64_e32 vcc, s[62:63], v[2:3]
                                        ; implicit-def: $vgpr36
	s_and_saveexec_b64 s[40:41], vcc
	s_xor_b64 s[36:37], exec, s[40:41]
	s_cbranch_execz .LBB4_11409
; %bb.11396:                            ;   in Loop: Header=BB4_11271 Depth=3
	v_and_b32_e32 v2, 0x7fffffff, v24
	v_cmp_gt_u64_e32 vcc, s[72:73], v[2:3]
	v_and_b32_sdwa v17, v24, s70 dst_sel:DWORD dst_unused:UNUSED_PAD src0_sel:BYTE_3 src1_sel:DWORD
                                        ; implicit-def: $vgpr36
	s_and_saveexec_b64 s[40:41], vcc
	s_xor_b64 s[38:39], exec, s[40:41]
	s_cbranch_execz .LBB4_11406
; %bb.11397:                            ;   in Loop: Header=BB4_11271 Depth=3
	v_mov_b32_e32 v36, 0
	v_cmp_ne_u32_e32 vcc, 0, v24
	s_and_saveexec_b64 s[48:49], vcc
	s_cbranch_execz .LBB4_11405
; %bb.11398:                            ;   in Loop: Header=BB4_11271 Depth=3
	v_and_b32_e32 v2, 0x7fffff, v24
	v_bfe_u32 v24, v24, 23, 8
	v_cmp_gt_u32_e64 s[40:41], s71, v24
	v_sub_u32_e32 v22, 0x79, v24
	v_cmp_eq_u32_e32 vcc, 0, v24
	v_cndmask_b32_e64 v22, 0, v22, s[40:41]
	v_mov_b32_e32 v25, 0x78
	v_cndmask_b32_e32 v25, v22, v25, vcc
	v_or_b32_e32 v23, 0x800000, v2
	v_add_u32_e32 v22, 20, v25
	v_cndmask_b32_e32 v2, v23, v2, vcc
	v_lshlrev_b64 v[29:30], v22, -1
	v_add_u32_e32 v22, 19, v25
	v_lshlrev_b64 v[35:36], v22, 1
	v_lshrrev_b64 v[44:45], v25, v[2:3]
	v_bfi_b32 v30, v30, 0, 0
	v_bfi_b32 v29, v29, 0, v2
	v_cmp_eq_u64_e64 s[40:41], v[29:30], v[35:36]
	v_mov_b32_e32 v46, v45
	v_mov_b32_e32 v45, v44
	s_and_saveexec_b64 s[50:51], s[40:41]
; %bb.11399:                            ;   in Loop: Header=BB4_11271 Depth=3
	v_bfe_u32 v2, v44, 20, 1
	v_add_co_u32_e64 v2, s[40:41], v44, v2
	v_add_co_u32_e64 v45, s[40:41], -1, v2
; %bb.11400:                            ;   in Loop: Header=BB4_11271 Depth=3
	s_or_b64 exec, exec, s[50:51]
	v_add_u32_e32 v2, 0xffffff81, v24
	v_mov_b32_e32 v22, 0xffffff82
	v_cndmask_b32_e32 v2, v2, v22, vcc
	v_lshrrev_b32_e32 v22, 23, v44
	v_add3_u32 v27, v25, v2, v22
	v_add_u32_e32 v25, 6, v27
	v_and_b32_e32 v2, 0xfffff, v45
	v_add_u32_e32 v2, v2, v44
	v_cmp_ne_u32_e32 vcc, 0, v25
                                        ; implicit-def: $vgpr44_vgpr45
                                        ; implicit-def: $vgpr24
	s_and_saveexec_b64 s[40:41], vcc
	s_xor_b64 s[40:41], exec, s[40:41]
; %bb.11401:                            ;   in Loop: Header=BB4_11271 Depth=3
	v_cmp_lt_u64_e32 vcc, s[74:75], v[2:3]
	v_add_u32_e32 v22, 7, v27
	v_cndmask_b32_e32 v24, v25, v22, vcc
	v_cndmask_b32_e64 v22, 0, 1, vcc
	v_lshrrev_b64 v[44:45], v22, v[2:3]
; %bb.11402:                            ;   in Loop: Header=BB4_11271 Depth=3
	s_andn2_saveexec_b64 s[40:41], s[40:41]
; %bb.11403:                            ;   in Loop: Header=BB4_11271 Depth=3
	v_mov_b32_e32 v45, v3
	v_mov_b32_e32 v44, v2
	v_bfe_u32 v24, v2, 23, 1
; %bb.11404:                            ;   in Loop: Header=BB4_11271 Depth=3
	s_or_b64 exec, exec, s[40:41]
	v_lshrrev_b64 v[29:30], 20, v[44:45]
	v_cmp_gt_i32_e32 vcc, 16, v24
	v_cndmask_b32_e32 v30, 0, v30, vcc
	v_cndmask_b32_e32 v29, 7, v29, vcc
	v_min_i32_e32 v2, 15, v24
	v_cmp_eq_u64_e64 s[40:41], 0, v[29:30]
	v_lshlrev_b32_e32 v2, 3, v2
	v_cmp_eq_u32_e32 vcc, 0, v24
	v_and_b32_e32 v2, 0xf8, v2
	v_and_or_b32 v2, v29, 7, v2
	s_and_b64 s[40:41], vcc, s[40:41]
	v_cndmask_b32_e64 v2, v2, 0, s[40:41]
	v_or_b32_e32 v36, v2, v17
.LBB4_11405:                            ;   in Loop: Header=BB4_11271 Depth=3
	s_or_b64 exec, exec, s[48:49]
                                        ; implicit-def: $vgpr17
.LBB4_11406:                            ;   in Loop: Header=BB4_11271 Depth=3
	s_andn2_saveexec_b64 s[40:41], s[38:39]
; %bb.11407:                            ;   in Loop: Header=BB4_11271 Depth=3
	v_or_b32_e32 v36, 0x7e, v17
; %bb.11408:                            ;   in Loop: Header=BB4_11271 Depth=3
	s_or_b64 exec, exec, s[40:41]
                                        ; implicit-def: $vgpr24
.LBB4_11409:                            ;   in Loop: Header=BB4_11271 Depth=3
	s_andn2_saveexec_b64 s[40:41], s[36:37]
; %bb.11410:                            ;   in Loop: Header=BB4_11271 Depth=3
	v_or_b32_sdwa v36, v24, s68 dst_sel:DWORD dst_unused:UNUSED_PAD src0_sel:BYTE_3 src1_sel:DWORD
; %bb.11411:                            ;   in Loop: Header=BB4_11271 Depth=3
	s_or_b64 exec, exec, s[40:41]
	v_lshrrev_b32_e32 v2, 16, v9
	v_cmp_ne_u16_sdwa vcc, v2, v3 src0_sel:BYTE_0 src1_sel:DWORD
	v_mov_b32_e32 v17, 0
	s_and_saveexec_b64 s[40:41], vcc
	s_cbranch_execz .LBB4_11417
; %bb.11412:                            ;   in Loop: Header=BB4_11271 Depth=3
	v_cmp_ne_u16_sdwa vcc, v2, s70 src0_sel:BYTE_0 src1_sel:DWORD
	v_bfrev_b32_e32 v17, 1
	s_and_saveexec_b64 s[36:37], vcc
	s_cbranch_execz .LBB4_11416
; %bb.11413:                            ;   in Loop: Header=BB4_11271 Depth=3
	v_bfe_u32 v24, v9, 16, 7
	v_cmp_ne_u32_e32 vcc, s68, v24
	v_mov_b32_e32 v17, 0x7f800001
	s_and_saveexec_b64 s[38:39], vcc
	s_cbranch_execz .LBB4_11415
; %bb.11414:                            ;   in Loop: Header=BB4_11271 Depth=3
	v_and_b32_e32 v17, 7, v2
	v_ffbh_u32_e32 v23, v17
	v_min_u32_e32 v23, 32, v23
	v_lshrrev_b32_e32 v22, 3, v24
	v_cmp_gt_u32_e32 vcc, 8, v24
	v_subrev_u32_e32 v24, 28, v23
	v_lshlrev_b64 v[24:25], v24, v[2:3]
	v_sub_u32_e32 v23, 29, v23
	v_and_b32_e32 v24, 7, v24
	v_cndmask_b32_e32 v22, v22, v23, vcc
	v_cndmask_b32_e32 v17, v17, v24, vcc
	v_lshlrev_b32_e32 v2, 24, v2
	v_lshlrev_b32_e32 v17, 20, v17
	v_and_b32_e32 v2, 0x80000000, v2
	v_lshl_add_u32 v22, v22, 23, v5
	v_or3_b32 v17, v2, v22, v17
.LBB4_11415:                            ;   in Loop: Header=BB4_11271 Depth=3
	s_or_b64 exec, exec, s[38:39]
.LBB4_11416:                            ;   in Loop: Header=BB4_11271 Depth=3
	s_or_b64 exec, exec, s[36:37]
.LBB4_11417:                            ;   in Loop: Header=BB4_11271 Depth=3
	s_or_b64 exec, exec, s[40:41]
	v_mul_f32_e32 v24, v21, v17
	v_and_b32_e32 v2, 0x7f800000, v24
	v_cmp_ne_u64_e32 vcc, s[62:63], v[2:3]
                                        ; implicit-def: $vgpr38
	s_and_saveexec_b64 s[40:41], vcc
	s_xor_b64 s[36:37], exec, s[40:41]
	s_cbranch_execz .LBB4_11431
; %bb.11418:                            ;   in Loop: Header=BB4_11271 Depth=3
	v_and_b32_e32 v2, 0x7fffffff, v24
	v_cmp_gt_u64_e32 vcc, s[72:73], v[2:3]
	v_and_b32_sdwa v17, v24, s70 dst_sel:DWORD dst_unused:UNUSED_PAD src0_sel:BYTE_3 src1_sel:DWORD
                                        ; implicit-def: $vgpr38
	s_and_saveexec_b64 s[40:41], vcc
	s_xor_b64 s[38:39], exec, s[40:41]
	s_cbranch_execz .LBB4_11428
; %bb.11419:                            ;   in Loop: Header=BB4_11271 Depth=3
	v_mov_b32_e32 v38, 0
	v_cmp_ne_u32_e32 vcc, 0, v24
	s_and_saveexec_b64 s[48:49], vcc
	s_cbranch_execz .LBB4_11427
; %bb.11420:                            ;   in Loop: Header=BB4_11271 Depth=3
	v_and_b32_e32 v2, 0x7fffff, v24
	v_bfe_u32 v24, v24, 23, 8
	v_cmp_gt_u32_e64 s[40:41], s71, v24
	v_sub_u32_e32 v22, 0x79, v24
	v_cmp_eq_u32_e32 vcc, 0, v24
	v_cndmask_b32_e64 v22, 0, v22, s[40:41]
	v_mov_b32_e32 v25, 0x78
	v_cndmask_b32_e32 v25, v22, v25, vcc
	v_or_b32_e32 v23, 0x800000, v2
	v_add_u32_e32 v22, 20, v25
	v_cndmask_b32_e32 v2, v23, v2, vcc
	v_lshlrev_b64 v[29:30], v22, -1
	v_add_u32_e32 v22, 19, v25
	v_lshlrev_b64 v[37:38], v22, 1
	v_lshrrev_b64 v[44:45], v25, v[2:3]
	v_bfi_b32 v30, v30, 0, 0
	v_bfi_b32 v29, v29, 0, v2
	v_cmp_eq_u64_e64 s[40:41], v[29:30], v[37:38]
	v_mov_b32_e32 v46, v45
	v_mov_b32_e32 v45, v44
	s_and_saveexec_b64 s[50:51], s[40:41]
; %bb.11421:                            ;   in Loop: Header=BB4_11271 Depth=3
	v_bfe_u32 v2, v44, 20, 1
	v_add_co_u32_e64 v2, s[40:41], v44, v2
	v_add_co_u32_e64 v45, s[40:41], -1, v2
; %bb.11422:                            ;   in Loop: Header=BB4_11271 Depth=3
	s_or_b64 exec, exec, s[50:51]
	v_add_u32_e32 v2, 0xffffff81, v24
	v_mov_b32_e32 v22, 0xffffff82
	v_cndmask_b32_e32 v2, v2, v22, vcc
	v_lshrrev_b32_e32 v22, 23, v44
	v_add3_u32 v27, v25, v2, v22
	v_add_u32_e32 v25, 6, v27
	v_and_b32_e32 v2, 0xfffff, v45
	v_add_u32_e32 v2, v2, v44
	v_cmp_ne_u32_e32 vcc, 0, v25
                                        ; implicit-def: $vgpr44_vgpr45
                                        ; implicit-def: $vgpr24
	s_and_saveexec_b64 s[40:41], vcc
	s_xor_b64 s[40:41], exec, s[40:41]
; %bb.11423:                            ;   in Loop: Header=BB4_11271 Depth=3
	v_cmp_lt_u64_e32 vcc, s[74:75], v[2:3]
	v_add_u32_e32 v22, 7, v27
	v_cndmask_b32_e32 v24, v25, v22, vcc
	v_cndmask_b32_e64 v22, 0, 1, vcc
	v_lshrrev_b64 v[44:45], v22, v[2:3]
; %bb.11424:                            ;   in Loop: Header=BB4_11271 Depth=3
	s_andn2_saveexec_b64 s[40:41], s[40:41]
; %bb.11425:                            ;   in Loop: Header=BB4_11271 Depth=3
	v_mov_b32_e32 v45, v3
	v_mov_b32_e32 v44, v2
	v_bfe_u32 v24, v2, 23, 1
; %bb.11426:                            ;   in Loop: Header=BB4_11271 Depth=3
	s_or_b64 exec, exec, s[40:41]
	v_lshrrev_b64 v[29:30], 20, v[44:45]
	v_cmp_gt_i32_e32 vcc, 16, v24
	v_cndmask_b32_e32 v30, 0, v30, vcc
	v_cndmask_b32_e32 v29, 7, v29, vcc
	v_min_i32_e32 v2, 15, v24
	v_cmp_eq_u64_e64 s[40:41], 0, v[29:30]
	v_lshlrev_b32_e32 v2, 3, v2
	v_cmp_eq_u32_e32 vcc, 0, v24
	v_and_b32_e32 v2, 0xf8, v2
	v_and_or_b32 v2, v29, 7, v2
	s_and_b64 s[40:41], vcc, s[40:41]
	v_cndmask_b32_e64 v2, v2, 0, s[40:41]
	v_or_b32_e32 v38, v2, v17
.LBB4_11427:                            ;   in Loop: Header=BB4_11271 Depth=3
	s_or_b64 exec, exec, s[48:49]
                                        ; implicit-def: $vgpr17
.LBB4_11428:                            ;   in Loop: Header=BB4_11271 Depth=3
	s_andn2_saveexec_b64 s[40:41], s[38:39]
; %bb.11429:                            ;   in Loop: Header=BB4_11271 Depth=3
	v_or_b32_e32 v38, 0x7e, v17
; %bb.11430:                            ;   in Loop: Header=BB4_11271 Depth=3
	s_or_b64 exec, exec, s[40:41]
                                        ; implicit-def: $vgpr24
.LBB4_11431:                            ;   in Loop: Header=BB4_11271 Depth=3
	s_andn2_saveexec_b64 s[40:41], s[36:37]
; %bb.11432:                            ;   in Loop: Header=BB4_11271 Depth=3
	v_or_b32_sdwa v38, v24, s68 dst_sel:DWORD dst_unused:UNUSED_PAD src0_sel:BYTE_3 src1_sel:DWORD
; %bb.11433:                            ;   in Loop: Header=BB4_11271 Depth=3
	s_or_b64 exec, exec, s[40:41]
	v_cmp_lt_u64_e32 vcc, s[56:57], v[8:9]
	v_mov_b32_e32 v8, 0
	s_and_saveexec_b64 s[40:41], vcc
	s_cbranch_execz .LBB4_11439
; %bb.11434:                            ;   in Loop: Header=BB4_11271 Depth=3
	v_lshrrev_b32_e32 v2, 24, v9
	v_cmp_ne_u32_e32 vcc, s70, v2
	v_bfrev_b32_e32 v8, 1
	s_and_saveexec_b64 s[36:37], vcc
	s_cbranch_execz .LBB4_11438
; %bb.11435:                            ;   in Loop: Header=BB4_11271 Depth=3
	v_bfe_u32 v9, v9, 24, 7
	v_cmp_ne_u32_e32 vcc, s68, v9
	v_mov_b32_e32 v8, 0x7f800001
	s_and_saveexec_b64 s[38:39], vcc
	s_cbranch_execz .LBB4_11437
; %bb.11436:                            ;   in Loop: Header=BB4_11271 Depth=3
	v_and_b32_e32 v17, 7, v2
	v_ffbh_u32_e32 v8, v17
	v_min_u32_e32 v23, 32, v8
	v_subrev_u32_e32 v8, 28, v23
	v_lshrrev_b32_e32 v22, 3, v9
	v_cmp_gt_u32_e32 vcc, 8, v9
	v_lshlrev_b64 v[8:9], v8, v[2:3]
	v_sub_u32_e32 v9, 29, v23
	v_and_b32_e32 v8, 7, v8
	v_cndmask_b32_e32 v9, v22, v9, vcc
	v_cndmask_b32_e32 v8, v17, v8, vcc
	v_lshlrev_b32_e32 v2, 24, v2
	v_lshlrev_b32_e32 v8, 20, v8
	v_and_b32_e32 v2, 0x80000000, v2
	v_lshl_add_u32 v9, v9, 23, v5
	v_or3_b32 v8, v2, v9, v8
.LBB4_11437:                            ;   in Loop: Header=BB4_11271 Depth=3
	s_or_b64 exec, exec, s[38:39]
.LBB4_11438:                            ;   in Loop: Header=BB4_11271 Depth=3
	s_or_b64 exec, exec, s[36:37]
.LBB4_11439:                            ;   in Loop: Header=BB4_11271 Depth=3
	s_or_b64 exec, exec, s[40:41]
	v_mul_f32_e32 v8, v21, v8
	v_and_b32_e32 v2, 0x7f800000, v8
	v_cmp_ne_u64_e32 vcc, s[62:63], v[2:3]
                                        ; implicit-def: $vgpr39
	s_and_saveexec_b64 s[40:41], vcc
	s_xor_b64 s[36:37], exec, s[40:41]
	s_cbranch_execz .LBB4_11453
; %bb.11440:                            ;   in Loop: Header=BB4_11271 Depth=3
	v_and_b32_e32 v2, 0x7fffffff, v8
	v_cmp_gt_u64_e32 vcc, s[72:73], v[2:3]
	v_and_b32_sdwa v17, v8, s70 dst_sel:DWORD dst_unused:UNUSED_PAD src0_sel:BYTE_3 src1_sel:DWORD
                                        ; implicit-def: $vgpr39
	s_and_saveexec_b64 s[40:41], vcc
	s_xor_b64 s[38:39], exec, s[40:41]
	s_cbranch_execz .LBB4_11450
; %bb.11441:                            ;   in Loop: Header=BB4_11271 Depth=3
	v_mov_b32_e32 v39, 0
	v_cmp_ne_u32_e32 vcc, 0, v8
	s_and_saveexec_b64 s[48:49], vcc
	s_cbranch_execz .LBB4_11449
; %bb.11442:                            ;   in Loop: Header=BB4_11271 Depth=3
	v_bfe_u32 v24, v8, 23, 8
	v_and_b32_e32 v2, 0x7fffff, v8
	v_cmp_gt_u32_e64 s[40:41], s71, v24
	v_sub_u32_e32 v8, 0x79, v24
	v_cmp_eq_u32_e32 vcc, 0, v24
	v_cndmask_b32_e64 v8, 0, v8, s[40:41]
	v_mov_b32_e32 v22, 0x78
	v_cndmask_b32_e32 v25, v8, v22, vcc
	v_or_b32_e32 v9, 0x800000, v2
	v_add_u32_e32 v8, 20, v25
	v_cndmask_b32_e32 v2, v9, v2, vcc
	v_lshlrev_b64 v[8:9], v8, -1
	v_add_u32_e32 v22, 19, v25
	v_lshlrev_b64 v[29:30], v22, 1
	v_bfi_b32 v9, v9, 0, 0
	v_bfi_b32 v8, v8, 0, v2
	v_cmp_eq_u64_e64 s[40:41], v[8:9], v[29:30]
	v_lshrrev_b64 v[8:9], v25, v[2:3]
	v_mov_b32_e32 v45, v9
	v_mov_b32_e32 v44, v8
	s_and_saveexec_b64 s[50:51], s[40:41]
; %bb.11443:                            ;   in Loop: Header=BB4_11271 Depth=3
	v_bfe_u32 v2, v8, 20, 1
	v_add_co_u32_e64 v2, s[40:41], v8, v2
	v_add_co_u32_e64 v44, s[40:41], -1, v2
; %bb.11444:                            ;   in Loop: Header=BB4_11271 Depth=3
	s_or_b64 exec, exec, s[50:51]
	v_add_u32_e32 v2, 0xffffff81, v24
	v_mov_b32_e32 v9, 0xffffff82
	v_cndmask_b32_e32 v2, v2, v9, vcc
	v_lshrrev_b32_e32 v9, 23, v8
	v_add3_u32 v27, v25, v2, v9
	v_add_u32_e32 v25, 6, v27
	v_and_b32_e32 v2, 0xfffff, v44
	v_add_u32_e32 v2, v2, v8
	v_cmp_ne_u32_e32 vcc, 0, v25
                                        ; implicit-def: $vgpr8_vgpr9
                                        ; implicit-def: $vgpr24
	s_and_saveexec_b64 s[40:41], vcc
	s_xor_b64 s[40:41], exec, s[40:41]
; %bb.11445:                            ;   in Loop: Header=BB4_11271 Depth=3
	v_cmp_lt_u64_e32 vcc, s[74:75], v[2:3]
	v_add_u32_e32 v8, 7, v27
	v_cndmask_b32_e32 v24, v25, v8, vcc
	v_cndmask_b32_e64 v8, 0, 1, vcc
	v_lshrrev_b64 v[8:9], v8, v[2:3]
; %bb.11446:                            ;   in Loop: Header=BB4_11271 Depth=3
	s_andn2_saveexec_b64 s[40:41], s[40:41]
; %bb.11447:                            ;   in Loop: Header=BB4_11271 Depth=3
	v_mov_b32_e32 v9, v3
	v_mov_b32_e32 v8, v2
	v_bfe_u32 v24, v2, 23, 1
; %bb.11448:                            ;   in Loop: Header=BB4_11271 Depth=3
	s_or_b64 exec, exec, s[40:41]
	v_lshrrev_b64 v[8:9], 20, v[8:9]
	v_cmp_gt_i32_e32 vcc, 16, v24
	v_cndmask_b32_e32 v9, 0, v9, vcc
	v_cndmask_b32_e32 v8, 7, v8, vcc
	v_min_i32_e32 v2, 15, v24
	v_cmp_eq_u64_e64 s[40:41], 0, v[8:9]
	v_lshlrev_b32_e32 v2, 3, v2
	v_cmp_eq_u32_e32 vcc, 0, v24
	v_and_b32_e32 v2, 0xf8, v2
	v_and_or_b32 v2, v8, 7, v2
	s_and_b64 s[40:41], vcc, s[40:41]
	v_cndmask_b32_e64 v2, v2, 0, s[40:41]
	v_or_b32_e32 v39, v2, v17
.LBB4_11449:                            ;   in Loop: Header=BB4_11271 Depth=3
	s_or_b64 exec, exec, s[48:49]
                                        ; implicit-def: $vgpr17
.LBB4_11450:                            ;   in Loop: Header=BB4_11271 Depth=3
	s_andn2_saveexec_b64 s[40:41], s[38:39]
; %bb.11451:                            ;   in Loop: Header=BB4_11271 Depth=3
	v_or_b32_e32 v39, 0x7e, v17
; %bb.11452:                            ;   in Loop: Header=BB4_11271 Depth=3
	s_or_b64 exec, exec, s[40:41]
                                        ; implicit-def: $vgpr8
.LBB4_11453:                            ;   in Loop: Header=BB4_11271 Depth=3
	s_andn2_saveexec_b64 s[40:41], s[36:37]
; %bb.11454:                            ;   in Loop: Header=BB4_11271 Depth=3
	v_or_b32_sdwa v39, v8, s68 dst_sel:DWORD dst_unused:UNUSED_PAD src0_sel:BYTE_3 src1_sel:DWORD
; %bb.11455:                            ;   in Loop: Header=BB4_11271 Depth=3
	s_or_b64 exec, exec, s[40:41]
	v_cmp_ne_u16_sdwa vcc, v10, v3 src0_sel:BYTE_0 src1_sel:DWORD
	v_mov_b32_e32 v2, 0
	s_and_saveexec_b64 s[40:41], vcc
	s_cbranch_execz .LBB4_11461
; %bb.11456:                            ;   in Loop: Header=BB4_11271 Depth=3
	v_cmp_ne_u16_sdwa vcc, v10, s70 src0_sel:BYTE_0 src1_sel:DWORD
	v_bfrev_b32_e32 v2, 1
	s_and_saveexec_b64 s[36:37], vcc
	s_cbranch_execz .LBB4_11460
; %bb.11457:                            ;   in Loop: Header=BB4_11271 Depth=3
	v_and_b32_e32 v8, 0x7f, v10
	v_cmp_ne_u32_e32 vcc, s68, v8
	v_mov_b32_e32 v2, 0x7f800001
	s_and_saveexec_b64 s[38:39], vcc
	s_cbranch_execz .LBB4_11459
; %bb.11458:                            ;   in Loop: Header=BB4_11271 Depth=3
	v_and_b32_e32 v2, 7, v10
	v_ffbh_u32_e32 v2, v2
	v_min_u32_e32 v2, 32, v2
	v_lshrrev_b32_e32 v9, 3, v8
	v_cmp_gt_u32_e32 vcc, 8, v8
	v_subrev_u32_e32 v8, 28, v2
	v_sub_u32_e32 v2, 29, v2
	v_cndmask_b32_e32 v8, 0, v8, vcc
	v_cndmask_b32_e32 v2, v9, v2, vcc
	v_lshlrev_b64 v[8:9], v8, v[10:11]
	v_lshlrev_b32_e32 v9, 24, v10
	v_lshlrev_b32_e32 v8, 20, v8
	v_and_b32_e32 v8, 0x700000, v8
	v_and_b32_e32 v9, 0x80000000, v9
	v_lshl_add_u32 v2, v2, 23, v5
	v_or3_b32 v2, v9, v2, v8
.LBB4_11459:                            ;   in Loop: Header=BB4_11271 Depth=3
	s_or_b64 exec, exec, s[38:39]
.LBB4_11460:                            ;   in Loop: Header=BB4_11271 Depth=3
	s_or_b64 exec, exec, s[36:37]
.LBB4_11461:                            ;   in Loop: Header=BB4_11271 Depth=3
	s_or_b64 exec, exec, s[40:41]
	v_mul_f32_e32 v8, v21, v2
	v_and_b32_e32 v2, 0x7f800000, v8
	v_cmp_ne_u64_e32 vcc, s[62:63], v[2:3]
                                        ; implicit-def: $vgpr24
	s_and_saveexec_b64 s[40:41], vcc
	s_xor_b64 s[36:37], exec, s[40:41]
	s_cbranch_execz .LBB4_11475
; %bb.11462:                            ;   in Loop: Header=BB4_11271 Depth=3
	v_and_b32_e32 v2, 0x7fffffff, v8
	v_cmp_gt_u64_e32 vcc, s[72:73], v[2:3]
	v_and_b32_sdwa v17, v8, s70 dst_sel:DWORD dst_unused:UNUSED_PAD src0_sel:BYTE_3 src1_sel:DWORD
                                        ; implicit-def: $vgpr24
	s_and_saveexec_b64 s[40:41], vcc
	s_xor_b64 s[38:39], exec, s[40:41]
	s_cbranch_execz .LBB4_11472
; %bb.11463:                            ;   in Loop: Header=BB4_11271 Depth=3
	v_mov_b32_e32 v24, 0
	v_cmp_ne_u32_e32 vcc, 0, v8
	s_and_saveexec_b64 s[48:49], vcc
	s_cbranch_execz .LBB4_11471
; %bb.11464:                            ;   in Loop: Header=BB4_11271 Depth=3
	v_bfe_u32 v24, v8, 23, 8
	v_and_b32_e32 v2, 0x7fffff, v8
	v_cmp_gt_u32_e64 s[40:41], s71, v24
	v_sub_u32_e32 v8, 0x79, v24
	v_cmp_eq_u32_e32 vcc, 0, v24
	v_cndmask_b32_e64 v8, 0, v8, s[40:41]
	v_mov_b32_e32 v22, 0x78
	v_cndmask_b32_e32 v25, v8, v22, vcc
	v_or_b32_e32 v9, 0x800000, v2
	v_add_u32_e32 v8, 20, v25
	v_cndmask_b32_e32 v2, v9, v2, vcc
	v_lshlrev_b64 v[8:9], v8, -1
	v_add_u32_e32 v22, 19, v25
	v_lshlrev_b64 v[29:30], v22, 1
	v_bfi_b32 v9, v9, 0, 0
	v_bfi_b32 v8, v8, 0, v2
	v_cmp_eq_u64_e64 s[40:41], v[8:9], v[29:30]
	v_lshrrev_b64 v[8:9], v25, v[2:3]
	v_mov_b32_e32 v45, v9
	v_mov_b32_e32 v44, v8
	s_and_saveexec_b64 s[50:51], s[40:41]
; %bb.11465:                            ;   in Loop: Header=BB4_11271 Depth=3
	v_bfe_u32 v2, v8, 20, 1
	v_add_co_u32_e64 v2, s[40:41], v8, v2
	v_add_co_u32_e64 v44, s[40:41], -1, v2
; %bb.11466:                            ;   in Loop: Header=BB4_11271 Depth=3
	s_or_b64 exec, exec, s[50:51]
	v_add_u32_e32 v2, 0xffffff81, v24
	v_mov_b32_e32 v9, 0xffffff82
	v_cndmask_b32_e32 v2, v2, v9, vcc
	v_lshrrev_b32_e32 v9, 23, v8
	v_add3_u32 v27, v25, v2, v9
	v_add_u32_e32 v25, 6, v27
	v_and_b32_e32 v2, 0xfffff, v44
	v_add_u32_e32 v2, v2, v8
	v_cmp_ne_u32_e32 vcc, 0, v25
                                        ; implicit-def: $vgpr8_vgpr9
                                        ; implicit-def: $vgpr24
	s_and_saveexec_b64 s[40:41], vcc
	s_xor_b64 s[40:41], exec, s[40:41]
; %bb.11467:                            ;   in Loop: Header=BB4_11271 Depth=3
	v_cmp_lt_u64_e32 vcc, s[74:75], v[2:3]
	v_add_u32_e32 v8, 7, v27
	v_cndmask_b32_e32 v24, v25, v8, vcc
	v_cndmask_b32_e64 v8, 0, 1, vcc
	v_lshrrev_b64 v[8:9], v8, v[2:3]
; %bb.11468:                            ;   in Loop: Header=BB4_11271 Depth=3
	s_andn2_saveexec_b64 s[40:41], s[40:41]
; %bb.11469:                            ;   in Loop: Header=BB4_11271 Depth=3
	v_mov_b32_e32 v9, v3
	v_mov_b32_e32 v8, v2
	v_bfe_u32 v24, v2, 23, 1
; %bb.11470:                            ;   in Loop: Header=BB4_11271 Depth=3
	s_or_b64 exec, exec, s[40:41]
	v_lshrrev_b64 v[8:9], 20, v[8:9]
	v_cmp_gt_i32_e32 vcc, 16, v24
	v_cndmask_b32_e32 v9, 0, v9, vcc
	v_cndmask_b32_e32 v8, 7, v8, vcc
	v_min_i32_e32 v2, 15, v24
	v_cmp_eq_u64_e64 s[40:41], 0, v[8:9]
	v_lshlrev_b32_e32 v2, 3, v2
	v_cmp_eq_u32_e32 vcc, 0, v24
	v_and_b32_e32 v2, 0xf8, v2
	v_and_or_b32 v2, v8, 7, v2
	s_and_b64 s[40:41], vcc, s[40:41]
	v_cndmask_b32_e64 v2, v2, 0, s[40:41]
	v_or_b32_e32 v24, v2, v17
.LBB4_11471:                            ;   in Loop: Header=BB4_11271 Depth=3
	s_or_b64 exec, exec, s[48:49]
                                        ; implicit-def: $vgpr17
.LBB4_11472:                            ;   in Loop: Header=BB4_11271 Depth=3
	s_andn2_saveexec_b64 s[40:41], s[38:39]
; %bb.11473:                            ;   in Loop: Header=BB4_11271 Depth=3
	v_or_b32_e32 v24, 0x7e, v17
; %bb.11474:                            ;   in Loop: Header=BB4_11271 Depth=3
	s_or_b64 exec, exec, s[40:41]
                                        ; implicit-def: $vgpr8
.LBB4_11475:                            ;   in Loop: Header=BB4_11271 Depth=3
	s_andn2_saveexec_b64 s[40:41], s[36:37]
; %bb.11476:                            ;   in Loop: Header=BB4_11271 Depth=3
	v_or_b32_sdwa v24, v8, s68 dst_sel:DWORD dst_unused:UNUSED_PAD src0_sel:BYTE_3 src1_sel:DWORD
; %bb.11477:                            ;   in Loop: Header=BB4_11271 Depth=3
	s_or_b64 exec, exec, s[40:41]
	v_lshrrev_b16_e32 v2, 8, v10
	v_cmp_ne_u16_e32 vcc, 0, v2
	v_mov_b32_e32 v8, 0
	s_and_saveexec_b64 s[40:41], vcc
	s_cbranch_execz .LBB4_11483
; %bb.11478:                            ;   in Loop: Header=BB4_11271 Depth=3
	v_cmp_ne_u16_e32 vcc, s70, v2
	v_bfrev_b32_e32 v8, 1
	s_and_saveexec_b64 s[36:37], vcc
	s_cbranch_execz .LBB4_11482
; %bb.11479:                            ;   in Loop: Header=BB4_11271 Depth=3
	v_and_b32_e32 v9, 0x7f, v2
	v_cmp_ne_u32_e32 vcc, s68, v9
	v_mov_b32_e32 v8, 0x7f800001
	s_and_saveexec_b64 s[38:39], vcc
	s_cbranch_execz .LBB4_11481
; %bb.11480:                            ;   in Loop: Header=BB4_11271 Depth=3
	v_and_b32_e32 v17, 7, v2
	v_ffbh_u32_e32 v8, v17
	v_min_u32_e32 v23, 32, v8
	v_subrev_u32_e32 v8, 28, v23
	v_lshrrev_b32_e32 v22, 3, v9
	v_cmp_gt_u32_e32 vcc, 8, v9
	v_lshlrev_b64 v[8:9], v8, v[2:3]
	v_sub_u32_e32 v2, 29, v23
	v_and_b32_e32 v8, 7, v8
	v_cndmask_b32_e32 v2, v22, v2, vcc
	v_cndmask_b32_e32 v8, v17, v8, vcc
	v_lshlrev_b32_e32 v9, 16, v10
	v_lshlrev_b32_e32 v8, 20, v8
	v_and_b32_e32 v9, 0x80000000, v9
	v_lshl_add_u32 v2, v2, 23, v5
	v_or3_b32 v8, v9, v2, v8
.LBB4_11481:                            ;   in Loop: Header=BB4_11271 Depth=3
	s_or_b64 exec, exec, s[38:39]
.LBB4_11482:                            ;   in Loop: Header=BB4_11271 Depth=3
	s_or_b64 exec, exec, s[36:37]
.LBB4_11483:                            ;   in Loop: Header=BB4_11271 Depth=3
	s_or_b64 exec, exec, s[40:41]
	v_mul_f32_e32 v8, v21, v8
	v_and_b32_e32 v2, 0x7f800000, v8
	v_cmp_ne_u64_e32 vcc, s[62:63], v[2:3]
                                        ; implicit-def: $vgpr29
	s_and_saveexec_b64 s[40:41], vcc
	s_xor_b64 s[36:37], exec, s[40:41]
	s_cbranch_execz .LBB4_11497
; %bb.11484:                            ;   in Loop: Header=BB4_11271 Depth=3
	v_and_b32_e32 v2, 0x7fffffff, v8
	v_cmp_gt_u64_e32 vcc, s[72:73], v[2:3]
	v_and_b32_sdwa v17, v8, s70 dst_sel:DWORD dst_unused:UNUSED_PAD src0_sel:BYTE_3 src1_sel:DWORD
                                        ; implicit-def: $vgpr29
	s_and_saveexec_b64 s[40:41], vcc
	s_xor_b64 s[38:39], exec, s[40:41]
	s_cbranch_execz .LBB4_11494
; %bb.11485:                            ;   in Loop: Header=BB4_11271 Depth=3
	v_mov_b32_e32 v29, 0
	v_cmp_ne_u32_e32 vcc, 0, v8
	s_and_saveexec_b64 s[48:49], vcc
	s_cbranch_execz .LBB4_11493
; %bb.11486:                            ;   in Loop: Header=BB4_11271 Depth=3
	v_bfe_u32 v25, v8, 23, 8
	v_and_b32_e32 v2, 0x7fffff, v8
	v_cmp_gt_u32_e64 s[40:41], s71, v25
	v_sub_u32_e32 v8, 0x79, v25
	v_cmp_eq_u32_e32 vcc, 0, v25
	v_cndmask_b32_e64 v8, 0, v8, s[40:41]
	v_mov_b32_e32 v22, 0x78
	v_cndmask_b32_e32 v27, v8, v22, vcc
	v_or_b32_e32 v9, 0x800000, v2
	v_add_u32_e32 v8, 20, v27
	v_cndmask_b32_e32 v2, v9, v2, vcc
	v_lshlrev_b64 v[8:9], v8, -1
	v_add_u32_e32 v22, 19, v27
	v_lshlrev_b64 v[29:30], v22, 1
	v_bfi_b32 v9, v9, 0, 0
	v_bfi_b32 v8, v8, 0, v2
	v_cmp_eq_u64_e64 s[40:41], v[8:9], v[29:30]
	v_lshrrev_b64 v[8:9], v27, v[2:3]
	v_mov_b32_e32 v45, v9
	v_mov_b32_e32 v44, v8
	s_and_saveexec_b64 s[50:51], s[40:41]
; %bb.11487:                            ;   in Loop: Header=BB4_11271 Depth=3
	v_bfe_u32 v2, v8, 20, 1
	v_add_co_u32_e64 v2, s[40:41], v8, v2
	v_add_co_u32_e64 v44, s[40:41], -1, v2
; %bb.11488:                            ;   in Loop: Header=BB4_11271 Depth=3
	s_or_b64 exec, exec, s[50:51]
	v_add_u32_e32 v2, 0xffffff81, v25
	v_mov_b32_e32 v9, 0xffffff82
	v_cndmask_b32_e32 v2, v2, v9, vcc
	v_lshrrev_b32_e32 v9, 23, v8
	v_add3_u32 v29, v27, v2, v9
	v_add_u32_e32 v27, 6, v29
	v_and_b32_e32 v2, 0xfffff, v44
	v_add_u32_e32 v2, v2, v8
	v_cmp_ne_u32_e32 vcc, 0, v27
                                        ; implicit-def: $vgpr8_vgpr9
                                        ; implicit-def: $vgpr25
	s_and_saveexec_b64 s[40:41], vcc
	s_xor_b64 s[40:41], exec, s[40:41]
; %bb.11489:                            ;   in Loop: Header=BB4_11271 Depth=3
	v_cmp_lt_u64_e32 vcc, s[74:75], v[2:3]
	v_add_u32_e32 v8, 7, v29
	v_cndmask_b32_e32 v25, v27, v8, vcc
	v_cndmask_b32_e64 v8, 0, 1, vcc
	v_lshrrev_b64 v[8:9], v8, v[2:3]
; %bb.11490:                            ;   in Loop: Header=BB4_11271 Depth=3
	s_andn2_saveexec_b64 s[40:41], s[40:41]
; %bb.11491:                            ;   in Loop: Header=BB4_11271 Depth=3
	v_mov_b32_e32 v9, v3
	v_mov_b32_e32 v8, v2
	v_bfe_u32 v25, v2, 23, 1
; %bb.11492:                            ;   in Loop: Header=BB4_11271 Depth=3
	s_or_b64 exec, exec, s[40:41]
	v_lshrrev_b64 v[8:9], 20, v[8:9]
	v_cmp_gt_i32_e32 vcc, 16, v25
	v_cndmask_b32_e32 v9, 0, v9, vcc
	v_cndmask_b32_e32 v8, 7, v8, vcc
	v_min_i32_e32 v2, 15, v25
	v_cmp_eq_u64_e64 s[40:41], 0, v[8:9]
	v_lshlrev_b32_e32 v2, 3, v2
	v_cmp_eq_u32_e32 vcc, 0, v25
	v_and_b32_e32 v2, 0xf8, v2
	v_and_or_b32 v2, v8, 7, v2
	s_and_b64 s[40:41], vcc, s[40:41]
	v_cndmask_b32_e64 v2, v2, 0, s[40:41]
	v_or_b32_e32 v29, v2, v17
.LBB4_11493:                            ;   in Loop: Header=BB4_11271 Depth=3
	s_or_b64 exec, exec, s[48:49]
                                        ; implicit-def: $vgpr17
.LBB4_11494:                            ;   in Loop: Header=BB4_11271 Depth=3
	s_andn2_saveexec_b64 s[40:41], s[38:39]
; %bb.11495:                            ;   in Loop: Header=BB4_11271 Depth=3
	v_or_b32_e32 v29, 0x7e, v17
; %bb.11496:                            ;   in Loop: Header=BB4_11271 Depth=3
	s_or_b64 exec, exec, s[40:41]
                                        ; implicit-def: $vgpr8
.LBB4_11497:                            ;   in Loop: Header=BB4_11271 Depth=3
	s_andn2_saveexec_b64 s[40:41], s[36:37]
; %bb.11498:                            ;   in Loop: Header=BB4_11271 Depth=3
	v_or_b32_sdwa v29, v8, s68 dst_sel:DWORD dst_unused:UNUSED_PAD src0_sel:BYTE_3 src1_sel:DWORD
; %bb.11499:                            ;   in Loop: Header=BB4_11271 Depth=3
	s_or_b64 exec, exec, s[40:41]
	v_lshrrev_b32_e32 v2, 16, v10
	v_cmp_ne_u16_sdwa vcc, v2, v3 src0_sel:BYTE_0 src1_sel:DWORD
	v_mov_b32_e32 v8, 0
	s_and_saveexec_b64 s[40:41], vcc
	s_cbranch_execz .LBB4_11505
; %bb.11500:                            ;   in Loop: Header=BB4_11271 Depth=3
	v_cmp_ne_u16_sdwa vcc, v2, s70 src0_sel:BYTE_0 src1_sel:DWORD
	v_bfrev_b32_e32 v8, 1
	s_and_saveexec_b64 s[36:37], vcc
	s_cbranch_execz .LBB4_11504
; %bb.11501:                            ;   in Loop: Header=BB4_11271 Depth=3
	v_bfe_u32 v9, v10, 16, 7
	v_cmp_ne_u32_e32 vcc, s68, v9
	v_mov_b32_e32 v8, 0x7f800001
	s_and_saveexec_b64 s[38:39], vcc
	s_cbranch_execz .LBB4_11503
; %bb.11502:                            ;   in Loop: Header=BB4_11271 Depth=3
	v_and_b32_e32 v17, 7, v2
	v_ffbh_u32_e32 v8, v17
	v_min_u32_e32 v23, 32, v8
	v_subrev_u32_e32 v8, 28, v23
	v_lshrrev_b32_e32 v22, 3, v9
	v_cmp_gt_u32_e32 vcc, 8, v9
	v_lshlrev_b64 v[8:9], v8, v[2:3]
	v_sub_u32_e32 v9, 29, v23
	v_and_b32_e32 v8, 7, v8
	v_cndmask_b32_e32 v9, v22, v9, vcc
	v_cndmask_b32_e32 v8, v17, v8, vcc
	v_lshlrev_b32_e32 v2, 24, v2
	v_lshlrev_b32_e32 v8, 20, v8
	v_and_b32_e32 v2, 0x80000000, v2
	v_lshl_add_u32 v9, v9, 23, v5
	v_or3_b32 v8, v2, v9, v8
.LBB4_11503:                            ;   in Loop: Header=BB4_11271 Depth=3
	s_or_b64 exec, exec, s[38:39]
.LBB4_11504:                            ;   in Loop: Header=BB4_11271 Depth=3
	s_or_b64 exec, exec, s[36:37]
.LBB4_11505:                            ;   in Loop: Header=BB4_11271 Depth=3
	s_or_b64 exec, exec, s[40:41]
	v_mul_f32_e32 v8, v21, v8
	v_and_b32_e32 v2, 0x7f800000, v8
	v_cmp_ne_u64_e32 vcc, s[62:63], v[2:3]
                                        ; implicit-def: $vgpr35
	s_and_saveexec_b64 s[40:41], vcc
	s_xor_b64 s[36:37], exec, s[40:41]
	s_cbranch_execz .LBB4_11519
; %bb.11506:                            ;   in Loop: Header=BB4_11271 Depth=3
	v_and_b32_e32 v2, 0x7fffffff, v8
	v_cmp_gt_u64_e32 vcc, s[72:73], v[2:3]
	v_and_b32_sdwa v17, v8, s70 dst_sel:DWORD dst_unused:UNUSED_PAD src0_sel:BYTE_3 src1_sel:DWORD
                                        ; implicit-def: $vgpr35
	s_and_saveexec_b64 s[40:41], vcc
	s_xor_b64 s[38:39], exec, s[40:41]
	s_cbranch_execz .LBB4_11516
; %bb.11507:                            ;   in Loop: Header=BB4_11271 Depth=3
	v_mov_b32_e32 v35, 0
	v_cmp_ne_u32_e32 vcc, 0, v8
	s_and_saveexec_b64 s[48:49], vcc
	s_cbranch_execz .LBB4_11515
; %bb.11508:                            ;   in Loop: Header=BB4_11271 Depth=3
	v_bfe_u32 v25, v8, 23, 8
	v_and_b32_e32 v2, 0x7fffff, v8
	v_cmp_gt_u32_e64 s[40:41], s71, v25
	v_sub_u32_e32 v8, 0x79, v25
	v_cmp_eq_u32_e32 vcc, 0, v25
	v_cndmask_b32_e64 v8, 0, v8, s[40:41]
	v_mov_b32_e32 v22, 0x78
	v_cndmask_b32_e32 v27, v8, v22, vcc
	v_or_b32_e32 v9, 0x800000, v2
	v_add_u32_e32 v8, 20, v27
	v_cndmask_b32_e32 v2, v9, v2, vcc
	v_lshlrev_b64 v[8:9], v8, -1
	v_add_u32_e32 v22, 19, v27
	v_lshlrev_b64 v[30:31], v22, 1
	v_bfi_b32 v9, v9, 0, 0
	v_bfi_b32 v8, v8, 0, v2
	v_cmp_eq_u64_e64 s[40:41], v[8:9], v[30:31]
	v_lshrrev_b64 v[8:9], v27, v[2:3]
	v_mov_b32_e32 v45, v9
	v_mov_b32_e32 v44, v8
	s_and_saveexec_b64 s[50:51], s[40:41]
; %bb.11509:                            ;   in Loop: Header=BB4_11271 Depth=3
	v_bfe_u32 v2, v8, 20, 1
	v_add_co_u32_e64 v2, s[40:41], v8, v2
	v_add_co_u32_e64 v44, s[40:41], -1, v2
; %bb.11510:                            ;   in Loop: Header=BB4_11271 Depth=3
	s_or_b64 exec, exec, s[50:51]
	v_add_u32_e32 v2, 0xffffff81, v25
	v_mov_b32_e32 v9, 0xffffff82
	v_cndmask_b32_e32 v2, v2, v9, vcc
	v_lshrrev_b32_e32 v9, 23, v8
	v_add3_u32 v30, v27, v2, v9
	v_add_u32_e32 v27, 6, v30
	v_and_b32_e32 v2, 0xfffff, v44
	v_add_u32_e32 v2, v2, v8
	v_cmp_ne_u32_e32 vcc, 0, v27
                                        ; implicit-def: $vgpr8_vgpr9
                                        ; implicit-def: $vgpr25
	s_and_saveexec_b64 s[40:41], vcc
	s_xor_b64 s[40:41], exec, s[40:41]
; %bb.11511:                            ;   in Loop: Header=BB4_11271 Depth=3
	v_cmp_lt_u64_e32 vcc, s[74:75], v[2:3]
	v_add_u32_e32 v8, 7, v30
	v_cndmask_b32_e32 v25, v27, v8, vcc
	v_cndmask_b32_e64 v8, 0, 1, vcc
	v_lshrrev_b64 v[8:9], v8, v[2:3]
; %bb.11512:                            ;   in Loop: Header=BB4_11271 Depth=3
	s_andn2_saveexec_b64 s[40:41], s[40:41]
; %bb.11513:                            ;   in Loop: Header=BB4_11271 Depth=3
	v_mov_b32_e32 v9, v3
	v_mov_b32_e32 v8, v2
	v_bfe_u32 v25, v2, 23, 1
; %bb.11514:                            ;   in Loop: Header=BB4_11271 Depth=3
	s_or_b64 exec, exec, s[40:41]
	v_lshrrev_b64 v[8:9], 20, v[8:9]
	v_cmp_gt_i32_e32 vcc, 16, v25
	v_cndmask_b32_e32 v9, 0, v9, vcc
	v_cndmask_b32_e32 v8, 7, v8, vcc
	v_min_i32_e32 v2, 15, v25
	v_cmp_eq_u64_e64 s[40:41], 0, v[8:9]
	v_lshlrev_b32_e32 v2, 3, v2
	v_cmp_eq_u32_e32 vcc, 0, v25
	v_and_b32_e32 v2, 0xf8, v2
	v_and_or_b32 v2, v8, 7, v2
	s_and_b64 s[40:41], vcc, s[40:41]
	v_cndmask_b32_e64 v2, v2, 0, s[40:41]
	v_or_b32_e32 v35, v2, v17
.LBB4_11515:                            ;   in Loop: Header=BB4_11271 Depth=3
	s_or_b64 exec, exec, s[48:49]
                                        ; implicit-def: $vgpr17
.LBB4_11516:                            ;   in Loop: Header=BB4_11271 Depth=3
	s_andn2_saveexec_b64 s[40:41], s[38:39]
; %bb.11517:                            ;   in Loop: Header=BB4_11271 Depth=3
	v_or_b32_e32 v35, 0x7e, v17
; %bb.11518:                            ;   in Loop: Header=BB4_11271 Depth=3
	s_or_b64 exec, exec, s[40:41]
                                        ; implicit-def: $vgpr8
.LBB4_11519:                            ;   in Loop: Header=BB4_11271 Depth=3
	s_andn2_saveexec_b64 s[40:41], s[36:37]
; %bb.11520:                            ;   in Loop: Header=BB4_11271 Depth=3
	v_or_b32_sdwa v35, v8, s68 dst_sel:DWORD dst_unused:UNUSED_PAD src0_sel:BYTE_3 src1_sel:DWORD
; %bb.11521:                            ;   in Loop: Header=BB4_11271 Depth=3
	s_or_b64 exec, exec, s[40:41]
	v_cmp_lt_u32_e32 vcc, s57, v10
	v_mov_b32_e32 v8, 0
	s_and_saveexec_b64 s[40:41], vcc
	s_cbranch_execz .LBB4_11527
; %bb.11522:                            ;   in Loop: Header=BB4_11271 Depth=3
	v_lshrrev_b32_e32 v2, 24, v10
	v_cmp_ne_u32_e32 vcc, s70, v2
	v_bfrev_b32_e32 v8, 1
	s_and_saveexec_b64 s[36:37], vcc
	s_cbranch_execz .LBB4_11526
; %bb.11523:                            ;   in Loop: Header=BB4_11271 Depth=3
	v_bfe_u32 v9, v10, 24, 7
	v_cmp_ne_u32_e32 vcc, s68, v9
	v_mov_b32_e32 v8, 0x7f800001
	s_and_saveexec_b64 s[38:39], vcc
	s_cbranch_execz .LBB4_11525
; %bb.11524:                            ;   in Loop: Header=BB4_11271 Depth=3
	v_and_b32_e32 v17, 7, v2
	v_ffbh_u32_e32 v8, v17
	v_min_u32_e32 v23, 32, v8
	v_subrev_u32_e32 v8, 28, v23
	v_lshrrev_b32_e32 v22, 3, v9
	v_cmp_gt_u32_e32 vcc, 8, v9
	v_lshlrev_b64 v[8:9], v8, v[2:3]
	v_sub_u32_e32 v9, 29, v23
	v_and_b32_e32 v8, 7, v8
	v_cndmask_b32_e32 v9, v22, v9, vcc
	v_cndmask_b32_e32 v8, v17, v8, vcc
	v_lshlrev_b32_e32 v2, 24, v2
	v_lshlrev_b32_e32 v8, 20, v8
	v_and_b32_e32 v2, 0x80000000, v2
	v_lshl_add_u32 v9, v9, 23, v5
	v_or3_b32 v8, v2, v9, v8
.LBB4_11525:                            ;   in Loop: Header=BB4_11271 Depth=3
	s_or_b64 exec, exec, s[38:39]
.LBB4_11526:                            ;   in Loop: Header=BB4_11271 Depth=3
	s_or_b64 exec, exec, s[36:37]
.LBB4_11527:                            ;   in Loop: Header=BB4_11271 Depth=3
	s_or_b64 exec, exec, s[40:41]
	v_mul_f32_e32 v8, v21, v8
	v_and_b32_e32 v2, 0x7f800000, v8
	v_cmp_ne_u64_e32 vcc, s[62:63], v[2:3]
                                        ; implicit-def: $vgpr37
	s_and_saveexec_b64 s[40:41], vcc
	s_xor_b64 s[36:37], exec, s[40:41]
	s_cbranch_execz .LBB4_11541
; %bb.11528:                            ;   in Loop: Header=BB4_11271 Depth=3
	v_and_b32_e32 v2, 0x7fffffff, v8
	v_cmp_gt_u64_e32 vcc, s[72:73], v[2:3]
	v_and_b32_sdwa v17, v8, s70 dst_sel:DWORD dst_unused:UNUSED_PAD src0_sel:BYTE_3 src1_sel:DWORD
                                        ; implicit-def: $vgpr37
	s_and_saveexec_b64 s[40:41], vcc
	s_xor_b64 s[38:39], exec, s[40:41]
	s_cbranch_execz .LBB4_11538
; %bb.11529:                            ;   in Loop: Header=BB4_11271 Depth=3
	v_mov_b32_e32 v37, 0
	v_cmp_ne_u32_e32 vcc, 0, v8
	s_and_saveexec_b64 s[48:49], vcc
	s_cbranch_execz .LBB4_11537
; %bb.11530:                            ;   in Loop: Header=BB4_11271 Depth=3
	v_bfe_u32 v25, v8, 23, 8
	v_and_b32_e32 v2, 0x7fffff, v8
	v_cmp_gt_u32_e64 s[40:41], s71, v25
	v_sub_u32_e32 v8, 0x79, v25
	v_cmp_eq_u32_e32 vcc, 0, v25
	v_cndmask_b32_e64 v8, 0, v8, s[40:41]
	v_mov_b32_e32 v22, 0x78
	v_cndmask_b32_e32 v27, v8, v22, vcc
	v_or_b32_e32 v9, 0x800000, v2
	v_add_u32_e32 v8, 20, v27
	v_cndmask_b32_e32 v2, v9, v2, vcc
	v_lshlrev_b64 v[8:9], v8, -1
	v_add_u32_e32 v22, 19, v27
	v_lshlrev_b64 v[30:31], v22, 1
	v_bfi_b32 v9, v9, 0, 0
	v_bfi_b32 v8, v8, 0, v2
	v_cmp_eq_u64_e64 s[40:41], v[8:9], v[30:31]
	v_lshrrev_b64 v[8:9], v27, v[2:3]
	v_mov_b32_e32 v45, v9
	v_mov_b32_e32 v44, v8
	s_and_saveexec_b64 s[50:51], s[40:41]
; %bb.11531:                            ;   in Loop: Header=BB4_11271 Depth=3
	v_bfe_u32 v2, v8, 20, 1
	v_add_co_u32_e64 v2, s[40:41], v8, v2
	v_add_co_u32_e64 v44, s[40:41], -1, v2
; %bb.11532:                            ;   in Loop: Header=BB4_11271 Depth=3
	s_or_b64 exec, exec, s[50:51]
	v_add_u32_e32 v2, 0xffffff81, v25
	v_mov_b32_e32 v9, 0xffffff82
	v_cndmask_b32_e32 v2, v2, v9, vcc
	v_lshrrev_b32_e32 v9, 23, v8
	v_add3_u32 v30, v27, v2, v9
	v_add_u32_e32 v27, 6, v30
	v_and_b32_e32 v2, 0xfffff, v44
	v_add_u32_e32 v2, v2, v8
	v_cmp_ne_u32_e32 vcc, 0, v27
                                        ; implicit-def: $vgpr8_vgpr9
                                        ; implicit-def: $vgpr25
	s_and_saveexec_b64 s[40:41], vcc
	s_xor_b64 s[40:41], exec, s[40:41]
; %bb.11533:                            ;   in Loop: Header=BB4_11271 Depth=3
	v_cmp_lt_u64_e32 vcc, s[74:75], v[2:3]
	v_add_u32_e32 v8, 7, v30
	v_cndmask_b32_e32 v25, v27, v8, vcc
	v_cndmask_b32_e64 v8, 0, 1, vcc
	v_lshrrev_b64 v[8:9], v8, v[2:3]
; %bb.11534:                            ;   in Loop: Header=BB4_11271 Depth=3
	s_andn2_saveexec_b64 s[40:41], s[40:41]
; %bb.11535:                            ;   in Loop: Header=BB4_11271 Depth=3
	v_mov_b32_e32 v9, v3
	v_mov_b32_e32 v8, v2
	v_bfe_u32 v25, v2, 23, 1
; %bb.11536:                            ;   in Loop: Header=BB4_11271 Depth=3
	s_or_b64 exec, exec, s[40:41]
	v_lshrrev_b64 v[8:9], 20, v[8:9]
	v_cmp_gt_i32_e32 vcc, 16, v25
	v_cndmask_b32_e32 v9, 0, v9, vcc
	v_cndmask_b32_e32 v8, 7, v8, vcc
	v_min_i32_e32 v2, 15, v25
	v_cmp_eq_u64_e64 s[40:41], 0, v[8:9]
	v_lshlrev_b32_e32 v2, 3, v2
	v_cmp_eq_u32_e32 vcc, 0, v25
	v_and_b32_e32 v2, 0xf8, v2
	v_and_or_b32 v2, v8, 7, v2
	s_and_b64 s[40:41], vcc, s[40:41]
	v_cndmask_b32_e64 v2, v2, 0, s[40:41]
	v_or_b32_e32 v37, v2, v17
.LBB4_11537:                            ;   in Loop: Header=BB4_11271 Depth=3
	s_or_b64 exec, exec, s[48:49]
                                        ; implicit-def: $vgpr17
.LBB4_11538:                            ;   in Loop: Header=BB4_11271 Depth=3
	s_andn2_saveexec_b64 s[40:41], s[38:39]
; %bb.11539:                            ;   in Loop: Header=BB4_11271 Depth=3
	v_or_b32_e32 v37, 0x7e, v17
; %bb.11540:                            ;   in Loop: Header=BB4_11271 Depth=3
	s_or_b64 exec, exec, s[40:41]
                                        ; implicit-def: $vgpr8
.LBB4_11541:                            ;   in Loop: Header=BB4_11271 Depth=3
	s_andn2_saveexec_b64 s[40:41], s[36:37]
; %bb.11542:                            ;   in Loop: Header=BB4_11271 Depth=3
	v_or_b32_sdwa v37, v8, s68 dst_sel:DWORD dst_unused:UNUSED_PAD src0_sel:BYTE_3 src1_sel:DWORD
; %bb.11543:                            ;   in Loop: Header=BB4_11271 Depth=3
	s_or_b64 exec, exec, s[40:41]
	v_mov_b32_e32 v2, v11
	v_cmp_ne_u16_sdwa vcc, v11, v3 src0_sel:BYTE_0 src1_sel:DWORD
	v_mov_b32_e32 v8, 0
	s_and_saveexec_b64 s[40:41], vcc
	s_cbranch_execz .LBB4_11549
; %bb.11544:                            ;   in Loop: Header=BB4_11271 Depth=3
	v_cmp_ne_u16_sdwa vcc, v11, s70 src0_sel:BYTE_0 src1_sel:DWORD
	v_bfrev_b32_e32 v8, 1
	s_and_saveexec_b64 s[36:37], vcc
	s_cbranch_execz .LBB4_11548
; %bb.11545:                            ;   in Loop: Header=BB4_11271 Depth=3
	v_and_b32_e32 v9, 0x7f, v11
	v_cmp_ne_u32_e32 vcc, s68, v9
	v_mov_b32_e32 v8, 0x7f800001
	s_and_saveexec_b64 s[38:39], vcc
	s_cbranch_execz .LBB4_11547
; %bb.11546:                            ;   in Loop: Header=BB4_11271 Depth=3
	v_and_b32_e32 v8, 7, v11
	v_ffbh_u32_e32 v8, v8
	v_min_u32_e32 v8, 32, v8
	v_lshrrev_b32_e32 v17, 3, v9
	v_cmp_gt_u32_e32 vcc, 8, v9
	v_subrev_u32_e32 v9, 28, v8
	v_sub_u32_e32 v8, 29, v8
	v_cndmask_b32_e32 v17, v17, v8, vcc
	v_cndmask_b32_e32 v8, 0, v9, vcc
	v_lshlrev_b64 v[8:9], v8, v[2:3]
	v_lshlrev_b32_e32 v9, 24, v2
	v_lshlrev_b32_e32 v8, 20, v8
	v_and_b32_e32 v8, 0x700000, v8
	v_and_b32_e32 v9, 0x80000000, v9
	v_lshl_add_u32 v17, v17, 23, v5
	v_or3_b32 v8, v9, v17, v8
.LBB4_11547:                            ;   in Loop: Header=BB4_11271 Depth=3
	s_or_b64 exec, exec, s[38:39]
.LBB4_11548:                            ;   in Loop: Header=BB4_11271 Depth=3
	s_or_b64 exec, exec, s[36:37]
.LBB4_11549:                            ;   in Loop: Header=BB4_11271 Depth=3
	s_or_b64 exec, exec, s[40:41]
	v_mul_f32_e32 v8, v21, v8
	v_and_b32_e32 v30, 0x7f800000, v8
	v_mov_b32_e32 v31, v3
	v_cmp_ne_u64_e32 vcc, s[62:63], v[30:31]
                                        ; implicit-def: $vgpr17
	s_and_saveexec_b64 s[40:41], vcc
	s_xor_b64 s[36:37], exec, s[40:41]
	s_cbranch_execz .LBB4_11563
; %bb.11550:                            ;   in Loop: Header=BB4_11271 Depth=3
	v_and_b32_e32 v30, 0x7fffffff, v8
	v_mov_b32_e32 v31, v3
	v_cmp_gt_u64_e32 vcc, s[72:73], v[30:31]
	v_and_b32_sdwa v25, v8, s70 dst_sel:DWORD dst_unused:UNUSED_PAD src0_sel:BYTE_3 src1_sel:DWORD
                                        ; implicit-def: $vgpr17
	s_and_saveexec_b64 s[40:41], vcc
	s_xor_b64 s[38:39], exec, s[40:41]
	s_cbranch_execz .LBB4_11560
; %bb.11551:                            ;   in Loop: Header=BB4_11271 Depth=3
	v_mov_b32_e32 v17, 0
	v_cmp_ne_u32_e32 vcc, 0, v8
	s_and_saveexec_b64 s[48:49], vcc
	s_cbranch_execz .LBB4_11559
; %bb.11552:                            ;   in Loop: Header=BB4_11271 Depth=3
	v_bfe_u32 v17, v8, 23, 8
	v_and_b32_e32 v9, 0x7fffff, v8
	v_cmp_gt_u32_e64 s[40:41], s71, v17
	v_sub_u32_e32 v8, 0x79, v17
	v_cmp_eq_u32_e32 vcc, 0, v17
	v_cndmask_b32_e64 v8, 0, v8, s[40:41]
	v_mov_b32_e32 v23, 0x78
	v_or_b32_e32 v22, 0x800000, v9
	v_cndmask_b32_e32 v27, v8, v23, vcc
	v_cndmask_b32_e32 v8, v22, v9, vcc
	v_add_u32_e32 v22, 20, v27
	v_lshlrev_b64 v[30:31], v22, -1
	v_mov_b32_e32 v9, v3
	v_add_u32_e32 v22, 19, v27
	v_bfi_b32 v30, v30, 0, v8
	v_lshlrev_b64 v[49:50], v22, 1
	v_lshrrev_b64 v[8:9], v27, v[8:9]
	v_bfi_b32 v31, v31, 0, 0
	v_cmp_eq_u64_e64 s[40:41], v[30:31], v[49:50]
	v_mov_b32_e32 v45, v9
	v_mov_b32_e32 v44, v8
	s_and_saveexec_b64 s[50:51], s[40:41]
; %bb.11553:                            ;   in Loop: Header=BB4_11271 Depth=3
	v_bfe_u32 v9, v8, 20, 1
	v_add_co_u32_e64 v9, s[40:41], v8, v9
	v_add_co_u32_e64 v44, s[40:41], -1, v9
; %bb.11554:                            ;   in Loop: Header=BB4_11271 Depth=3
	s_or_b64 exec, exec, s[50:51]
	v_add_u32_e32 v9, 0xffffff81, v17
	v_mov_b32_e32 v17, 0xffffff82
	v_cndmask_b32_e32 v9, v9, v17, vcc
	v_lshrrev_b32_e32 v17, 23, v8
	v_add3_u32 v30, v27, v9, v17
	v_add_u32_e32 v27, 6, v30
	v_and_b32_e32 v9, 0xfffff, v44
	v_add_u32_e32 v8, v9, v8
	v_mov_b32_e32 v9, v3
	v_cmp_ne_u32_e32 vcc, 0, v27
                                        ; implicit-def: $vgpr17
	s_and_saveexec_b64 s[40:41], vcc
	s_xor_b64 s[40:41], exec, s[40:41]
; %bb.11555:                            ;   in Loop: Header=BB4_11271 Depth=3
	v_cmp_lt_u64_e32 vcc, s[74:75], v[8:9]
	v_add_u32_e32 v17, 7, v30
	v_cndmask_b32_e64 v22, 0, 1, vcc
	v_cndmask_b32_e32 v17, v27, v17, vcc
	v_lshrrev_b64 v[8:9], v22, v[8:9]
; %bb.11556:                            ;   in Loop: Header=BB4_11271 Depth=3
	s_andn2_saveexec_b64 s[40:41], s[40:41]
; %bb.11557:                            ;   in Loop: Header=BB4_11271 Depth=3
	v_bfe_u32 v17, v8, 23, 1
; %bb.11558:                            ;   in Loop: Header=BB4_11271 Depth=3
	s_or_b64 exec, exec, s[40:41]
	v_lshrrev_b64 v[8:9], 20, v[8:9]
	v_cmp_gt_i32_e32 vcc, 16, v17
	v_cndmask_b32_e32 v9, 0, v9, vcc
	v_cndmask_b32_e32 v8, 7, v8, vcc
	v_cmp_eq_u64_e64 s[40:41], 0, v[8:9]
	v_min_i32_e32 v9, 15, v17
	v_lshlrev_b32_e32 v9, 3, v9
	v_cmp_eq_u32_e32 vcc, 0, v17
	v_and_b32_e32 v9, 0xf8, v9
	v_and_or_b32 v8, v8, 7, v9
	s_and_b64 s[40:41], vcc, s[40:41]
	v_cndmask_b32_e64 v8, v8, 0, s[40:41]
	v_or_b32_e32 v17, v8, v25
.LBB4_11559:                            ;   in Loop: Header=BB4_11271 Depth=3
	s_or_b64 exec, exec, s[48:49]
                                        ; implicit-def: $vgpr25
.LBB4_11560:                            ;   in Loop: Header=BB4_11271 Depth=3
	s_andn2_saveexec_b64 s[40:41], s[38:39]
; %bb.11561:                            ;   in Loop: Header=BB4_11271 Depth=3
	v_or_b32_e32 v17, 0x7e, v25
; %bb.11562:                            ;   in Loop: Header=BB4_11271 Depth=3
	s_or_b64 exec, exec, s[40:41]
                                        ; implicit-def: $vgpr8
.LBB4_11563:                            ;   in Loop: Header=BB4_11271 Depth=3
	s_andn2_saveexec_b64 s[40:41], s[36:37]
; %bb.11564:                            ;   in Loop: Header=BB4_11271 Depth=3
	v_or_b32_sdwa v17, v8, s68 dst_sel:DWORD dst_unused:UNUSED_PAD src0_sel:BYTE_3 src1_sel:DWORD
; %bb.11565:                            ;   in Loop: Header=BB4_11271 Depth=3
	s_or_b64 exec, exec, s[40:41]
	v_lshrrev_b16_e32 v8, 8, v2
	v_cmp_ne_u16_e32 vcc, 0, v8
	v_mov_b32_e32 v9, 0
	s_and_saveexec_b64 s[40:41], vcc
	s_cbranch_execz .LBB4_11571
; %bb.11566:                            ;   in Loop: Header=BB4_11271 Depth=3
	v_cmp_ne_u16_e32 vcc, s70, v8
	v_bfrev_b32_e32 v9, 1
	s_and_saveexec_b64 s[36:37], vcc
	s_cbranch_execz .LBB4_11570
; %bb.11567:                            ;   in Loop: Header=BB4_11271 Depth=3
	v_and_b32_e32 v25, 0x7f, v8
	v_cmp_ne_u32_e32 vcc, s68, v25
	v_mov_b32_e32 v9, 0x7f800001
	s_and_saveexec_b64 s[38:39], vcc
	s_cbranch_execz .LBB4_11569
; %bb.11568:                            ;   in Loop: Header=BB4_11271 Depth=3
	v_and_b32_e32 v22, 7, v8
	v_ffbh_u32_e32 v9, v22
	v_lshrrev_b32_e32 v23, 3, v25
	v_cmp_gt_u32_e32 vcc, 8, v25
	v_min_u32_e32 v25, 32, v9
	v_subrev_u32_e32 v9, 28, v25
	v_lshlrev_b64 v[8:9], v9, v[8:9]
	v_sub_u32_e32 v9, 29, v25
	v_and_b32_e32 v8, 7, v8
	v_cndmask_b32_e32 v9, v23, v9, vcc
	v_cndmask_b32_e32 v8, v22, v8, vcc
	v_lshlrev_b32_e32 v2, 16, v2
	v_lshlrev_b32_e32 v8, 20, v8
	v_and_b32_e32 v2, 0x80000000, v2
	v_lshl_add_u32 v9, v9, 23, v5
	v_or3_b32 v9, v2, v9, v8
.LBB4_11569:                            ;   in Loop: Header=BB4_11271 Depth=3
	s_or_b64 exec, exec, s[38:39]
.LBB4_11570:                            ;   in Loop: Header=BB4_11271 Depth=3
	s_or_b64 exec, exec, s[36:37]
.LBB4_11571:                            ;   in Loop: Header=BB4_11271 Depth=3
	s_or_b64 exec, exec, s[40:41]
	v_mul_f32_e32 v8, v21, v9
	v_and_b32_e32 v2, 0x7f800000, v8
	v_cmp_ne_u64_e32 vcc, s[62:63], v[2:3]
                                        ; implicit-def: $vgpr25
	s_and_saveexec_b64 s[40:41], vcc
	s_xor_b64 s[36:37], exec, s[40:41]
	s_cbranch_execz .LBB4_11585
; %bb.11572:                            ;   in Loop: Header=BB4_11271 Depth=3
	v_and_b32_e32 v2, 0x7fffffff, v8
	v_cmp_gt_u64_e32 vcc, s[72:73], v[2:3]
	v_and_b32_sdwa v27, v8, s70 dst_sel:DWORD dst_unused:UNUSED_PAD src0_sel:BYTE_3 src1_sel:DWORD
                                        ; implicit-def: $vgpr25
	s_and_saveexec_b64 s[40:41], vcc
	s_xor_b64 s[38:39], exec, s[40:41]
	s_cbranch_execz .LBB4_11582
; %bb.11573:                            ;   in Loop: Header=BB4_11271 Depth=3
	v_mov_b32_e32 v25, 0
	v_cmp_ne_u32_e32 vcc, 0, v8
	s_and_saveexec_b64 s[48:49], vcc
	s_cbranch_execz .LBB4_11581
; %bb.11574:                            ;   in Loop: Header=BB4_11271 Depth=3
	v_bfe_u32 v25, v8, 23, 8
	v_and_b32_e32 v2, 0x7fffff, v8
	v_cmp_gt_u32_e64 s[40:41], s71, v25
	v_sub_u32_e32 v8, 0x79, v25
	v_cmp_eq_u32_e32 vcc, 0, v25
	v_cndmask_b32_e64 v8, 0, v8, s[40:41]
	v_mov_b32_e32 v22, 0x78
	v_cndmask_b32_e32 v30, v8, v22, vcc
	v_or_b32_e32 v9, 0x800000, v2
	v_add_u32_e32 v8, 20, v30
	v_cndmask_b32_e32 v2, v9, v2, vcc
	v_lshlrev_b64 v[8:9], v8, -1
	v_add_u32_e32 v22, 19, v30
	v_lshlrev_b64 v[49:50], v22, 1
	v_bfi_b32 v9, v9, 0, 0
	v_bfi_b32 v8, v8, 0, v2
	v_cmp_eq_u64_e64 s[40:41], v[8:9], v[49:50]
	v_lshrrev_b64 v[8:9], v30, v[2:3]
	v_mov_b32_e32 v45, v9
	v_mov_b32_e32 v44, v8
	s_and_saveexec_b64 s[50:51], s[40:41]
; %bb.11575:                            ;   in Loop: Header=BB4_11271 Depth=3
	v_bfe_u32 v2, v8, 20, 1
	v_add_co_u32_e64 v2, s[40:41], v8, v2
	v_add_co_u32_e64 v44, s[40:41], -1, v2
; %bb.11576:                            ;   in Loop: Header=BB4_11271 Depth=3
	s_or_b64 exec, exec, s[50:51]
	v_add_u32_e32 v2, 0xffffff81, v25
	v_mov_b32_e32 v9, 0xffffff82
	v_cndmask_b32_e32 v2, v2, v9, vcc
	v_lshrrev_b32_e32 v9, 23, v8
	v_add3_u32 v31, v30, v2, v9
	v_add_u32_e32 v30, 6, v31
	v_and_b32_e32 v2, 0xfffff, v44
	v_add_u32_e32 v2, v2, v8
	v_cmp_ne_u32_e32 vcc, 0, v30
                                        ; implicit-def: $vgpr8_vgpr9
                                        ; implicit-def: $vgpr25
	s_and_saveexec_b64 s[40:41], vcc
	s_xor_b64 s[40:41], exec, s[40:41]
; %bb.11577:                            ;   in Loop: Header=BB4_11271 Depth=3
	v_cmp_lt_u64_e32 vcc, s[74:75], v[2:3]
	v_add_u32_e32 v8, 7, v31
	v_cndmask_b32_e32 v25, v30, v8, vcc
	v_cndmask_b32_e64 v8, 0, 1, vcc
	v_lshrrev_b64 v[8:9], v8, v[2:3]
; %bb.11578:                            ;   in Loop: Header=BB4_11271 Depth=3
	s_andn2_saveexec_b64 s[40:41], s[40:41]
; %bb.11579:                            ;   in Loop: Header=BB4_11271 Depth=3
	v_mov_b32_e32 v9, v3
	v_mov_b32_e32 v8, v2
	v_bfe_u32 v25, v2, 23, 1
; %bb.11580:                            ;   in Loop: Header=BB4_11271 Depth=3
	s_or_b64 exec, exec, s[40:41]
	v_lshrrev_b64 v[8:9], 20, v[8:9]
	v_cmp_gt_i32_e32 vcc, 16, v25
	v_cndmask_b32_e32 v9, 0, v9, vcc
	v_cndmask_b32_e32 v8, 7, v8, vcc
	v_min_i32_e32 v2, 15, v25
	v_cmp_eq_u64_e64 s[40:41], 0, v[8:9]
	v_lshlrev_b32_e32 v2, 3, v2
	v_cmp_eq_u32_e32 vcc, 0, v25
	v_and_b32_e32 v2, 0xf8, v2
	v_and_or_b32 v2, v8, 7, v2
	s_and_b64 s[40:41], vcc, s[40:41]
	v_cndmask_b32_e64 v2, v2, 0, s[40:41]
	v_or_b32_e32 v25, v2, v27
.LBB4_11581:                            ;   in Loop: Header=BB4_11271 Depth=3
	s_or_b64 exec, exec, s[48:49]
                                        ; implicit-def: $vgpr27
.LBB4_11582:                            ;   in Loop: Header=BB4_11271 Depth=3
	s_andn2_saveexec_b64 s[40:41], s[38:39]
; %bb.11583:                            ;   in Loop: Header=BB4_11271 Depth=3
	v_or_b32_e32 v25, 0x7e, v27
; %bb.11584:                            ;   in Loop: Header=BB4_11271 Depth=3
	s_or_b64 exec, exec, s[40:41]
                                        ; implicit-def: $vgpr8
.LBB4_11585:                            ;   in Loop: Header=BB4_11271 Depth=3
	s_andn2_saveexec_b64 s[40:41], s[36:37]
; %bb.11586:                            ;   in Loop: Header=BB4_11271 Depth=3
	v_or_b32_sdwa v25, v8, s68 dst_sel:DWORD dst_unused:UNUSED_PAD src0_sel:BYTE_3 src1_sel:DWORD
; %bb.11587:                            ;   in Loop: Header=BB4_11271 Depth=3
	s_or_b64 exec, exec, s[40:41]
	v_lshrrev_b32_e32 v2, 16, v11
	v_cmp_ne_u16_sdwa vcc, v2, v3 src0_sel:BYTE_0 src1_sel:DWORD
	v_mov_b32_e32 v8, 0
	s_and_saveexec_b64 s[40:41], vcc
	s_cbranch_execz .LBB4_11593
; %bb.11588:                            ;   in Loop: Header=BB4_11271 Depth=3
	v_cmp_ne_u16_sdwa vcc, v2, s70 src0_sel:BYTE_0 src1_sel:DWORD
	v_bfrev_b32_e32 v8, 1
	s_and_saveexec_b64 s[36:37], vcc
	s_cbranch_execz .LBB4_11592
; %bb.11589:                            ;   in Loop: Header=BB4_11271 Depth=3
	v_bfe_u32 v9, v11, 16, 7
	v_cmp_ne_u32_e32 vcc, s68, v9
	v_mov_b32_e32 v8, 0x7f800001
	s_and_saveexec_b64 s[38:39], vcc
	s_cbranch_execz .LBB4_11591
; %bb.11590:                            ;   in Loop: Header=BB4_11271 Depth=3
	v_and_b32_e32 v22, 7, v2
	v_ffbh_u32_e32 v8, v22
	v_min_u32_e32 v27, 32, v8
	v_subrev_u32_e32 v8, 28, v27
	v_lshrrev_b32_e32 v23, 3, v9
	v_cmp_gt_u32_e32 vcc, 8, v9
	v_lshlrev_b64 v[8:9], v8, v[2:3]
	v_sub_u32_e32 v9, 29, v27
	v_and_b32_e32 v8, 7, v8
	v_cndmask_b32_e32 v9, v23, v9, vcc
	v_cndmask_b32_e32 v8, v22, v8, vcc
	v_lshlrev_b32_e32 v2, 24, v2
	v_lshlrev_b32_e32 v8, 20, v8
	v_and_b32_e32 v2, 0x80000000, v2
	v_lshl_add_u32 v9, v9, 23, v5
	v_or3_b32 v8, v2, v9, v8
.LBB4_11591:                            ;   in Loop: Header=BB4_11271 Depth=3
	s_or_b64 exec, exec, s[38:39]
.LBB4_11592:                            ;   in Loop: Header=BB4_11271 Depth=3
	s_or_b64 exec, exec, s[36:37]
.LBB4_11593:                            ;   in Loop: Header=BB4_11271 Depth=3
	s_or_b64 exec, exec, s[40:41]
	v_mul_f32_e32 v8, v21, v8
	v_and_b32_e32 v2, 0x7f800000, v8
	v_cmp_ne_u64_e32 vcc, s[62:63], v[2:3]
                                        ; implicit-def: $vgpr27
	s_and_saveexec_b64 s[40:41], vcc
	s_xor_b64 s[36:37], exec, s[40:41]
	s_cbranch_execz .LBB4_11607
; %bb.11594:                            ;   in Loop: Header=BB4_11271 Depth=3
	v_and_b32_e32 v2, 0x7fffffff, v8
	v_cmp_gt_u64_e32 vcc, s[72:73], v[2:3]
	v_and_b32_sdwa v30, v8, s70 dst_sel:DWORD dst_unused:UNUSED_PAD src0_sel:BYTE_3 src1_sel:DWORD
                                        ; implicit-def: $vgpr27
	s_and_saveexec_b64 s[40:41], vcc
	s_xor_b64 s[38:39], exec, s[40:41]
	s_cbranch_execz .LBB4_11604
; %bb.11595:                            ;   in Loop: Header=BB4_11271 Depth=3
	v_mov_b32_e32 v27, 0
	v_cmp_ne_u32_e32 vcc, 0, v8
	s_and_saveexec_b64 s[48:49], vcc
	s_cbranch_execz .LBB4_11603
; %bb.11596:                            ;   in Loop: Header=BB4_11271 Depth=3
	v_bfe_u32 v27, v8, 23, 8
	v_and_b32_e32 v2, 0x7fffff, v8
	v_cmp_gt_u32_e64 s[40:41], s71, v27
	v_sub_u32_e32 v8, 0x79, v27
	v_cmp_eq_u32_e32 vcc, 0, v27
	v_cndmask_b32_e64 v8, 0, v8, s[40:41]
	v_mov_b32_e32 v22, 0x78
	v_cndmask_b32_e32 v31, v8, v22, vcc
	v_or_b32_e32 v9, 0x800000, v2
	v_add_u32_e32 v8, 20, v31
	v_cndmask_b32_e32 v2, v9, v2, vcc
	v_lshlrev_b64 v[8:9], v8, -1
	v_add_u32_e32 v22, 19, v31
	v_lshlrev_b64 v[49:50], v22, 1
	v_bfi_b32 v9, v9, 0, 0
	v_bfi_b32 v8, v8, 0, v2
	v_cmp_eq_u64_e64 s[40:41], v[8:9], v[49:50]
	v_lshrrev_b64 v[8:9], v31, v[2:3]
	v_mov_b32_e32 v45, v9
	v_mov_b32_e32 v44, v8
	s_and_saveexec_b64 s[50:51], s[40:41]
; %bb.11597:                            ;   in Loop: Header=BB4_11271 Depth=3
	v_bfe_u32 v2, v8, 20, 1
	v_add_co_u32_e64 v2, s[40:41], v8, v2
	v_add_co_u32_e64 v44, s[40:41], -1, v2
; %bb.11598:                            ;   in Loop: Header=BB4_11271 Depth=3
	s_or_b64 exec, exec, s[50:51]
	v_add_u32_e32 v2, 0xffffff81, v27
	v_mov_b32_e32 v9, 0xffffff82
	v_cndmask_b32_e32 v2, v2, v9, vcc
	v_lshrrev_b32_e32 v9, 23, v8
	v_add3_u32 v49, v31, v2, v9
	v_add_u32_e32 v31, 6, v49
	v_and_b32_e32 v2, 0xfffff, v44
	v_add_u32_e32 v2, v2, v8
	v_cmp_ne_u32_e32 vcc, 0, v31
                                        ; implicit-def: $vgpr8_vgpr9
                                        ; implicit-def: $vgpr27
	s_and_saveexec_b64 s[40:41], vcc
	s_xor_b64 s[40:41], exec, s[40:41]
; %bb.11599:                            ;   in Loop: Header=BB4_11271 Depth=3
	v_cmp_lt_u64_e32 vcc, s[74:75], v[2:3]
	v_add_u32_e32 v8, 7, v49
	v_cndmask_b32_e32 v27, v31, v8, vcc
	v_cndmask_b32_e64 v8, 0, 1, vcc
	v_lshrrev_b64 v[8:9], v8, v[2:3]
; %bb.11600:                            ;   in Loop: Header=BB4_11271 Depth=3
	s_andn2_saveexec_b64 s[40:41], s[40:41]
; %bb.11601:                            ;   in Loop: Header=BB4_11271 Depth=3
	v_mov_b32_e32 v9, v3
	v_mov_b32_e32 v8, v2
	v_bfe_u32 v27, v2, 23, 1
; %bb.11602:                            ;   in Loop: Header=BB4_11271 Depth=3
	s_or_b64 exec, exec, s[40:41]
	v_lshrrev_b64 v[8:9], 20, v[8:9]
	v_cmp_gt_i32_e32 vcc, 16, v27
	v_cndmask_b32_e32 v9, 0, v9, vcc
	v_cndmask_b32_e32 v8, 7, v8, vcc
	v_min_i32_e32 v2, 15, v27
	v_cmp_eq_u64_e64 s[40:41], 0, v[8:9]
	v_lshlrev_b32_e32 v2, 3, v2
	v_cmp_eq_u32_e32 vcc, 0, v27
	v_and_b32_e32 v2, 0xf8, v2
	v_and_or_b32 v2, v8, 7, v2
	s_and_b64 s[40:41], vcc, s[40:41]
	v_cndmask_b32_e64 v2, v2, 0, s[40:41]
	v_or_b32_e32 v27, v2, v30
.LBB4_11603:                            ;   in Loop: Header=BB4_11271 Depth=3
	s_or_b64 exec, exec, s[48:49]
                                        ; implicit-def: $vgpr30
.LBB4_11604:                            ;   in Loop: Header=BB4_11271 Depth=3
	s_andn2_saveexec_b64 s[40:41], s[38:39]
; %bb.11605:                            ;   in Loop: Header=BB4_11271 Depth=3
	v_or_b32_e32 v27, 0x7e, v30
; %bb.11606:                            ;   in Loop: Header=BB4_11271 Depth=3
	s_or_b64 exec, exec, s[40:41]
                                        ; implicit-def: $vgpr8
.LBB4_11607:                            ;   in Loop: Header=BB4_11271 Depth=3
	s_andn2_saveexec_b64 s[40:41], s[36:37]
; %bb.11608:                            ;   in Loop: Header=BB4_11271 Depth=3
	v_or_b32_sdwa v27, v8, s68 dst_sel:DWORD dst_unused:UNUSED_PAD src0_sel:BYTE_3 src1_sel:DWORD
; %bb.11609:                            ;   in Loop: Header=BB4_11271 Depth=3
	s_or_b64 exec, exec, s[40:41]
	v_cmp_lt_u64_e32 vcc, s[56:57], v[10:11]
	v_mov_b32_e32 v8, 0
	s_and_saveexec_b64 s[40:41], vcc
	s_cbranch_execz .LBB4_11615
; %bb.11610:                            ;   in Loop: Header=BB4_11271 Depth=3
	v_lshrrev_b32_e32 v2, 24, v11
	v_cmp_ne_u32_e32 vcc, s70, v2
	v_bfrev_b32_e32 v8, 1
	s_and_saveexec_b64 s[36:37], vcc
	s_cbranch_execz .LBB4_11614
; %bb.11611:                            ;   in Loop: Header=BB4_11271 Depth=3
	v_bfe_u32 v9, v11, 24, 7
	v_cmp_ne_u32_e32 vcc, s68, v9
	v_mov_b32_e32 v8, 0x7f800001
	s_and_saveexec_b64 s[38:39], vcc
	s_cbranch_execz .LBB4_11613
; %bb.11612:                            ;   in Loop: Header=BB4_11271 Depth=3
	v_and_b32_e32 v10, 7, v2
	v_ffbh_u32_e32 v8, v10
	v_min_u32_e32 v22, 32, v8
	v_subrev_u32_e32 v8, 28, v22
	v_lshrrev_b32_e32 v11, 3, v9
	v_cmp_gt_u32_e32 vcc, 8, v9
	v_lshlrev_b64 v[8:9], v8, v[2:3]
	v_sub_u32_e32 v9, 29, v22
	v_and_b32_e32 v8, 7, v8
	v_cndmask_b32_e32 v9, v11, v9, vcc
	v_cndmask_b32_e32 v8, v10, v8, vcc
	v_lshlrev_b32_e32 v2, 24, v2
	v_lshlrev_b32_e32 v8, 20, v8
	v_and_b32_e32 v2, 0x80000000, v2
	v_lshl_add_u32 v9, v9, 23, v5
	v_or3_b32 v8, v2, v9, v8
.LBB4_11613:                            ;   in Loop: Header=BB4_11271 Depth=3
	s_or_b64 exec, exec, s[38:39]
.LBB4_11614:                            ;   in Loop: Header=BB4_11271 Depth=3
	s_or_b64 exec, exec, s[36:37]
.LBB4_11615:                            ;   in Loop: Header=BB4_11271 Depth=3
	s_or_b64 exec, exec, s[40:41]
	v_mul_f32_e32 v8, v21, v8
	v_and_b32_e32 v2, 0x7f800000, v8
	v_cmp_ne_u64_e32 vcc, s[62:63], v[2:3]
                                        ; implicit-def: $vgpr31
	s_and_saveexec_b64 s[40:41], vcc
	s_xor_b64 s[36:37], exec, s[40:41]
	s_cbranch_execz .LBB4_11629
; %bb.11616:                            ;   in Loop: Header=BB4_11271 Depth=3
	v_and_b32_e32 v2, 0x7fffffff, v8
	v_cmp_gt_u64_e32 vcc, s[72:73], v[2:3]
	v_and_b32_sdwa v11, v8, s70 dst_sel:DWORD dst_unused:UNUSED_PAD src0_sel:BYTE_3 src1_sel:DWORD
                                        ; implicit-def: $vgpr31
	s_and_saveexec_b64 s[40:41], vcc
	s_xor_b64 s[38:39], exec, s[40:41]
	s_cbranch_execz .LBB4_11626
; %bb.11617:                            ;   in Loop: Header=BB4_11271 Depth=3
	v_mov_b32_e32 v31, 0
	v_cmp_ne_u32_e32 vcc, 0, v8
	s_and_saveexec_b64 s[48:49], vcc
	s_cbranch_execz .LBB4_11625
; %bb.11618:                            ;   in Loop: Header=BB4_11271 Depth=3
	v_bfe_u32 v21, v8, 23, 8
	v_and_b32_e32 v2, 0x7fffff, v8
	v_cmp_gt_u32_e64 s[40:41], s71, v21
	v_sub_u32_e32 v8, 0x79, v21
	v_cmp_eq_u32_e32 vcc, 0, v21
	v_cndmask_b32_e64 v8, 0, v8, s[40:41]
	v_mov_b32_e32 v10, 0x78
	v_cndmask_b32_e32 v30, v8, v10, vcc
	v_or_b32_e32 v9, 0x800000, v2
	v_add_u32_e32 v8, 20, v30
	v_cndmask_b32_e32 v2, v9, v2, vcc
	v_lshlrev_b64 v[8:9], v8, -1
	v_add_u32_e32 v10, 19, v30
	v_lshlrev_b64 v[49:50], v10, 1
	v_bfi_b32 v9, v9, 0, 0
	v_bfi_b32 v8, v8, 0, v2
	v_cmp_eq_u64_e64 s[40:41], v[8:9], v[49:50]
	v_lshrrev_b64 v[8:9], v30, v[2:3]
	v_mov_b32_e32 v10, v9
	v_mov_b32_e32 v9, v8
	s_and_saveexec_b64 s[50:51], s[40:41]
; %bb.11619:                            ;   in Loop: Header=BB4_11271 Depth=3
	v_bfe_u32 v2, v8, 20, 1
	v_add_co_u32_e64 v2, s[40:41], v8, v2
	v_add_co_u32_e64 v9, s[40:41], -1, v2
; %bb.11620:                            ;   in Loop: Header=BB4_11271 Depth=3
	s_or_b64 exec, exec, s[50:51]
	v_add_u32_e32 v2, 0xffffff81, v21
	v_mov_b32_e32 v10, 0xffffff82
	v_cndmask_b32_e32 v2, v2, v10, vcc
	v_lshrrev_b32_e32 v10, 23, v8
	v_add3_u32 v30, v30, v2, v10
	v_add_u32_e32 v21, 6, v30
	v_and_b32_e32 v2, 0xfffff, v9
	v_add_u32_e32 v2, v2, v8
	v_cmp_ne_u32_e32 vcc, 0, v21
                                        ; implicit-def: $vgpr8_vgpr9
                                        ; implicit-def: $vgpr10
	s_and_saveexec_b64 s[40:41], vcc
	s_xor_b64 s[40:41], exec, s[40:41]
; %bb.11621:                            ;   in Loop: Header=BB4_11271 Depth=3
	v_cmp_lt_u64_e32 vcc, s[74:75], v[2:3]
	v_add_u32_e32 v8, 7, v30
	v_cndmask_b32_e32 v10, v21, v8, vcc
	v_cndmask_b32_e64 v8, 0, 1, vcc
	v_lshrrev_b64 v[8:9], v8, v[2:3]
; %bb.11622:                            ;   in Loop: Header=BB4_11271 Depth=3
	s_andn2_saveexec_b64 s[40:41], s[40:41]
; %bb.11623:                            ;   in Loop: Header=BB4_11271 Depth=3
	v_mov_b32_e32 v9, v3
	v_mov_b32_e32 v8, v2
	v_bfe_u32 v10, v2, 23, 1
; %bb.11624:                            ;   in Loop: Header=BB4_11271 Depth=3
	s_or_b64 exec, exec, s[40:41]
	v_lshrrev_b64 v[8:9], 20, v[8:9]
	v_cmp_gt_i32_e32 vcc, 16, v10
	v_cndmask_b32_e32 v9, 0, v9, vcc
	v_cndmask_b32_e32 v8, 7, v8, vcc
	v_min_i32_e32 v2, 15, v10
	v_cmp_eq_u64_e64 s[40:41], 0, v[8:9]
	v_lshlrev_b32_e32 v2, 3, v2
	v_cmp_eq_u32_e32 vcc, 0, v10
	v_and_b32_e32 v2, 0xf8, v2
	v_and_or_b32 v2, v8, 7, v2
	s_and_b64 s[40:41], vcc, s[40:41]
	v_cndmask_b32_e64 v2, v2, 0, s[40:41]
	v_or_b32_e32 v31, v2, v11
.LBB4_11625:                            ;   in Loop: Header=BB4_11271 Depth=3
	s_or_b64 exec, exec, s[48:49]
                                        ; implicit-def: $vgpr11
.LBB4_11626:                            ;   in Loop: Header=BB4_11271 Depth=3
	s_andn2_saveexec_b64 s[40:41], s[38:39]
; %bb.11627:                            ;   in Loop: Header=BB4_11271 Depth=3
	v_or_b32_e32 v31, 0x7e, v11
; %bb.11628:                            ;   in Loop: Header=BB4_11271 Depth=3
	s_or_b64 exec, exec, s[40:41]
                                        ; implicit-def: $vgpr8
.LBB4_11629:                            ;   in Loop: Header=BB4_11271 Depth=3
	s_andn2_saveexec_b64 s[40:41], s[36:37]
; %bb.11630:                            ;   in Loop: Header=BB4_11271 Depth=3
	v_or_b32_sdwa v31, v8, s68 dst_sel:DWORD dst_unused:UNUSED_PAD src0_sel:BYTE_3 src1_sel:DWORD
; %bb.11631:                            ;   in Loop: Header=BB4_11271 Depth=3
	s_or_b64 exec, exec, s[40:41]
	v_lshl_or_b32 v21, v26, 8, v4
	v_lshlrev_b32_e32 v2, 16, v34
	v_lshlrev_b32_e32 v8, 24, v48
	v_or3_b32 v2, v2, v8, v21
	global_load_dwordx4 v[8:11], v[14:15], off glc slc
	v_cmp_ne_u32_e32 vcc, 0, v4
	v_mov_b32_e32 v26, 0
	s_and_saveexec_b64 s[40:41], vcc
	s_cbranch_execz .LBB4_11637
; %bb.11632:                            ;   in Loop: Header=BB4_11271 Depth=3
	v_cmp_ne_u32_e32 vcc, s70, v4
	v_bfrev_b32_e32 v26, 1
	s_and_saveexec_b64 s[36:37], vcc
	s_cbranch_execz .LBB4_11636
; %bb.11633:                            ;   in Loop: Header=BB4_11271 Depth=3
	v_and_b32_e32 v30, 0x7f, v4
	v_cmp_ne_u32_e32 vcc, s68, v30
	v_mov_b32_e32 v26, 0x7f800001
	s_and_saveexec_b64 s[38:39], vcc
	s_cbranch_execz .LBB4_11635
; %bb.11634:                            ;   in Loop: Header=BB4_11271 Depth=3
	v_and_b32_e32 v4, 7, v4
	v_ffbh_u32_e32 v4, v4
	v_min_u32_e32 v4, 32, v4
	v_lshrrev_b32_e32 v22, 3, v30
	v_cmp_gt_u32_e32 vcc, 8, v30
	v_subrev_u32_e32 v23, 28, v4
	v_sub_u32_e32 v4, 29, v4
	v_cndmask_b32_e32 v4, v22, v4, vcc
	v_cndmask_b32_e32 v22, 0, v23, vcc
	v_lshlrev_b64 v[48:49], v22, v[2:3]
	v_lshlrev_b32_e32 v23, 24, v2
	v_lshlrev_b32_e32 v22, 20, v48
	v_and_b32_e32 v22, 0x700000, v22
	v_and_b32_e32 v23, 0x80000000, v23
	v_lshl_add_u32 v4, v4, 23, v5
	v_or3_b32 v26, v23, v4, v22
.LBB4_11635:                            ;   in Loop: Header=BB4_11271 Depth=3
	s_or_b64 exec, exec, s[38:39]
.LBB4_11636:                            ;   in Loop: Header=BB4_11271 Depth=3
	s_or_b64 exec, exec, s[36:37]
.LBB4_11637:                            ;   in Loop: Header=BB4_11271 Depth=3
	s_or_b64 exec, exec, s[40:41]
	s_waitcnt vmcnt(0)
	v_cmp_gt_i16_sdwa vcc, v8, s68 src0_sel:BYTE_0 src1_sel:DWORD
	s_mov_b64 s[40:41], 0
	s_and_saveexec_b64 s[36:37], vcc
	s_xor_b64 vcc, exec, s[36:37]
	s_cbranch_execz .LBB4_12059
; %bb.11638:                            ;   in Loop: Header=BB4_11271 Depth=3
	v_cmp_eq_u16_sdwa s[38:39], v8, s70 src0_sel:BYTE_0 src1_sel:DWORD
	s_mov_b64 s[40:41], -1
	s_and_saveexec_b64 s[36:37], s[38:39]
; %bb.11639:                            ;   in Loop: Header=BB4_11271 Depth=3
	s_xor_b64 s[40:41], exec, -1
; %bb.11640:                            ;   in Loop: Header=BB4_11271 Depth=3
	s_or_b64 exec, exec, s[36:37]
	s_and_b64 s[40:41], s[40:41], exec
	s_or_saveexec_b64 vcc, vcc
	v_bfrev_b32_e32 v4, 1
	s_xor_b64 exec, exec, vcc
	s_cbranch_execnz .LBB4_12060
.LBB4_11641:                            ;   in Loop: Header=BB4_11271 Depth=3
	s_or_b64 exec, exec, vcc
	s_and_saveexec_b64 s[36:37], s[40:41]
	s_cbranch_execz .LBB4_11643
.LBB4_11642:                            ;   in Loop: Header=BB4_11271 Depth=3
	v_and_b32_e32 v4, 7, v8
	v_ffbh_u32_e32 v4, v4
	v_and_b32_e32 v22, 0x7f, v8
	v_min_u32_e32 v4, 32, v4
	v_bfe_u32 v23, v8, 3, 4
	v_subrev_u32_e32 v30, 28, v4
	v_sub_u32_e32 v4, 29, v4
	v_cmp_gt_u32_e32 vcc, 8, v22
	v_cndmask_b32_e32 v4, v23, v4, vcc
	v_cndmask_b32_e32 v23, 0, v30, vcc
	v_lshlrev_b64 v[48:49], v23, v[8:9]
	v_lshlrev_b32_e32 v30, 24, v8
	v_lshlrev_b32_e32 v23, 20, v48
	v_and_b32_e32 v23, 0x700000, v23
	v_and_b32_e32 v30, 0x80000000, v30
	v_lshl_add_u32 v4, v4, 23, v5
	v_or3_b32 v4, v30, v4, v23
	v_cmp_ne_u32_e32 vcc, s68, v22
	v_mov_b32_e32 v22, 0x7f800001
	v_cndmask_b32_e32 v4, v22, v4, vcc
.LBB4_11643:                            ;   in Loop: Header=BB4_11271 Depth=3
	s_or_b64 exec, exec, s[36:37]
	v_add_f32_e32 v30, v26, v4
	v_and_b32_e32 v48, 0x7f800000, v30
	v_mov_b32_e32 v49, v3
	v_cmp_ne_u64_e32 vcc, s[62:63], v[48:49]
                                        ; implicit-def: $vgpr4
	s_and_saveexec_b64 s[40:41], vcc
	s_xor_b64 s[36:37], exec, s[40:41]
	s_cbranch_execz .LBB4_11657
; %bb.11644:                            ;   in Loop: Header=BB4_11271 Depth=3
	v_and_b32_e32 v48, 0x7fffffff, v30
	v_mov_b32_e32 v49, v3
	v_cmp_gt_u64_e32 vcc, s[72:73], v[48:49]
	v_and_b32_sdwa v26, v30, s70 dst_sel:DWORD dst_unused:UNUSED_PAD src0_sel:BYTE_3 src1_sel:DWORD
                                        ; implicit-def: $vgpr4
	s_and_saveexec_b64 s[40:41], vcc
	s_xor_b64 s[38:39], exec, s[40:41]
	s_cbranch_execz .LBB4_11654
; %bb.11645:                            ;   in Loop: Header=BB4_11271 Depth=3
	v_mov_b32_e32 v4, 0
	v_cmp_ne_u32_e32 vcc, 0, v30
	s_and_saveexec_b64 s[48:49], vcc
	s_cbranch_execz .LBB4_11653
; %bb.11646:                            ;   in Loop: Header=BB4_11271 Depth=3
	v_bfe_u32 v4, v30, 23, 8
	v_cmp_gt_u32_e64 s[40:41], s71, v4
	v_sub_u32_e32 v23, 0x79, v4
	v_and_b32_e32 v22, 0x7fffff, v30
	v_cmp_eq_u32_e32 vcc, 0, v4
	v_cndmask_b32_e64 v23, 0, v23, s[40:41]
	v_mov_b32_e32 v30, 0x78
	v_or_b32_e32 v32, 0x800000, v22
	v_cndmask_b32_e32 v30, v23, v30, vcc
	v_cndmask_b32_e32 v48, v32, v22, vcc
	v_add_u32_e32 v22, 20, v30
	v_mov_b32_e32 v49, v3
	v_lshlrev_b64 v[50:51], v22, -1
	v_add_u32_e32 v22, 19, v30
	v_lshlrev_b64 v[52:53], v22, 1
	v_lshrrev_b64 v[44:45], v30, v[48:49]
	v_bfi_b32 v51, v51, 0, 0
	v_bfi_b32 v50, v50, 0, v48
	v_cmp_eq_u64_e64 s[40:41], v[50:51], v[52:53]
	v_mov_b32_e32 v46, v45
	v_mov_b32_e32 v45, v44
	s_and_saveexec_b64 s[50:51], s[40:41]
; %bb.11647:                            ;   in Loop: Header=BB4_11271 Depth=3
	v_bfe_u32 v22, v44, 20, 1
	v_add_co_u32_e64 v22, s[40:41], v44, v22
	v_add_co_u32_e64 v45, s[40:41], -1, v22
; %bb.11648:                            ;   in Loop: Header=BB4_11271 Depth=3
	s_or_b64 exec, exec, s[50:51]
	v_add_u32_e32 v4, 0xffffff81, v4
	v_mov_b32_e32 v22, 0xffffff82
	v_cndmask_b32_e32 v4, v4, v22, vcc
	v_lshrrev_b32_e32 v22, 23, v44
	v_add3_u32 v34, v30, v4, v22
	v_add_u32_e32 v30, 6, v34
	v_and_b32_e32 v4, 0xfffff, v45
	v_add_u32_e32 v44, v4, v44
	v_mov_b32_e32 v45, v3
	v_cmp_ne_u32_e32 vcc, 0, v30
                                        ; implicit-def: $vgpr4
	s_and_saveexec_b64 s[40:41], vcc
	s_xor_b64 s[40:41], exec, s[40:41]
; %bb.11649:                            ;   in Loop: Header=BB4_11271 Depth=3
	v_cmp_lt_u64_e32 vcc, s[74:75], v[44:45]
	v_add_u32_e32 v4, 7, v34
	v_cndmask_b32_e64 v22, 0, 1, vcc
	v_cndmask_b32_e32 v4, v30, v4, vcc
	v_lshrrev_b64 v[44:45], v22, v[44:45]
; %bb.11650:                            ;   in Loop: Header=BB4_11271 Depth=3
	s_andn2_saveexec_b64 s[40:41], s[40:41]
; %bb.11651:                            ;   in Loop: Header=BB4_11271 Depth=3
	v_bfe_u32 v4, v44, 23, 1
; %bb.11652:                            ;   in Loop: Header=BB4_11271 Depth=3
	s_or_b64 exec, exec, s[40:41]
	v_lshrrev_b64 v[48:49], 20, v[44:45]
	v_cmp_gt_i32_e32 vcc, 16, v4
	v_cndmask_b32_e32 v49, 0, v49, vcc
	v_cndmask_b32_e32 v48, 7, v48, vcc
	v_cmp_eq_u32_e32 vcc, 0, v4
	v_min_i32_e32 v4, 15, v4
	v_cmp_eq_u64_e64 s[40:41], 0, v[48:49]
	v_lshlrev_b32_e32 v4, 3, v4
	v_and_b32_e32 v4, 0xf8, v4
	v_and_or_b32 v4, v48, 7, v4
	s_and_b64 s[40:41], vcc, s[40:41]
	v_cndmask_b32_e64 v4, v4, 0, s[40:41]
	v_or_b32_e32 v4, v4, v26
.LBB4_11653:                            ;   in Loop: Header=BB4_11271 Depth=3
	s_or_b64 exec, exec, s[48:49]
                                        ; implicit-def: $vgpr26
.LBB4_11654:                            ;   in Loop: Header=BB4_11271 Depth=3
	s_andn2_saveexec_b64 s[40:41], s[38:39]
; %bb.11655:                            ;   in Loop: Header=BB4_11271 Depth=3
	v_or_b32_e32 v4, 0x7e, v26
; %bb.11656:                            ;   in Loop: Header=BB4_11271 Depth=3
	s_or_b64 exec, exec, s[40:41]
                                        ; implicit-def: $vgpr30
.LBB4_11657:                            ;   in Loop: Header=BB4_11271 Depth=3
	s_andn2_saveexec_b64 s[40:41], s[36:37]
; %bb.11658:                            ;   in Loop: Header=BB4_11271 Depth=3
	v_or_b32_sdwa v4, v30, s68 dst_sel:DWORD dst_unused:UNUSED_PAD src0_sel:BYTE_3 src1_sel:DWORD
; %bb.11659:                            ;   in Loop: Header=BB4_11271 Depth=3
	s_or_b64 exec, exec, s[40:41]
	v_lshrrev_b16_e32 v30, 8, v21
	v_cmp_ne_u16_e32 vcc, 0, v30
	v_mov_b32_e32 v26, 0
	s_and_saveexec_b64 s[40:41], vcc
	s_cbranch_execz .LBB4_11665
; %bb.11660:                            ;   in Loop: Header=BB4_11271 Depth=3
	v_cmp_ne_u16_e32 vcc, s70, v30
	v_bfrev_b32_e32 v26, 1
	s_and_saveexec_b64 s[36:37], vcc
	s_cbranch_execz .LBB4_11664
; %bb.11661:                            ;   in Loop: Header=BB4_11271 Depth=3
	v_and_b32_e32 v34, 0x7f, v30
	v_cmp_ne_u32_e32 vcc, s68, v34
	v_mov_b32_e32 v26, 0x7f800001
	s_and_saveexec_b64 s[38:39], vcc
	s_cbranch_execz .LBB4_11663
; %bb.11662:                            ;   in Loop: Header=BB4_11271 Depth=3
	v_and_b32_e32 v22, 7, v30
	v_ffbh_u32_e32 v26, v22
	v_min_u32_e32 v26, 32, v26
	v_subrev_u32_e32 v32, 28, v26
	v_lshlrev_b64 v[48:49], v32, v[30:31]
	v_lshrrev_b32_e32 v23, 3, v34
	v_cmp_gt_u32_e32 vcc, 8, v34
	v_sub_u32_e32 v26, 29, v26
	v_and_b32_e32 v30, 7, v48
	v_cndmask_b32_e32 v23, v23, v26, vcc
	v_cndmask_b32_e32 v22, v22, v30, vcc
	v_lshlrev_b32_e32 v21, 16, v21
	v_lshlrev_b32_e32 v22, 20, v22
	v_and_b32_e32 v21, 0x80000000, v21
	v_lshl_add_u32 v23, v23, 23, v5
	v_or3_b32 v26, v21, v23, v22
.LBB4_11663:                            ;   in Loop: Header=BB4_11271 Depth=3
	s_or_b64 exec, exec, s[38:39]
.LBB4_11664:                            ;   in Loop: Header=BB4_11271 Depth=3
	s_or_b64 exec, exec, s[36:37]
.LBB4_11665:                            ;   in Loop: Header=BB4_11271 Depth=3
	s_or_b64 exec, exec, s[40:41]
	v_lshrrev_b16_e32 v44, 8, v8
	v_cmp_lt_i16_e32 vcc, s68, v44
	s_mov_b64 s[40:41], 0
	s_and_saveexec_b64 s[36:37], vcc
	s_xor_b64 s[36:37], exec, s[36:37]
	s_cbranch_execz .LBB4_12061
; %bb.11666:                            ;   in Loop: Header=BB4_11271 Depth=3
	v_cmp_eq_u16_e32 vcc, s70, v44
	s_mov_b64 s[40:41], -1
	s_and_saveexec_b64 s[38:39], vcc
; %bb.11667:                            ;   in Loop: Header=BB4_11271 Depth=3
	s_xor_b64 s[40:41], exec, -1
; %bb.11668:                            ;   in Loop: Header=BB4_11271 Depth=3
	s_or_b64 exec, exec, s[38:39]
	s_and_b64 s[40:41], s[40:41], exec
	s_or_saveexec_b64 s[36:37], s[36:37]
	v_bfrev_b32_e32 v21, 1
	s_xor_b64 exec, exec, s[36:37]
	s_cbranch_execnz .LBB4_12062
.LBB4_11669:                            ;   in Loop: Header=BB4_11271 Depth=3
	s_or_b64 exec, exec, s[36:37]
	s_and_saveexec_b64 s[36:37], s[40:41]
	s_cbranch_execz .LBB4_11671
.LBB4_11670:                            ;   in Loop: Header=BB4_11271 Depth=3
	v_and_b32_e32 v21, 7, v44
	v_ffbh_u32_e32 v30, v21
	v_min_u32_e32 v30, 32, v30
	v_mov_b32_e32 v45, v3
	v_subrev_u32_e32 v32, 28, v30
	v_lshlrev_b64 v[48:49], v32, v[44:45]
	v_and_b32_e32 v22, 0x7f, v44
	v_bfe_u32 v23, v44, 3, 4
	v_sub_u32_e32 v30, 29, v30
	v_and_b32_e32 v32, 7, v48
	v_cmp_gt_u32_e32 vcc, 8, v22
	v_cndmask_b32_e32 v23, v23, v30, vcc
	v_cndmask_b32_e32 v21, v21, v32, vcc
	v_lshlrev_b32_e32 v30, 24, v44
	v_lshlrev_b32_e32 v21, 20, v21
	v_and_b32_e32 v30, 0x80000000, v30
	v_lshl_add_u32 v23, v23, 23, v5
	v_or3_b32 v21, v30, v23, v21
	v_cmp_ne_u32_e32 vcc, s68, v22
	v_mov_b32_e32 v22, 0x7f800001
	v_cndmask_b32_e32 v21, v22, v21, vcc
.LBB4_11671:                            ;   in Loop: Header=BB4_11271 Depth=3
	s_or_b64 exec, exec, s[36:37]
	v_add_f32_e32 v30, v26, v21
	v_and_b32_e32 v48, 0x7f800000, v30
	v_mov_b32_e32 v49, v3
	v_cmp_ne_u64_e32 vcc, s[62:63], v[48:49]
                                        ; implicit-def: $vgpr21
	s_and_saveexec_b64 s[40:41], vcc
	s_xor_b64 s[36:37], exec, s[40:41]
	s_cbranch_execz .LBB4_11685
; %bb.11672:                            ;   in Loop: Header=BB4_11271 Depth=3
	v_and_b32_e32 v48, 0x7fffffff, v30
	v_mov_b32_e32 v49, v3
	v_cmp_gt_u64_e32 vcc, s[72:73], v[48:49]
	v_and_b32_sdwa v26, v30, s70 dst_sel:DWORD dst_unused:UNUSED_PAD src0_sel:BYTE_3 src1_sel:DWORD
                                        ; implicit-def: $vgpr21
	s_and_saveexec_b64 s[40:41], vcc
	s_xor_b64 s[38:39], exec, s[40:41]
	s_cbranch_execz .LBB4_11682
; %bb.11673:                            ;   in Loop: Header=BB4_11271 Depth=3
	v_mov_b32_e32 v21, 0
	v_cmp_ne_u32_e32 vcc, 0, v30
	s_and_saveexec_b64 s[48:49], vcc
	s_cbranch_execz .LBB4_11681
; %bb.11674:                            ;   in Loop: Header=BB4_11271 Depth=3
	v_bfe_u32 v21, v30, 23, 8
	v_cmp_gt_u32_e64 s[40:41], s71, v21
	v_sub_u32_e32 v23, 0x79, v21
	v_and_b32_e32 v22, 0x7fffff, v30
	v_cmp_eq_u32_e32 vcc, 0, v21
	v_cndmask_b32_e64 v23, 0, v23, s[40:41]
	v_mov_b32_e32 v30, 0x78
	v_or_b32_e32 v32, 0x800000, v22
	v_cndmask_b32_e32 v30, v23, v30, vcc
	v_cndmask_b32_e32 v48, v32, v22, vcc
	v_add_u32_e32 v22, 20, v30
	v_mov_b32_e32 v49, v3
	v_lshlrev_b64 v[50:51], v22, -1
	v_add_u32_e32 v22, 19, v30
	v_lshlrev_b64 v[52:53], v22, 1
	v_lshrrev_b64 v[44:45], v30, v[48:49]
	v_bfi_b32 v51, v51, 0, 0
	v_bfi_b32 v50, v50, 0, v48
	v_cmp_eq_u64_e64 s[40:41], v[50:51], v[52:53]
	v_mov_b32_e32 v46, v45
	v_mov_b32_e32 v45, v44
	s_and_saveexec_b64 s[50:51], s[40:41]
; %bb.11675:                            ;   in Loop: Header=BB4_11271 Depth=3
	v_bfe_u32 v22, v44, 20, 1
	v_add_co_u32_e64 v22, s[40:41], v44, v22
	v_add_co_u32_e64 v45, s[40:41], -1, v22
; %bb.11676:                            ;   in Loop: Header=BB4_11271 Depth=3
	s_or_b64 exec, exec, s[50:51]
	v_add_u32_e32 v21, 0xffffff81, v21
	v_mov_b32_e32 v22, 0xffffff82
	v_cndmask_b32_e32 v21, v21, v22, vcc
	v_lshrrev_b32_e32 v22, 23, v44
	v_add3_u32 v34, v30, v21, v22
	v_add_u32_e32 v30, 6, v34
	v_and_b32_e32 v21, 0xfffff, v45
	v_add_u32_e32 v44, v21, v44
	v_mov_b32_e32 v45, v3
	v_cmp_ne_u32_e32 vcc, 0, v30
                                        ; implicit-def: $vgpr21
	s_and_saveexec_b64 s[40:41], vcc
	s_xor_b64 s[40:41], exec, s[40:41]
; %bb.11677:                            ;   in Loop: Header=BB4_11271 Depth=3
	v_cmp_lt_u64_e32 vcc, s[74:75], v[44:45]
	v_add_u32_e32 v21, 7, v34
	v_cndmask_b32_e64 v22, 0, 1, vcc
	v_cndmask_b32_e32 v21, v30, v21, vcc
	v_lshrrev_b64 v[44:45], v22, v[44:45]
; %bb.11678:                            ;   in Loop: Header=BB4_11271 Depth=3
	s_andn2_saveexec_b64 s[40:41], s[40:41]
; %bb.11679:                            ;   in Loop: Header=BB4_11271 Depth=3
	v_bfe_u32 v21, v44, 23, 1
; %bb.11680:                            ;   in Loop: Header=BB4_11271 Depth=3
	s_or_b64 exec, exec, s[40:41]
	v_lshrrev_b64 v[48:49], 20, v[44:45]
	v_cmp_gt_i32_e32 vcc, 16, v21
	v_cndmask_b32_e32 v49, 0, v49, vcc
	v_cndmask_b32_e32 v48, 7, v48, vcc
	v_cmp_eq_u32_e32 vcc, 0, v21
	v_min_i32_e32 v21, 15, v21
	v_cmp_eq_u64_e64 s[40:41], 0, v[48:49]
	v_lshlrev_b32_e32 v21, 3, v21
	v_and_b32_e32 v21, 0xf8, v21
	v_and_or_b32 v21, v48, 7, v21
	s_and_b64 s[40:41], vcc, s[40:41]
	v_cndmask_b32_e64 v21, v21, 0, s[40:41]
	v_or_b32_e32 v21, v21, v26
.LBB4_11681:                            ;   in Loop: Header=BB4_11271 Depth=3
	s_or_b64 exec, exec, s[48:49]
                                        ; implicit-def: $vgpr26
.LBB4_11682:                            ;   in Loop: Header=BB4_11271 Depth=3
	s_andn2_saveexec_b64 s[40:41], s[38:39]
; %bb.11683:                            ;   in Loop: Header=BB4_11271 Depth=3
	v_or_b32_e32 v21, 0x7e, v26
; %bb.11684:                            ;   in Loop: Header=BB4_11271 Depth=3
	s_or_b64 exec, exec, s[40:41]
                                        ; implicit-def: $vgpr30
.LBB4_11685:                            ;   in Loop: Header=BB4_11271 Depth=3
	s_andn2_saveexec_b64 s[40:41], s[36:37]
; %bb.11686:                            ;   in Loop: Header=BB4_11271 Depth=3
	v_or_b32_sdwa v21, v30, s68 dst_sel:DWORD dst_unused:UNUSED_PAD src0_sel:BYTE_3 src1_sel:DWORD
; %bb.11687:                            ;   in Loop: Header=BB4_11271 Depth=3
	s_or_b64 exec, exec, s[40:41]
	v_and_b32_sdwa v34, v2, s69 dst_sel:DWORD dst_unused:UNUSED_PAD src0_sel:WORD_1 src1_sel:DWORD
	v_lshrrev_b32_e32 v30, 16, v2
	v_cmp_ne_u16_e32 vcc, 0, v34
	v_mov_b32_e32 v26, 0
	s_and_saveexec_b64 s[40:41], vcc
	s_cbranch_execz .LBB4_11693
; %bb.11688:                            ;   in Loop: Header=BB4_11271 Depth=3
	v_cmp_ne_u16_e32 vcc, s70, v34
	v_bfrev_b32_e32 v26, 1
	s_and_saveexec_b64 s[36:37], vcc
	s_cbranch_execz .LBB4_11692
; %bb.11689:                            ;   in Loop: Header=BB4_11271 Depth=3
	v_bfe_u32 v34, v2, 16, 7
	v_cmp_ne_u32_e32 vcc, s68, v34
	v_mov_b32_e32 v26, 0x7f800001
	s_and_saveexec_b64 s[38:39], vcc
	s_cbranch_execz .LBB4_11691
; %bb.11690:                            ;   in Loop: Header=BB4_11271 Depth=3
	v_and_b32_e32 v22, 7, v30
	v_ffbh_u32_e32 v26, v22
	v_min_u32_e32 v26, 32, v26
	v_subrev_u32_e32 v32, 28, v26
	v_lshlrev_b64 v[48:49], v32, v[30:31]
	v_lshrrev_b32_e32 v23, 3, v34
	v_cmp_gt_u32_e32 vcc, 8, v34
	v_sub_u32_e32 v26, 29, v26
	v_and_b32_e32 v30, 7, v48
	v_cndmask_b32_e32 v23, v23, v26, vcc
	v_mov_b32_e32 v26, 24
	v_cndmask_b32_e32 v22, v22, v30, vcc
	v_lshlrev_b32_sdwa v26, v26, v2 dst_sel:DWORD dst_unused:UNUSED_PAD src0_sel:DWORD src1_sel:WORD_1
	v_lshlrev_b32_e32 v22, 20, v22
	v_and_b32_e32 v26, 0x80000000, v26
	v_lshl_add_u32 v23, v23, 23, v5
	v_or3_b32 v26, v26, v23, v22
.LBB4_11691:                            ;   in Loop: Header=BB4_11271 Depth=3
	s_or_b64 exec, exec, s[38:39]
.LBB4_11692:                            ;   in Loop: Header=BB4_11271 Depth=3
	s_or_b64 exec, exec, s[36:37]
.LBB4_11693:                            ;   in Loop: Header=BB4_11271 Depth=3
	s_or_b64 exec, exec, s[40:41]
	v_lshrrev_b32_e32 v30, 16, v8
	v_cmp_gt_i16_sdwa vcc, v30, s68 src0_sel:BYTE_0 src1_sel:DWORD
	s_mov_b64 s[40:41], 0
	s_and_saveexec_b64 s[36:37], vcc
	s_xor_b64 vcc, exec, s[36:37]
	s_cbranch_execz .LBB4_12063
; %bb.11694:                            ;   in Loop: Header=BB4_11271 Depth=3
	v_cmp_eq_u16_sdwa s[38:39], v30, s70 src0_sel:BYTE_0 src1_sel:DWORD
	s_mov_b64 s[40:41], -1
	s_and_saveexec_b64 s[36:37], s[38:39]
; %bb.11695:                            ;   in Loop: Header=BB4_11271 Depth=3
	s_xor_b64 s[40:41], exec, -1
; %bb.11696:                            ;   in Loop: Header=BB4_11271 Depth=3
	s_or_b64 exec, exec, s[36:37]
	s_and_b64 s[40:41], s[40:41], exec
	s_or_saveexec_b64 vcc, vcc
	v_bfrev_b32_e32 v34, 1
	s_xor_b64 exec, exec, vcc
	s_cbranch_execnz .LBB4_12064
.LBB4_11697:                            ;   in Loop: Header=BB4_11271 Depth=3
	s_or_b64 exec, exec, vcc
	s_and_saveexec_b64 s[36:37], s[40:41]
	s_cbranch_execz .LBB4_11699
.LBB4_11698:                            ;   in Loop: Header=BB4_11271 Depth=3
	v_and_b32_e32 v22, 7, v30
	v_ffbh_u32_e32 v33, v22
	v_min_u32_e32 v33, 32, v33
	v_subrev_u32_e32 v34, 28, v33
	v_lshlrev_b64 v[48:49], v34, v[30:31]
	v_and_b32_e32 v23, 0x7f, v30
	v_bfe_u32 v32, v30, 3, 4
	v_sub_u32_e32 v33, 29, v33
	v_and_b32_e32 v34, 7, v48
	v_cmp_gt_u32_e32 vcc, 8, v23
	v_cndmask_b32_e32 v32, v32, v33, vcc
	v_cndmask_b32_e32 v22, v22, v34, vcc
	v_lshlrev_b32_e32 v30, 24, v30
	v_lshlrev_b32_e32 v22, 20, v22
	v_and_b32_e32 v30, 0x80000000, v30
	v_lshl_add_u32 v32, v32, 23, v5
	v_or3_b32 v22, v30, v32, v22
	v_cmp_ne_u32_e32 vcc, s68, v23
	v_mov_b32_e32 v23, 0x7f800001
	v_cndmask_b32_e32 v34, v23, v22, vcc
.LBB4_11699:                            ;   in Loop: Header=BB4_11271 Depth=3
	s_or_b64 exec, exec, s[36:37]
	v_add_f32_e32 v34, v26, v34
	v_and_b32_e32 v48, 0x7f800000, v34
	v_mov_b32_e32 v49, v3
	v_cmp_ne_u64_e32 vcc, s[62:63], v[48:49]
                                        ; implicit-def: $vgpr26
	s_and_saveexec_b64 s[40:41], vcc
	s_xor_b64 s[36:37], exec, s[40:41]
	s_cbranch_execz .LBB4_11713
; %bb.11700:                            ;   in Loop: Header=BB4_11271 Depth=3
	v_and_b32_e32 v48, 0x7fffffff, v34
	v_mov_b32_e32 v49, v3
	v_cmp_gt_u64_e32 vcc, s[72:73], v[48:49]
	v_and_b32_sdwa v30, v34, s70 dst_sel:DWORD dst_unused:UNUSED_PAD src0_sel:BYTE_3 src1_sel:DWORD
                                        ; implicit-def: $vgpr26
	s_and_saveexec_b64 s[40:41], vcc
	s_xor_b64 s[38:39], exec, s[40:41]
	s_cbranch_execz .LBB4_11710
; %bb.11701:                            ;   in Loop: Header=BB4_11271 Depth=3
	v_mov_b32_e32 v26, 0
	v_cmp_ne_u32_e32 vcc, 0, v34
	s_and_saveexec_b64 s[48:49], vcc
	s_cbranch_execz .LBB4_11709
; %bb.11702:                            ;   in Loop: Header=BB4_11271 Depth=3
	v_bfe_u32 v26, v34, 23, 8
	v_cmp_gt_u32_e64 s[40:41], s71, v26
	v_sub_u32_e32 v23, 0x79, v26
	v_and_b32_e32 v22, 0x7fffff, v34
	v_cmp_eq_u32_e32 vcc, 0, v26
	v_cndmask_b32_e64 v23, 0, v23, s[40:41]
	v_mov_b32_e32 v33, 0x78
	v_or_b32_e32 v32, 0x800000, v22
	v_cndmask_b32_e32 v34, v23, v33, vcc
	v_cndmask_b32_e32 v48, v32, v22, vcc
	v_add_u32_e32 v22, 20, v34
	v_mov_b32_e32 v49, v3
	v_lshlrev_b64 v[50:51], v22, -1
	v_add_u32_e32 v22, 19, v34
	v_lshlrev_b64 v[52:53], v22, 1
	v_lshrrev_b64 v[44:45], v34, v[48:49]
	v_bfi_b32 v51, v51, 0, 0
	v_bfi_b32 v50, v50, 0, v48
	v_cmp_eq_u64_e64 s[40:41], v[50:51], v[52:53]
	v_mov_b32_e32 v46, v45
	v_mov_b32_e32 v45, v44
	s_and_saveexec_b64 s[50:51], s[40:41]
; %bb.11703:                            ;   in Loop: Header=BB4_11271 Depth=3
	v_bfe_u32 v22, v44, 20, 1
	v_add_co_u32_e64 v22, s[40:41], v44, v22
	v_add_co_u32_e64 v45, s[40:41], -1, v22
; %bb.11704:                            ;   in Loop: Header=BB4_11271 Depth=3
	s_or_b64 exec, exec, s[50:51]
	v_add_u32_e32 v22, 0xffffff81, v26
	v_mov_b32_e32 v23, 0xffffff82
	v_cndmask_b32_e32 v22, v22, v23, vcc
	v_lshrrev_b32_e32 v23, 23, v44
	v_add3_u32 v48, v34, v22, v23
	v_add_u32_e32 v34, 6, v48
	v_and_b32_e32 v22, 0xfffff, v45
	v_add_u32_e32 v44, v22, v44
	v_mov_b32_e32 v45, v3
	v_cmp_ne_u32_e32 vcc, 0, v34
                                        ; implicit-def: $vgpr26
	s_and_saveexec_b64 s[40:41], vcc
	s_xor_b64 s[40:41], exec, s[40:41]
; %bb.11705:                            ;   in Loop: Header=BB4_11271 Depth=3
	v_cmp_lt_u64_e32 vcc, s[74:75], v[44:45]
	v_add_u32_e32 v22, 7, v48
	v_cndmask_b32_e32 v26, v34, v22, vcc
	v_cndmask_b32_e64 v22, 0, 1, vcc
	v_lshrrev_b64 v[44:45], v22, v[44:45]
; %bb.11706:                            ;   in Loop: Header=BB4_11271 Depth=3
	s_andn2_saveexec_b64 s[40:41], s[40:41]
; %bb.11707:                            ;   in Loop: Header=BB4_11271 Depth=3
	v_bfe_u32 v26, v44, 23, 1
; %bb.11708:                            ;   in Loop: Header=BB4_11271 Depth=3
	s_or_b64 exec, exec, s[40:41]
	v_lshrrev_b64 v[48:49], 20, v[44:45]
	v_cmp_gt_i32_e32 vcc, 16, v26
	v_cndmask_b32_e32 v49, 0, v49, vcc
	v_cndmask_b32_e32 v48, 7, v48, vcc
	v_min_i32_e32 v22, 15, v26
	v_cmp_eq_u64_e64 s[40:41], 0, v[48:49]
	v_lshlrev_b32_e32 v22, 3, v22
	v_cmp_eq_u32_e32 vcc, 0, v26
	v_and_b32_e32 v22, 0xf8, v22
	v_and_or_b32 v22, v48, 7, v22
	s_and_b64 s[40:41], vcc, s[40:41]
	v_cndmask_b32_e64 v22, v22, 0, s[40:41]
	v_or_b32_e32 v26, v22, v30
.LBB4_11709:                            ;   in Loop: Header=BB4_11271 Depth=3
	s_or_b64 exec, exec, s[48:49]
                                        ; implicit-def: $vgpr30
.LBB4_11710:                            ;   in Loop: Header=BB4_11271 Depth=3
	s_andn2_saveexec_b64 s[40:41], s[38:39]
; %bb.11711:                            ;   in Loop: Header=BB4_11271 Depth=3
	v_or_b32_e32 v26, 0x7e, v30
; %bb.11712:                            ;   in Loop: Header=BB4_11271 Depth=3
	s_or_b64 exec, exec, s[40:41]
                                        ; implicit-def: $vgpr34
.LBB4_11713:                            ;   in Loop: Header=BB4_11271 Depth=3
	s_andn2_saveexec_b64 s[40:41], s[36:37]
; %bb.11714:                            ;   in Loop: Header=BB4_11271 Depth=3
	v_or_b32_sdwa v26, v34, s68 dst_sel:DWORD dst_unused:UNUSED_PAD src0_sel:BYTE_3 src1_sel:DWORD
; %bb.11715:                            ;   in Loop: Header=BB4_11271 Depth=3
	s_or_b64 exec, exec, s[40:41]
	v_cmp_lt_u32_e32 vcc, s57, v2
	v_mov_b32_e32 v34, 0
	s_and_saveexec_b64 s[40:41], vcc
	s_cbranch_execz .LBB4_11721
; %bb.11716:                            ;   in Loop: Header=BB4_11271 Depth=3
	v_lshrrev_b32_e32 v30, 24, v2
	v_cmp_ne_u32_e32 vcc, s70, v30
	v_bfrev_b32_e32 v34, 1
	s_and_saveexec_b64 s[36:37], vcc
	s_cbranch_execz .LBB4_11720
; %bb.11717:                            ;   in Loop: Header=BB4_11271 Depth=3
	v_bfe_u32 v2, v2, 24, 7
	v_cmp_ne_u32_e32 vcc, s68, v2
	v_mov_b32_e32 v34, 0x7f800001
	s_and_saveexec_b64 s[38:39], vcc
	s_cbranch_execz .LBB4_11719
; %bb.11718:                            ;   in Loop: Header=BB4_11271 Depth=3
	v_and_b32_e32 v22, 7, v30
	v_lshrrev_b32_e32 v23, 3, v2
	v_cmp_gt_u32_e32 vcc, 8, v2
	v_ffbh_u32_e32 v2, v22
	v_min_u32_e32 v2, 32, v2
	v_subrev_u32_e32 v32, 28, v2
	v_lshlrev_b64 v[48:49], v32, v[30:31]
	v_sub_u32_e32 v2, 29, v2
	v_and_b32_e32 v32, 7, v48
	v_cndmask_b32_e32 v2, v23, v2, vcc
	v_cndmask_b32_e32 v22, v22, v32, vcc
	v_lshlrev_b32_e32 v23, 24, v30
	v_lshlrev_b32_e32 v22, 20, v22
	v_and_b32_e32 v23, 0x80000000, v23
	v_lshl_add_u32 v2, v2, 23, v5
	v_or3_b32 v34, v23, v2, v22
.LBB4_11719:                            ;   in Loop: Header=BB4_11271 Depth=3
	s_or_b64 exec, exec, s[38:39]
.LBB4_11720:                            ;   in Loop: Header=BB4_11271 Depth=3
	s_or_b64 exec, exec, s[36:37]
.LBB4_11721:                            ;   in Loop: Header=BB4_11271 Depth=3
	s_or_b64 exec, exec, s[40:41]
	v_bfe_u32 v22, v8, 24, 3
	v_ffbh_u32_e32 v32, v22
	v_min_u32_e32 v32, 32, v32
	v_lshrrev_b32_e32 v2, 24, v8
	v_subrev_u32_e32 v33, 28, v32
	v_lshlrev_b64 v[48:49], v33, v[2:3]
	v_bfe_u32 v23, v8, 24, 7
	v_bfe_u32 v30, v2, 3, 4
	v_sub_u32_e32 v32, 29, v32
	v_and_b32_e32 v33, 7, v48
	v_cmp_gt_u32_e32 vcc, 8, v23
	v_cndmask_b32_e32 v30, v30, v32, vcc
	v_cndmask_b32_e32 v22, v22, v33, vcc
	v_lshlrev_b32_e32 v22, 20, v22
	v_and_b32_e32 v32, 0x80000000, v8
	v_lshl_add_u32 v30, v30, 23, v5
	v_or3_b32 v22, v32, v30, v22
	v_cmp_ne_u32_e32 vcc, s68, v23
	v_mov_b32_e32 v23, 0x7f800001
	v_cndmask_b32_e32 v22, v23, v22, vcc
	v_cmp_ne_u32_e32 vcc, s70, v2
	v_bfrev_b32_e32 v2, 1
	v_cndmask_b32_e32 v2, v2, v22, vcc
	v_cmp_lt_u32_e32 vcc, s57, v8
	v_cndmask_b32_e32 v2, 0, v2, vcc
	v_add_f32_e32 v48, v2, v34
	v_and_b32_e32 v2, 0x7f800000, v48
	v_cmp_ne_u64_e32 vcc, s[62:63], v[2:3]
                                        ; implicit-def: $vgpr34
	s_and_saveexec_b64 s[40:41], vcc
	s_xor_b64 s[36:37], exec, s[40:41]
	s_cbranch_execz .LBB4_11735
; %bb.11722:                            ;   in Loop: Header=BB4_11271 Depth=3
	v_and_b32_e32 v2, 0x7fffffff, v48
	v_cmp_gt_u64_e32 vcc, s[72:73], v[2:3]
	v_and_b32_sdwa v30, v48, s70 dst_sel:DWORD dst_unused:UNUSED_PAD src0_sel:BYTE_3 src1_sel:DWORD
                                        ; implicit-def: $vgpr34
	s_and_saveexec_b64 s[40:41], vcc
	s_xor_b64 s[38:39], exec, s[40:41]
	s_cbranch_execz .LBB4_11732
; %bb.11723:                            ;   in Loop: Header=BB4_11271 Depth=3
	v_mov_b32_e32 v34, 0
	v_cmp_ne_u32_e32 vcc, 0, v48
	s_and_saveexec_b64 s[48:49], vcc
	s_cbranch_execz .LBB4_11731
; %bb.11724:                            ;   in Loop: Header=BB4_11271 Depth=3
	v_bfe_u32 v34, v48, 23, 8
	v_cmp_gt_u32_e64 s[40:41], s71, v34
	v_sub_u32_e32 v22, 0x79, v34
	v_cmp_eq_u32_e32 vcc, 0, v34
	v_cndmask_b32_e64 v22, 0, v22, s[40:41]
	v_mov_b32_e32 v32, 0x78
	v_and_b32_e32 v2, 0x7fffff, v48
	v_cndmask_b32_e32 v48, v22, v32, vcc
	v_or_b32_e32 v23, 0x800000, v2
	v_add_u32_e32 v22, 20, v48
	v_cndmask_b32_e32 v2, v23, v2, vcc
	v_lshlrev_b64 v[49:50], v22, -1
	v_add_u32_e32 v22, 19, v48
	v_lshlrev_b64 v[51:52], v22, 1
	v_lshrrev_b64 v[44:45], v48, v[2:3]
	v_bfi_b32 v50, v50, 0, 0
	v_bfi_b32 v49, v49, 0, v2
	v_cmp_eq_u64_e64 s[40:41], v[49:50], v[51:52]
	v_mov_b32_e32 v46, v45
	v_mov_b32_e32 v45, v44
	s_and_saveexec_b64 s[50:51], s[40:41]
; %bb.11725:                            ;   in Loop: Header=BB4_11271 Depth=3
	v_bfe_u32 v2, v44, 20, 1
	v_add_co_u32_e64 v2, s[40:41], v44, v2
	v_add_co_u32_e64 v45, s[40:41], -1, v2
; %bb.11726:                            ;   in Loop: Header=BB4_11271 Depth=3
	s_or_b64 exec, exec, s[50:51]
	v_add_u32_e32 v2, 0xffffff81, v34
	v_mov_b32_e32 v22, 0xffffff82
	v_cndmask_b32_e32 v2, v2, v22, vcc
	v_lshrrev_b32_e32 v22, 23, v44
	v_add3_u32 v49, v48, v2, v22
	v_add_u32_e32 v48, 6, v49
	v_and_b32_e32 v2, 0xfffff, v45
	v_add_u32_e32 v2, v2, v44
	v_cmp_ne_u32_e32 vcc, 0, v48
                                        ; implicit-def: $vgpr44_vgpr45
                                        ; implicit-def: $vgpr34
	s_and_saveexec_b64 s[40:41], vcc
	s_xor_b64 s[40:41], exec, s[40:41]
; %bb.11727:                            ;   in Loop: Header=BB4_11271 Depth=3
	v_cmp_lt_u64_e32 vcc, s[74:75], v[2:3]
	v_add_u32_e32 v22, 7, v49
	v_cndmask_b32_e32 v34, v48, v22, vcc
	v_cndmask_b32_e64 v22, 0, 1, vcc
	v_lshrrev_b64 v[44:45], v22, v[2:3]
; %bb.11728:                            ;   in Loop: Header=BB4_11271 Depth=3
	s_andn2_saveexec_b64 s[40:41], s[40:41]
; %bb.11729:                            ;   in Loop: Header=BB4_11271 Depth=3
	v_mov_b32_e32 v45, v3
	v_mov_b32_e32 v44, v2
	v_bfe_u32 v34, v2, 23, 1
; %bb.11730:                            ;   in Loop: Header=BB4_11271 Depth=3
	s_or_b64 exec, exec, s[40:41]
	v_lshrrev_b64 v[48:49], 20, v[44:45]
	v_cmp_gt_i32_e32 vcc, 16, v34
	v_cndmask_b32_e32 v49, 0, v49, vcc
	v_cndmask_b32_e32 v48, 7, v48, vcc
	v_min_i32_e32 v2, 15, v34
	v_cmp_eq_u64_e64 s[40:41], 0, v[48:49]
	v_lshlrev_b32_e32 v2, 3, v2
	v_cmp_eq_u32_e32 vcc, 0, v34
	v_and_b32_e32 v2, 0xf8, v2
	v_and_or_b32 v2, v48, 7, v2
	s_and_b64 s[40:41], vcc, s[40:41]
	v_cndmask_b32_e64 v2, v2, 0, s[40:41]
	v_or_b32_e32 v34, v2, v30
.LBB4_11731:                            ;   in Loop: Header=BB4_11271 Depth=3
	s_or_b64 exec, exec, s[48:49]
                                        ; implicit-def: $vgpr30
.LBB4_11732:                            ;   in Loop: Header=BB4_11271 Depth=3
	s_andn2_saveexec_b64 s[40:41], s[38:39]
; %bb.11733:                            ;   in Loop: Header=BB4_11271 Depth=3
	v_or_b32_e32 v34, 0x7e, v30
; %bb.11734:                            ;   in Loop: Header=BB4_11271 Depth=3
	s_or_b64 exec, exec, s[40:41]
                                        ; implicit-def: $vgpr48
.LBB4_11735:                            ;   in Loop: Header=BB4_11271 Depth=3
	s_andn2_saveexec_b64 s[40:41], s[36:37]
; %bb.11736:                            ;   in Loop: Header=BB4_11271 Depth=3
	v_or_b32_sdwa v34, v48, s68 dst_sel:DWORD dst_unused:UNUSED_PAD src0_sel:BYTE_3 src1_sel:DWORD
; %bb.11737:                            ;   in Loop: Header=BB4_11271 Depth=3
	s_or_b64 exec, exec, s[40:41]
	v_lshl_or_b32 v36, v36, 8, v28
	v_lshlrev_b32_e32 v2, 16, v38
	v_lshlrev_b32_e32 v22, 24, v39
	v_or3_b32 v2, v2, v22, v36
	v_cmp_ne_u32_e32 vcc, 0, v28
	v_mov_b32_e32 v30, 0
	s_and_saveexec_b64 s[40:41], vcc
	s_cbranch_execz .LBB4_11743
; %bb.11738:                            ;   in Loop: Header=BB4_11271 Depth=3
	v_cmp_ne_u32_e32 vcc, s70, v28
	v_bfrev_b32_e32 v30, 1
	s_and_saveexec_b64 s[36:37], vcc
	s_cbranch_execz .LBB4_11742
; %bb.11739:                            ;   in Loop: Header=BB4_11271 Depth=3
	v_and_b32_e32 v38, 0x7f, v28
	v_cmp_ne_u32_e32 vcc, s68, v38
	v_mov_b32_e32 v30, 0x7f800001
	s_and_saveexec_b64 s[38:39], vcc
	s_cbranch_execz .LBB4_11741
; %bb.11740:                            ;   in Loop: Header=BB4_11271 Depth=3
	v_and_b32_e32 v22, 7, v28
	v_ffbh_u32_e32 v22, v22
	v_min_u32_e32 v22, 32, v22
	v_lshrrev_b32_e32 v23, 3, v38
	v_cmp_gt_u32_e32 vcc, 8, v38
	v_subrev_u32_e32 v28, 28, v22
	v_sub_u32_e32 v22, 29, v22
	v_cndmask_b32_e32 v22, v23, v22, vcc
	v_cndmask_b32_e32 v23, 0, v28, vcc
	v_lshlrev_b64 v[38:39], v23, v[2:3]
	v_lshlrev_b32_e32 v28, 24, v2
	v_lshlrev_b32_e32 v23, 20, v38
	v_and_b32_e32 v23, 0x700000, v23
	v_and_b32_e32 v28, 0x80000000, v28
	v_lshl_add_u32 v22, v22, 23, v5
	v_or3_b32 v30, v28, v22, v23
.LBB4_11741:                            ;   in Loop: Header=BB4_11271 Depth=3
	s_or_b64 exec, exec, s[38:39]
.LBB4_11742:                            ;   in Loop: Header=BB4_11271 Depth=3
	s_or_b64 exec, exec, s[36:37]
.LBB4_11743:                            ;   in Loop: Header=BB4_11271 Depth=3
	s_or_b64 exec, exec, s[40:41]
	v_cmp_gt_i16_sdwa vcc, v9, s68 src0_sel:BYTE_0 src1_sel:DWORD
	s_mov_b64 s[40:41], 0
	s_and_saveexec_b64 s[36:37], vcc
	s_xor_b64 vcc, exec, s[36:37]
	s_cbranch_execz .LBB4_11747
; %bb.11744:                            ;   in Loop: Header=BB4_11271 Depth=3
	v_cmp_eq_u16_sdwa s[38:39], v9, s70 src0_sel:BYTE_0 src1_sel:DWORD
	s_mov_b64 s[40:41], -1
	s_and_saveexec_b64 s[36:37], s[38:39]
; %bb.11745:                            ;   in Loop: Header=BB4_11271 Depth=3
	s_xor_b64 s[40:41], exec, -1
; %bb.11746:                            ;   in Loop: Header=BB4_11271 Depth=3
	s_or_b64 exec, exec, s[36:37]
	s_and_b64 s[40:41], s[40:41], exec
.LBB4_11747:                            ;   in Loop: Header=BB4_11271 Depth=3
	s_or_saveexec_b64 vcc, vcc
	v_bfrev_b32_e32 v28, 1
	s_xor_b64 exec, exec, vcc
; %bb.11748:                            ;   in Loop: Header=BB4_11271 Depth=3
	v_cmp_ne_u16_sdwa s[36:37], v9, v3 src0_sel:BYTE_0 src1_sel:DWORD
	s_andn2_b64 s[40:41], s[40:41], exec
	s_and_b64 s[36:37], s[36:37], exec
	v_mov_b32_e32 v28, 0
	s_or_b64 s[40:41], s[40:41], s[36:37]
; %bb.11749:                            ;   in Loop: Header=BB4_11271 Depth=3
	s_or_b64 exec, exec, vcc
	v_mov_b32_e32 v44, v9
	v_mov_b32_e32 v45, v3
	s_and_saveexec_b64 s[36:37], s[40:41]
	s_cbranch_execz .LBB4_11751
; %bb.11750:                            ;   in Loop: Header=BB4_11271 Depth=3
	v_and_b32_e32 v22, 7, v9
	v_ffbh_u32_e32 v22, v22
	v_and_b32_e32 v23, 0x7f, v9
	v_min_u32_e32 v22, 32, v22
	v_bfe_u32 v28, v9, 3, 4
	v_subrev_u32_e32 v32, 28, v22
	v_sub_u32_e32 v22, 29, v22
	v_cmp_gt_u32_e32 vcc, 8, v23
	v_cndmask_b32_e32 v22, v28, v22, vcc
	v_cndmask_b32_e32 v28, 0, v32, vcc
	v_lshlrev_b64 v[38:39], v28, v[44:45]
	v_lshlrev_b32_e32 v32, 24, v44
	v_lshlrev_b32_e32 v28, 20, v38
	v_and_b32_e32 v28, 0x700000, v28
	v_and_b32_e32 v32, 0x80000000, v32
	v_lshl_add_u32 v22, v22, 23, v5
	v_or3_b32 v22, v32, v22, v28
	v_cmp_ne_u32_e32 vcc, s68, v23
	v_mov_b32_e32 v23, 0x7f800001
	v_cndmask_b32_e32 v28, v23, v22, vcc
.LBB4_11751:                            ;   in Loop: Header=BB4_11271 Depth=3
	s_or_b64 exec, exec, s[36:37]
	v_add_f32_e32 v38, v30, v28
	v_and_b32_e32 v48, 0x7f800000, v38
	v_mov_b32_e32 v49, v3
	v_cmp_ne_u64_e32 vcc, s[62:63], v[48:49]
                                        ; implicit-def: $vgpr28
	s_and_saveexec_b64 s[40:41], vcc
	s_xor_b64 s[36:37], exec, s[40:41]
	s_cbranch_execz .LBB4_11765
; %bb.11752:                            ;   in Loop: Header=BB4_11271 Depth=3
	v_and_b32_e32 v48, 0x7fffffff, v38
	v_mov_b32_e32 v49, v3
	v_cmp_gt_u64_e32 vcc, s[72:73], v[48:49]
	v_and_b32_sdwa v30, v38, s70 dst_sel:DWORD dst_unused:UNUSED_PAD src0_sel:BYTE_3 src1_sel:DWORD
                                        ; implicit-def: $vgpr28
	s_and_saveexec_b64 s[40:41], vcc
	s_xor_b64 s[38:39], exec, s[40:41]
	s_cbranch_execz .LBB4_11762
; %bb.11753:                            ;   in Loop: Header=BB4_11271 Depth=3
	v_mov_b32_e32 v28, 0
	v_cmp_ne_u32_e32 vcc, 0, v38
	s_and_saveexec_b64 s[48:49], vcc
	s_cbranch_execz .LBB4_11761
; %bb.11754:                            ;   in Loop: Header=BB4_11271 Depth=3
	v_bfe_u32 v28, v38, 23, 8
	v_cmp_gt_u32_e64 s[40:41], s71, v28
	v_sub_u32_e32 v23, 0x79, v28
	v_and_b32_e32 v22, 0x7fffff, v38
	v_cmp_eq_u32_e32 vcc, 0, v28
	v_cndmask_b32_e64 v23, 0, v23, s[40:41]
	v_mov_b32_e32 v33, 0x78
	v_or_b32_e32 v32, 0x800000, v22
	v_cndmask_b32_e32 v38, v23, v33, vcc
	v_cndmask_b32_e32 v48, v32, v22, vcc
	v_add_u32_e32 v22, 20, v38
	v_mov_b32_e32 v49, v3
	v_lshlrev_b64 v[50:51], v22, -1
	v_add_u32_e32 v22, 19, v38
	v_lshlrev_b64 v[52:53], v22, 1
	v_lshrrev_b64 v[45:46], v38, v[48:49]
	v_bfi_b32 v51, v51, 0, 0
	v_bfi_b32 v50, v50, 0, v48
	v_cmp_eq_u64_e64 s[40:41], v[50:51], v[52:53]
	v_mov_b32_e32 v47, v46
	v_mov_b32_e32 v46, v45
	s_and_saveexec_b64 s[50:51], s[40:41]
; %bb.11755:                            ;   in Loop: Header=BB4_11271 Depth=3
	v_bfe_u32 v22, v45, 20, 1
	v_add_co_u32_e64 v22, s[40:41], v45, v22
	v_add_co_u32_e64 v46, s[40:41], -1, v22
; %bb.11756:                            ;   in Loop: Header=BB4_11271 Depth=3
	s_or_b64 exec, exec, s[50:51]
	v_add_u32_e32 v22, 0xffffff81, v28
	v_mov_b32_e32 v23, 0xffffff82
	v_cndmask_b32_e32 v22, v22, v23, vcc
	v_lshrrev_b32_e32 v23, 23, v45
	v_add3_u32 v39, v38, v22, v23
	v_add_u32_e32 v38, 6, v39
	v_and_b32_e32 v22, 0xfffff, v46
	v_add_u32_e32 v45, v22, v45
	v_mov_b32_e32 v46, v3
	v_cmp_ne_u32_e32 vcc, 0, v38
                                        ; implicit-def: $vgpr28
	s_and_saveexec_b64 s[40:41], vcc
	s_xor_b64 s[40:41], exec, s[40:41]
; %bb.11757:                            ;   in Loop: Header=BB4_11271 Depth=3
	v_cmp_lt_u64_e32 vcc, s[74:75], v[45:46]
	v_add_u32_e32 v22, 7, v39
	v_cndmask_b32_e32 v28, v38, v22, vcc
	v_cndmask_b32_e64 v22, 0, 1, vcc
	v_lshrrev_b64 v[45:46], v22, v[45:46]
; %bb.11758:                            ;   in Loop: Header=BB4_11271 Depth=3
	s_andn2_saveexec_b64 s[40:41], s[40:41]
; %bb.11759:                            ;   in Loop: Header=BB4_11271 Depth=3
	v_bfe_u32 v28, v45, 23, 1
; %bb.11760:                            ;   in Loop: Header=BB4_11271 Depth=3
	s_or_b64 exec, exec, s[40:41]
	v_lshrrev_b64 v[38:39], 20, v[45:46]
	v_cmp_gt_i32_e32 vcc, 16, v28
	v_cndmask_b32_e32 v39, 0, v39, vcc
	v_cndmask_b32_e32 v38, 7, v38, vcc
	v_min_i32_e32 v22, 15, v28
	v_cmp_eq_u64_e64 s[40:41], 0, v[38:39]
	v_lshlrev_b32_e32 v22, 3, v22
	v_cmp_eq_u32_e32 vcc, 0, v28
	v_and_b32_e32 v22, 0xf8, v22
	v_and_or_b32 v22, v38, 7, v22
	s_and_b64 s[40:41], vcc, s[40:41]
	v_cndmask_b32_e64 v22, v22, 0, s[40:41]
	v_or_b32_e32 v28, v22, v30
.LBB4_11761:                            ;   in Loop: Header=BB4_11271 Depth=3
	s_or_b64 exec, exec, s[48:49]
                                        ; implicit-def: $vgpr30
.LBB4_11762:                            ;   in Loop: Header=BB4_11271 Depth=3
	s_andn2_saveexec_b64 s[40:41], s[38:39]
; %bb.11763:                            ;   in Loop: Header=BB4_11271 Depth=3
	v_or_b32_e32 v28, 0x7e, v30
; %bb.11764:                            ;   in Loop: Header=BB4_11271 Depth=3
	s_or_b64 exec, exec, s[40:41]
                                        ; implicit-def: $vgpr38
.LBB4_11765:                            ;   in Loop: Header=BB4_11271 Depth=3
	s_andn2_saveexec_b64 s[40:41], s[36:37]
; %bb.11766:                            ;   in Loop: Header=BB4_11271 Depth=3
	v_or_b32_sdwa v28, v38, s68 dst_sel:DWORD dst_unused:UNUSED_PAD src0_sel:BYTE_3 src1_sel:DWORD
; %bb.11767:                            ;   in Loop: Header=BB4_11271 Depth=3
	s_or_b64 exec, exec, s[40:41]
	v_lshrrev_b16_e32 v30, 8, v36
	v_cmp_ne_u16_e32 vcc, 0, v30
	v_mov_b32_e32 v38, 0
	s_and_saveexec_b64 s[40:41], vcc
	s_cbranch_execz .LBB4_11773
; %bb.11768:                            ;   in Loop: Header=BB4_11271 Depth=3
	v_cmp_ne_u16_e32 vcc, s70, v30
	v_bfrev_b32_e32 v38, 1
	s_and_saveexec_b64 s[36:37], vcc
	s_cbranch_execz .LBB4_11772
; %bb.11769:                            ;   in Loop: Header=BB4_11271 Depth=3
	v_and_b32_e32 v39, 0x7f, v30
	v_cmp_ne_u32_e32 vcc, s68, v39
	v_mov_b32_e32 v38, 0x7f800001
	s_and_saveexec_b64 s[38:39], vcc
	s_cbranch_execz .LBB4_11771
; %bb.11770:                            ;   in Loop: Header=BB4_11271 Depth=3
	v_and_b32_e32 v22, 7, v30
	v_ffbh_u32_e32 v32, v22
	v_min_u32_e32 v32, 32, v32
	v_subrev_u32_e32 v33, 28, v32
	v_lshrrev_b32_e32 v23, 3, v39
	v_cmp_gt_u32_e32 vcc, 8, v39
	v_lshlrev_b64 v[38:39], v33, v[30:31]
	v_sub_u32_e32 v30, 29, v32
	v_and_b32_e32 v32, 7, v38
	v_cndmask_b32_e32 v23, v23, v30, vcc
	v_cndmask_b32_e32 v22, v22, v32, vcc
	v_lshlrev_b32_e32 v30, 16, v36
	v_lshlrev_b32_e32 v22, 20, v22
	v_and_b32_e32 v30, 0x80000000, v30
	v_lshl_add_u32 v23, v23, 23, v5
	v_or3_b32 v38, v30, v23, v22
.LBB4_11771:                            ;   in Loop: Header=BB4_11271 Depth=3
	s_or_b64 exec, exec, s[38:39]
.LBB4_11772:                            ;   in Loop: Header=BB4_11271 Depth=3
	s_or_b64 exec, exec, s[36:37]
.LBB4_11773:                            ;   in Loop: Header=BB4_11271 Depth=3
	s_or_b64 exec, exec, s[40:41]
	v_lshrrev_b16_e32 v44, 8, v44
	v_cmp_lt_i16_e32 vcc, s68, v44
	s_mov_b64 s[40:41], 0
	s_and_saveexec_b64 s[36:37], vcc
	s_xor_b64 s[36:37], exec, s[36:37]
	s_cbranch_execz .LBB4_12065
; %bb.11774:                            ;   in Loop: Header=BB4_11271 Depth=3
	v_cmp_eq_u16_e32 vcc, s70, v44
	s_mov_b64 s[40:41], -1
	s_and_saveexec_b64 s[38:39], vcc
; %bb.11775:                            ;   in Loop: Header=BB4_11271 Depth=3
	s_xor_b64 s[40:41], exec, -1
; %bb.11776:                            ;   in Loop: Header=BB4_11271 Depth=3
	s_or_b64 exec, exec, s[38:39]
	s_and_b64 s[40:41], s[40:41], exec
	s_or_saveexec_b64 s[36:37], s[36:37]
	v_bfrev_b32_e32 v30, 1
	s_xor_b64 exec, exec, s[36:37]
	s_cbranch_execnz .LBB4_12066
.LBB4_11777:                            ;   in Loop: Header=BB4_11271 Depth=3
	s_or_b64 exec, exec, s[36:37]
	s_and_saveexec_b64 s[36:37], s[40:41]
	s_cbranch_execz .LBB4_11779
.LBB4_11778:                            ;   in Loop: Header=BB4_11271 Depth=3
	v_and_b32_e32 v22, 7, v44
	v_ffbh_u32_e32 v32, v22
	v_min_u32_e32 v32, 32, v32
	v_mov_b32_e32 v45, v3
	v_subrev_u32_e32 v33, 28, v32
	v_lshlrev_b64 v[48:49], v33, v[44:45]
	v_and_b32_e32 v23, 0x7f, v44
	v_bfe_u32 v30, v44, 3, 4
	v_sub_u32_e32 v32, 29, v32
	v_and_b32_e32 v33, 7, v48
	v_cmp_gt_u32_e32 vcc, 8, v23
	v_cndmask_b32_e32 v30, v30, v32, vcc
	v_cndmask_b32_e32 v22, v22, v33, vcc
	v_lshlrev_b32_e32 v32, 24, v44
	v_lshlrev_b32_e32 v22, 20, v22
	v_and_b32_e32 v32, 0x80000000, v32
	v_lshl_add_u32 v30, v30, 23, v5
	v_or3_b32 v22, v32, v30, v22
	v_cmp_ne_u32_e32 vcc, s68, v23
	v_mov_b32_e32 v23, 0x7f800001
	v_cndmask_b32_e32 v30, v23, v22, vcc
.LBB4_11779:                            ;   in Loop: Header=BB4_11271 Depth=3
	s_or_b64 exec, exec, s[36:37]
	v_add_f32_e32 v38, v38, v30
	v_and_b32_e32 v48, 0x7f800000, v38
	v_mov_b32_e32 v49, v3
	v_cmp_ne_u64_e32 vcc, s[62:63], v[48:49]
                                        ; implicit-def: $vgpr36
	s_and_saveexec_b64 s[40:41], vcc
	s_xor_b64 s[36:37], exec, s[40:41]
	s_cbranch_execz .LBB4_11793
; %bb.11780:                            ;   in Loop: Header=BB4_11271 Depth=3
	v_and_b32_e32 v48, 0x7fffffff, v38
	v_mov_b32_e32 v49, v3
	v_cmp_gt_u64_e32 vcc, s[72:73], v[48:49]
	v_and_b32_sdwa v30, v38, s70 dst_sel:DWORD dst_unused:UNUSED_PAD src0_sel:BYTE_3 src1_sel:DWORD
                                        ; implicit-def: $vgpr36
	s_and_saveexec_b64 s[40:41], vcc
	s_xor_b64 s[38:39], exec, s[40:41]
	s_cbranch_execz .LBB4_11790
; %bb.11781:                            ;   in Loop: Header=BB4_11271 Depth=3
	v_mov_b32_e32 v36, 0
	v_cmp_ne_u32_e32 vcc, 0, v38
	s_and_saveexec_b64 s[48:49], vcc
	s_cbranch_execz .LBB4_11789
; %bb.11782:                            ;   in Loop: Header=BB4_11271 Depth=3
	v_bfe_u32 v36, v38, 23, 8
	v_cmp_gt_u32_e64 s[40:41], s71, v36
	v_sub_u32_e32 v23, 0x79, v36
	v_and_b32_e32 v22, 0x7fffff, v38
	v_cmp_eq_u32_e32 vcc, 0, v36
	v_cndmask_b32_e64 v23, 0, v23, s[40:41]
	v_mov_b32_e32 v33, 0x78
	v_or_b32_e32 v32, 0x800000, v22
	v_cndmask_b32_e32 v38, v23, v33, vcc
	v_cndmask_b32_e32 v48, v32, v22, vcc
	v_add_u32_e32 v22, 20, v38
	v_mov_b32_e32 v49, v3
	v_lshlrev_b64 v[50:51], v22, -1
	v_add_u32_e32 v22, 19, v38
	v_lshlrev_b64 v[52:53], v22, 1
	v_lshrrev_b64 v[44:45], v38, v[48:49]
	v_bfi_b32 v51, v51, 0, 0
	v_bfi_b32 v50, v50, 0, v48
	v_cmp_eq_u64_e64 s[40:41], v[50:51], v[52:53]
	v_mov_b32_e32 v46, v45
	v_mov_b32_e32 v45, v44
	s_and_saveexec_b64 s[50:51], s[40:41]
; %bb.11783:                            ;   in Loop: Header=BB4_11271 Depth=3
	v_bfe_u32 v22, v44, 20, 1
	v_add_co_u32_e64 v22, s[40:41], v44, v22
	v_add_co_u32_e64 v45, s[40:41], -1, v22
; %bb.11784:                            ;   in Loop: Header=BB4_11271 Depth=3
	s_or_b64 exec, exec, s[50:51]
	v_add_u32_e32 v22, 0xffffff81, v36
	v_mov_b32_e32 v23, 0xffffff82
	v_cndmask_b32_e32 v22, v22, v23, vcc
	v_lshrrev_b32_e32 v23, 23, v44
	v_add3_u32 v39, v38, v22, v23
	v_add_u32_e32 v38, 6, v39
	v_and_b32_e32 v22, 0xfffff, v45
	v_add_u32_e32 v44, v22, v44
	v_mov_b32_e32 v45, v3
	v_cmp_ne_u32_e32 vcc, 0, v38
                                        ; implicit-def: $vgpr36
	s_and_saveexec_b64 s[40:41], vcc
	s_xor_b64 s[40:41], exec, s[40:41]
; %bb.11785:                            ;   in Loop: Header=BB4_11271 Depth=3
	v_cmp_lt_u64_e32 vcc, s[74:75], v[44:45]
	v_add_u32_e32 v22, 7, v39
	v_cndmask_b32_e32 v36, v38, v22, vcc
	v_cndmask_b32_e64 v22, 0, 1, vcc
	v_lshrrev_b64 v[44:45], v22, v[44:45]
; %bb.11786:                            ;   in Loop: Header=BB4_11271 Depth=3
	s_andn2_saveexec_b64 s[40:41], s[40:41]
; %bb.11787:                            ;   in Loop: Header=BB4_11271 Depth=3
	v_bfe_u32 v36, v44, 23, 1
; %bb.11788:                            ;   in Loop: Header=BB4_11271 Depth=3
	s_or_b64 exec, exec, s[40:41]
	v_lshrrev_b64 v[38:39], 20, v[44:45]
	v_cmp_gt_i32_e32 vcc, 16, v36
	v_cndmask_b32_e32 v39, 0, v39, vcc
	v_cndmask_b32_e32 v38, 7, v38, vcc
	v_min_i32_e32 v22, 15, v36
	v_cmp_eq_u64_e64 s[40:41], 0, v[38:39]
	v_lshlrev_b32_e32 v22, 3, v22
	v_cmp_eq_u32_e32 vcc, 0, v36
	v_and_b32_e32 v22, 0xf8, v22
	v_and_or_b32 v22, v38, 7, v22
	s_and_b64 s[40:41], vcc, s[40:41]
	v_cndmask_b32_e64 v22, v22, 0, s[40:41]
	v_or_b32_e32 v36, v22, v30
.LBB4_11789:                            ;   in Loop: Header=BB4_11271 Depth=3
	s_or_b64 exec, exec, s[48:49]
                                        ; implicit-def: $vgpr30
.LBB4_11790:                            ;   in Loop: Header=BB4_11271 Depth=3
	s_andn2_saveexec_b64 s[40:41], s[38:39]
; %bb.11791:                            ;   in Loop: Header=BB4_11271 Depth=3
	v_or_b32_e32 v36, 0x7e, v30
; %bb.11792:                            ;   in Loop: Header=BB4_11271 Depth=3
	s_or_b64 exec, exec, s[40:41]
                                        ; implicit-def: $vgpr38
.LBB4_11793:                            ;   in Loop: Header=BB4_11271 Depth=3
	s_andn2_saveexec_b64 s[40:41], s[36:37]
; %bb.11794:                            ;   in Loop: Header=BB4_11271 Depth=3
	v_or_b32_sdwa v36, v38, s68 dst_sel:DWORD dst_unused:UNUSED_PAD src0_sel:BYTE_3 src1_sel:DWORD
; %bb.11795:                            ;   in Loop: Header=BB4_11271 Depth=3
	s_or_b64 exec, exec, s[40:41]
	v_lshrrev_b32_e32 v30, 16, v2
	v_cmp_ne_u16_sdwa vcc, v30, v3 src0_sel:BYTE_0 src1_sel:DWORD
	v_mov_b32_e32 v38, 0
	s_and_saveexec_b64 s[40:41], vcc
	s_cbranch_execz .LBB4_11801
; %bb.11796:                            ;   in Loop: Header=BB4_11271 Depth=3
	v_cmp_ne_u16_sdwa vcc, v30, s70 src0_sel:BYTE_0 src1_sel:DWORD
	v_bfrev_b32_e32 v38, 1
	s_and_saveexec_b64 s[36:37], vcc
	s_cbranch_execz .LBB4_11800
; %bb.11797:                            ;   in Loop: Header=BB4_11271 Depth=3
	v_bfe_u32 v39, v2, 16, 7
	v_cmp_ne_u32_e32 vcc, s68, v39
	v_mov_b32_e32 v38, 0x7f800001
	s_and_saveexec_b64 s[38:39], vcc
	s_cbranch_execz .LBB4_11799
; %bb.11798:                            ;   in Loop: Header=BB4_11271 Depth=3
	v_and_b32_e32 v22, 7, v30
	v_ffbh_u32_e32 v32, v22
	v_min_u32_e32 v32, 32, v32
	v_subrev_u32_e32 v33, 28, v32
	v_lshrrev_b32_e32 v23, 3, v39
	v_cmp_gt_u32_e32 vcc, 8, v39
	v_lshlrev_b64 v[38:39], v33, v[30:31]
	v_sub_u32_e32 v32, 29, v32
	v_and_b32_e32 v33, 7, v38
	v_cndmask_b32_e32 v23, v23, v32, vcc
	v_cndmask_b32_e32 v22, v22, v33, vcc
	v_lshlrev_b32_e32 v30, 24, v30
	v_lshlrev_b32_e32 v22, 20, v22
	v_and_b32_e32 v30, 0x80000000, v30
	v_lshl_add_u32 v23, v23, 23, v5
	v_or3_b32 v38, v30, v23, v22
.LBB4_11799:                            ;   in Loop: Header=BB4_11271 Depth=3
	s_or_b64 exec, exec, s[38:39]
.LBB4_11800:                            ;   in Loop: Header=BB4_11271 Depth=3
	s_or_b64 exec, exec, s[36:37]
.LBB4_11801:                            ;   in Loop: Header=BB4_11271 Depth=3
	s_or_b64 exec, exec, s[40:41]
	v_lshrrev_b32_e32 v30, 16, v9
	v_cmp_gt_i16_sdwa vcc, v30, s68 src0_sel:BYTE_0 src1_sel:DWORD
	s_mov_b64 s[40:41], 0
	s_and_saveexec_b64 s[36:37], vcc
	s_xor_b64 vcc, exec, s[36:37]
	s_cbranch_execz .LBB4_12067
; %bb.11802:                            ;   in Loop: Header=BB4_11271 Depth=3
	v_cmp_eq_u16_sdwa s[38:39], v30, s70 src0_sel:BYTE_0 src1_sel:DWORD
	s_mov_b64 s[40:41], -1
	s_and_saveexec_b64 s[36:37], s[38:39]
; %bb.11803:                            ;   in Loop: Header=BB4_11271 Depth=3
	s_xor_b64 s[40:41], exec, -1
; %bb.11804:                            ;   in Loop: Header=BB4_11271 Depth=3
	s_or_b64 exec, exec, s[36:37]
	s_and_b64 s[40:41], s[40:41], exec
	s_or_saveexec_b64 vcc, vcc
	v_bfrev_b32_e32 v39, 1
	s_xor_b64 exec, exec, vcc
	s_cbranch_execnz .LBB4_12068
.LBB4_11805:                            ;   in Loop: Header=BB4_11271 Depth=3
	s_or_b64 exec, exec, vcc
	s_and_saveexec_b64 s[36:37], s[40:41]
	s_cbranch_execz .LBB4_11807
.LBB4_11806:                            ;   in Loop: Header=BB4_11271 Depth=3
	v_and_b32_e32 v22, 7, v30
	v_ffbh_u32_e32 v33, v22
	v_min_u32_e32 v33, 32, v33
	v_subrev_u32_e32 v39, 28, v33
	v_lshlrev_b64 v[48:49], v39, v[30:31]
	v_and_b32_e32 v23, 0x7f, v30
	v_bfe_u32 v32, v30, 3, 4
	v_sub_u32_e32 v33, 29, v33
	v_and_b32_e32 v39, 7, v48
	v_cmp_gt_u32_e32 vcc, 8, v23
	v_cndmask_b32_e32 v32, v32, v33, vcc
	v_cndmask_b32_e32 v22, v22, v39, vcc
	v_lshlrev_b32_e32 v30, 24, v30
	v_lshlrev_b32_e32 v22, 20, v22
	v_and_b32_e32 v30, 0x80000000, v30
	v_lshl_add_u32 v32, v32, 23, v5
	v_or3_b32 v22, v30, v32, v22
	v_cmp_ne_u32_e32 vcc, s68, v23
	v_mov_b32_e32 v23, 0x7f800001
	v_cndmask_b32_e32 v39, v23, v22, vcc
.LBB4_11807:                            ;   in Loop: Header=BB4_11271 Depth=3
	s_or_b64 exec, exec, s[36:37]
	v_add_f32_e32 v39, v38, v39
	v_and_b32_e32 v48, 0x7f800000, v39
	v_mov_b32_e32 v49, v3
	v_cmp_ne_u64_e32 vcc, s[62:63], v[48:49]
                                        ; implicit-def: $vgpr38
	s_and_saveexec_b64 s[40:41], vcc
	s_xor_b64 s[36:37], exec, s[40:41]
	s_cbranch_execz .LBB4_11821
; %bb.11808:                            ;   in Loop: Header=BB4_11271 Depth=3
	v_and_b32_e32 v48, 0x7fffffff, v39
	v_mov_b32_e32 v49, v3
	v_cmp_gt_u64_e32 vcc, s[72:73], v[48:49]
	v_and_b32_sdwa v30, v39, s70 dst_sel:DWORD dst_unused:UNUSED_PAD src0_sel:BYTE_3 src1_sel:DWORD
                                        ; implicit-def: $vgpr38
	s_and_saveexec_b64 s[40:41], vcc
	s_xor_b64 s[38:39], exec, s[40:41]
	s_cbranch_execz .LBB4_11818
; %bb.11809:                            ;   in Loop: Header=BB4_11271 Depth=3
	v_mov_b32_e32 v38, 0
	v_cmp_ne_u32_e32 vcc, 0, v39
	s_and_saveexec_b64 s[48:49], vcc
	s_cbranch_execz .LBB4_11817
; %bb.11810:                            ;   in Loop: Header=BB4_11271 Depth=3
	v_bfe_u32 v38, v39, 23, 8
	v_cmp_gt_u32_e64 s[40:41], s71, v38
	v_sub_u32_e32 v23, 0x79, v38
	v_and_b32_e32 v22, 0x7fffff, v39
	v_cmp_eq_u32_e32 vcc, 0, v38
	v_cndmask_b32_e64 v23, 0, v23, s[40:41]
	v_mov_b32_e32 v33, 0x78
	v_or_b32_e32 v32, 0x800000, v22
	v_cndmask_b32_e32 v39, v23, v33, vcc
	v_cndmask_b32_e32 v48, v32, v22, vcc
	v_add_u32_e32 v22, 20, v39
	v_mov_b32_e32 v49, v3
	v_lshlrev_b64 v[50:51], v22, -1
	v_add_u32_e32 v22, 19, v39
	v_lshlrev_b64 v[52:53], v22, 1
	v_lshrrev_b64 v[44:45], v39, v[48:49]
	v_bfi_b32 v51, v51, 0, 0
	v_bfi_b32 v50, v50, 0, v48
	v_cmp_eq_u64_e64 s[40:41], v[50:51], v[52:53]
	v_mov_b32_e32 v46, v45
	v_mov_b32_e32 v45, v44
	s_and_saveexec_b64 s[50:51], s[40:41]
; %bb.11811:                            ;   in Loop: Header=BB4_11271 Depth=3
	v_bfe_u32 v22, v44, 20, 1
	v_add_co_u32_e64 v22, s[40:41], v44, v22
	v_add_co_u32_e64 v45, s[40:41], -1, v22
; %bb.11812:                            ;   in Loop: Header=BB4_11271 Depth=3
	s_or_b64 exec, exec, s[50:51]
	v_add_u32_e32 v22, 0xffffff81, v38
	v_mov_b32_e32 v23, 0xffffff82
	v_cndmask_b32_e32 v22, v22, v23, vcc
	v_lshrrev_b32_e32 v23, 23, v44
	v_add3_u32 v48, v39, v22, v23
	v_add_u32_e32 v39, 6, v48
	v_and_b32_e32 v22, 0xfffff, v45
	v_add_u32_e32 v44, v22, v44
	v_mov_b32_e32 v45, v3
	v_cmp_ne_u32_e32 vcc, 0, v39
                                        ; implicit-def: $vgpr38
	s_and_saveexec_b64 s[40:41], vcc
	s_xor_b64 s[40:41], exec, s[40:41]
; %bb.11813:                            ;   in Loop: Header=BB4_11271 Depth=3
	v_cmp_lt_u64_e32 vcc, s[74:75], v[44:45]
	v_add_u32_e32 v22, 7, v48
	v_cndmask_b32_e32 v38, v39, v22, vcc
	v_cndmask_b32_e64 v22, 0, 1, vcc
	v_lshrrev_b64 v[44:45], v22, v[44:45]
; %bb.11814:                            ;   in Loop: Header=BB4_11271 Depth=3
	s_andn2_saveexec_b64 s[40:41], s[40:41]
; %bb.11815:                            ;   in Loop: Header=BB4_11271 Depth=3
	v_bfe_u32 v38, v44, 23, 1
; %bb.11816:                            ;   in Loop: Header=BB4_11271 Depth=3
	s_or_b64 exec, exec, s[40:41]
	v_lshrrev_b64 v[48:49], 20, v[44:45]
	v_cmp_gt_i32_e32 vcc, 16, v38
	v_cndmask_b32_e32 v49, 0, v49, vcc
	v_cndmask_b32_e32 v48, 7, v48, vcc
	v_min_i32_e32 v22, 15, v38
	v_cmp_eq_u64_e64 s[40:41], 0, v[48:49]
	v_lshlrev_b32_e32 v22, 3, v22
	v_cmp_eq_u32_e32 vcc, 0, v38
	v_and_b32_e32 v22, 0xf8, v22
	v_and_or_b32 v22, v48, 7, v22
	s_and_b64 s[40:41], vcc, s[40:41]
	v_cndmask_b32_e64 v22, v22, 0, s[40:41]
	v_or_b32_e32 v38, v22, v30
.LBB4_11817:                            ;   in Loop: Header=BB4_11271 Depth=3
	s_or_b64 exec, exec, s[48:49]
                                        ; implicit-def: $vgpr30
.LBB4_11818:                            ;   in Loop: Header=BB4_11271 Depth=3
	s_andn2_saveexec_b64 s[40:41], s[38:39]
; %bb.11819:                            ;   in Loop: Header=BB4_11271 Depth=3
	v_or_b32_e32 v38, 0x7e, v30
; %bb.11820:                            ;   in Loop: Header=BB4_11271 Depth=3
	s_or_b64 exec, exec, s[40:41]
                                        ; implicit-def: $vgpr39
.LBB4_11821:                            ;   in Loop: Header=BB4_11271 Depth=3
	s_andn2_saveexec_b64 s[40:41], s[36:37]
; %bb.11822:                            ;   in Loop: Header=BB4_11271 Depth=3
	v_or_b32_sdwa v38, v39, s68 dst_sel:DWORD dst_unused:UNUSED_PAD src0_sel:BYTE_3 src1_sel:DWORD
; %bb.11823:                            ;   in Loop: Header=BB4_11271 Depth=3
	s_or_b64 exec, exec, s[40:41]
	v_cmp_lt_u32_e32 vcc, s57, v2
	v_mov_b32_e32 v39, 0
	s_and_saveexec_b64 s[40:41], vcc
	s_cbranch_execz .LBB4_11829
; %bb.11824:                            ;   in Loop: Header=BB4_11271 Depth=3
	v_lshrrev_b32_e32 v30, 24, v2
	v_cmp_ne_u32_sdwa vcc, v2, s70 src0_sel:BYTE_3 src1_sel:DWORD
	v_bfrev_b32_e32 v39, 1
	s_and_saveexec_b64 s[36:37], vcc
	s_cbranch_execz .LBB4_11828
; %bb.11825:                            ;   in Loop: Header=BB4_11271 Depth=3
	v_bfe_u32 v48, v2, 24, 7
	v_cmp_ne_u32_e32 vcc, s68, v48
	v_mov_b32_e32 v39, 0x7f800001
	s_and_saveexec_b64 s[38:39], vcc
	s_cbranch_execz .LBB4_11827
; %bb.11826:                            ;   in Loop: Header=BB4_11271 Depth=3
	v_and_b32_e32 v22, 7, v30
	v_ffbh_u32_e32 v32, v22
	v_min_u32_e32 v32, 32, v32
	v_subrev_u32_e32 v33, 28, v32
	v_lshrrev_b32_e32 v23, 3, v48
	v_cmp_gt_u32_e32 vcc, 8, v48
	v_lshlrev_b64 v[48:49], v33, v[30:31]
	v_sub_u32_e32 v30, 29, v32
	v_and_b32_e32 v32, 7, v48
	v_cndmask_b32_e32 v23, v23, v30, vcc
	v_mov_b32_e32 v30, 24
	v_cndmask_b32_e32 v22, v22, v32, vcc
	v_lshlrev_b32_sdwa v2, v30, v2 dst_sel:DWORD dst_unused:UNUSED_PAD src0_sel:DWORD src1_sel:BYTE_3
	v_lshlrev_b32_e32 v22, 20, v22
	v_and_b32_e32 v2, 0x80000000, v2
	v_lshl_add_u32 v23, v23, 23, v5
	v_or3_b32 v39, v2, v23, v22
.LBB4_11827:                            ;   in Loop: Header=BB4_11271 Depth=3
	s_or_b64 exec, exec, s[38:39]
.LBB4_11828:                            ;   in Loop: Header=BB4_11271 Depth=3
	s_or_b64 exec, exec, s[36:37]
.LBB4_11829:                            ;   in Loop: Header=BB4_11271 Depth=3
	s_or_b64 exec, exec, s[40:41]
	v_bfe_u32 v22, v9, 24, 3
	v_ffbh_u32_e32 v32, v22
	v_min_u32_e32 v32, 32, v32
	v_lshrrev_b32_e32 v2, 24, v9
	v_subrev_u32_e32 v33, 28, v32
	v_lshlrev_b64 v[48:49], v33, v[2:3]
	v_bfe_u32 v23, v9, 24, 7
	v_bfe_u32 v30, v2, 3, 4
	v_sub_u32_e32 v32, 29, v32
	v_and_b32_e32 v33, 7, v48
	v_cmp_gt_u32_e32 vcc, 8, v23
	v_cndmask_b32_e32 v30, v30, v32, vcc
	v_cndmask_b32_e32 v22, v22, v33, vcc
	v_lshlrev_b32_e32 v22, 20, v22
	v_and_b32_e32 v32, 0x80000000, v9
	v_lshl_add_u32 v30, v30, 23, v5
	v_or3_b32 v22, v32, v30, v22
	v_cmp_ne_u32_e32 vcc, s68, v23
	v_mov_b32_e32 v23, 0x7f800001
	v_cndmask_b32_e32 v22, v23, v22, vcc
	v_cmp_ne_u32_e32 vcc, s70, v2
	v_bfrev_b32_e32 v2, 1
	v_cndmask_b32_e32 v2, v2, v22, vcc
	v_cmp_lt_u64_e32 vcc, s[56:57], v[8:9]
                                        ; implicit-def: $vgpr30
	v_cndmask_b32_e32 v2, 0, v2, vcc
	v_add_f32_e32 v8, v2, v39
	v_and_b32_e32 v2, 0x7f800000, v8
	v_cmp_ne_u64_e32 vcc, s[62:63], v[2:3]
	s_and_saveexec_b64 s[40:41], vcc
	s_xor_b64 s[36:37], exec, s[40:41]
	s_cbranch_execz .LBB4_11843
; %bb.11830:                            ;   in Loop: Header=BB4_11271 Depth=3
	v_and_b32_e32 v2, 0x7fffffff, v8
	v_cmp_gt_u64_e32 vcc, s[72:73], v[2:3]
	v_and_b32_sdwa v39, v8, s70 dst_sel:DWORD dst_unused:UNUSED_PAD src0_sel:BYTE_3 src1_sel:DWORD
                                        ; implicit-def: $vgpr30
	s_and_saveexec_b64 s[40:41], vcc
	s_xor_b64 s[38:39], exec, s[40:41]
	s_cbranch_execz .LBB4_11840
; %bb.11831:                            ;   in Loop: Header=BB4_11271 Depth=3
	v_mov_b32_e32 v30, 0
	v_cmp_ne_u32_e32 vcc, 0, v8
	s_and_saveexec_b64 s[48:49], vcc
	s_cbranch_execz .LBB4_11839
; %bb.11832:                            ;   in Loop: Header=BB4_11271 Depth=3
	v_bfe_u32 v30, v8, 23, 8
	v_and_b32_e32 v2, 0x7fffff, v8
	v_cmp_gt_u32_e64 s[40:41], s71, v30
	v_sub_u32_e32 v8, 0x79, v30
	v_cmp_eq_u32_e32 vcc, 0, v30
	v_cndmask_b32_e64 v8, 0, v8, s[40:41]
	v_mov_b32_e32 v22, 0x78
	v_cndmask_b32_e32 v48, v8, v22, vcc
	v_or_b32_e32 v9, 0x800000, v2
	v_add_u32_e32 v8, 20, v48
	v_cndmask_b32_e32 v2, v9, v2, vcc
	v_lshlrev_b64 v[8:9], v8, -1
	v_add_u32_e32 v22, 19, v48
	v_lshlrev_b64 v[49:50], v22, 1
	v_bfi_b32 v9, v9, 0, 0
	v_bfi_b32 v8, v8, 0, v2
	v_cmp_eq_u64_e64 s[40:41], v[8:9], v[49:50]
	v_lshrrev_b64 v[8:9], v48, v[2:3]
	v_mov_b32_e32 v45, v9
	v_mov_b32_e32 v44, v8
	s_and_saveexec_b64 s[50:51], s[40:41]
; %bb.11833:                            ;   in Loop: Header=BB4_11271 Depth=3
	v_bfe_u32 v2, v8, 20, 1
	v_add_co_u32_e64 v2, s[40:41], v8, v2
	v_add_co_u32_e64 v44, s[40:41], -1, v2
; %bb.11834:                            ;   in Loop: Header=BB4_11271 Depth=3
	s_or_b64 exec, exec, s[50:51]
	v_add_u32_e32 v2, 0xffffff81, v30
	v_mov_b32_e32 v9, 0xffffff82
	v_cndmask_b32_e32 v2, v2, v9, vcc
	v_lshrrev_b32_e32 v9, 23, v8
	v_add3_u32 v49, v48, v2, v9
	v_add_u32_e32 v48, 6, v49
	v_and_b32_e32 v2, 0xfffff, v44
	v_add_u32_e32 v2, v2, v8
	v_cmp_ne_u32_e32 vcc, 0, v48
                                        ; implicit-def: $vgpr8_vgpr9
                                        ; implicit-def: $vgpr30
	s_and_saveexec_b64 s[40:41], vcc
	s_xor_b64 s[40:41], exec, s[40:41]
; %bb.11835:                            ;   in Loop: Header=BB4_11271 Depth=3
	v_cmp_lt_u64_e32 vcc, s[74:75], v[2:3]
	v_add_u32_e32 v8, 7, v49
	v_cndmask_b32_e32 v30, v48, v8, vcc
	v_cndmask_b32_e64 v8, 0, 1, vcc
	v_lshrrev_b64 v[8:9], v8, v[2:3]
; %bb.11836:                            ;   in Loop: Header=BB4_11271 Depth=3
	s_andn2_saveexec_b64 s[40:41], s[40:41]
; %bb.11837:                            ;   in Loop: Header=BB4_11271 Depth=3
	v_mov_b32_e32 v9, v3
	v_mov_b32_e32 v8, v2
	v_bfe_u32 v30, v2, 23, 1
; %bb.11838:                            ;   in Loop: Header=BB4_11271 Depth=3
	s_or_b64 exec, exec, s[40:41]
	v_lshrrev_b64 v[8:9], 20, v[8:9]
	v_cmp_gt_i32_e32 vcc, 16, v30
	v_cndmask_b32_e32 v9, 0, v9, vcc
	v_cndmask_b32_e32 v8, 7, v8, vcc
	v_min_i32_e32 v2, 15, v30
	v_cmp_eq_u64_e64 s[40:41], 0, v[8:9]
	v_lshlrev_b32_e32 v2, 3, v2
	v_cmp_eq_u32_e32 vcc, 0, v30
	v_and_b32_e32 v2, 0xf8, v2
	v_and_or_b32 v2, v8, 7, v2
	s_and_b64 s[40:41], vcc, s[40:41]
	v_cndmask_b32_e64 v2, v2, 0, s[40:41]
	v_or_b32_e32 v30, v2, v39
.LBB4_11839:                            ;   in Loop: Header=BB4_11271 Depth=3
	s_or_b64 exec, exec, s[48:49]
                                        ; implicit-def: $vgpr39
.LBB4_11840:                            ;   in Loop: Header=BB4_11271 Depth=3
	s_andn2_saveexec_b64 s[40:41], s[38:39]
; %bb.11841:                            ;   in Loop: Header=BB4_11271 Depth=3
	v_or_b32_e32 v30, 0x7e, v39
; %bb.11842:                            ;   in Loop: Header=BB4_11271 Depth=3
	s_or_b64 exec, exec, s[40:41]
                                        ; implicit-def: $vgpr8
.LBB4_11843:                            ;   in Loop: Header=BB4_11271 Depth=3
	s_andn2_saveexec_b64 s[40:41], s[36:37]
; %bb.11844:                            ;   in Loop: Header=BB4_11271 Depth=3
	v_or_b32_sdwa v30, v8, s68 dst_sel:DWORD dst_unused:UNUSED_PAD src0_sel:BYTE_3 src1_sel:DWORD
; %bb.11845:                            ;   in Loop: Header=BB4_11271 Depth=3
	s_or_b64 exec, exec, s[40:41]
	v_lshl_or_b32 v29, v29, 8, v24
	v_lshlrev_b32_e32 v2, 16, v35
	v_lshlrev_b32_e32 v8, 24, v37
	v_or3_b32 v2, v2, v8, v29
	v_cmp_ne_u32_e32 vcc, 0, v24
	v_mov_b32_e32 v8, 0
	s_and_saveexec_b64 s[40:41], vcc
	s_cbranch_execz .LBB4_11851
; %bb.11846:                            ;   in Loop: Header=BB4_11271 Depth=3
	v_cmp_ne_u32_e32 vcc, s70, v24
	v_bfrev_b32_e32 v8, 1
	s_and_saveexec_b64 s[36:37], vcc
	s_cbranch_execz .LBB4_11850
; %bb.11847:                            ;   in Loop: Header=BB4_11271 Depth=3
	v_and_b32_e32 v9, 0x7f, v24
	v_cmp_ne_u32_e32 vcc, s68, v9
	v_mov_b32_e32 v8, 0x7f800001
	s_and_saveexec_b64 s[38:39], vcc
	s_cbranch_execz .LBB4_11849
; %bb.11848:                            ;   in Loop: Header=BB4_11271 Depth=3
	v_and_b32_e32 v8, 7, v24
	v_ffbh_u32_e32 v8, v8
	v_min_u32_e32 v8, 32, v8
	v_lshrrev_b32_e32 v22, 3, v9
	v_cmp_gt_u32_e32 vcc, 8, v9
	v_subrev_u32_e32 v9, 28, v8
	v_sub_u32_e32 v8, 29, v8
	v_cndmask_b32_e32 v22, v22, v8, vcc
	v_cndmask_b32_e32 v8, 0, v9, vcc
	v_lshlrev_b64 v[8:9], v8, v[2:3]
	v_lshlrev_b32_e32 v9, 24, v2
	v_lshlrev_b32_e32 v8, 20, v8
	v_and_b32_e32 v8, 0x700000, v8
	v_and_b32_e32 v9, 0x80000000, v9
	v_lshl_add_u32 v22, v22, 23, v5
	v_or3_b32 v8, v9, v22, v8
.LBB4_11849:                            ;   in Loop: Header=BB4_11271 Depth=3
	s_or_b64 exec, exec, s[38:39]
.LBB4_11850:                            ;   in Loop: Header=BB4_11271 Depth=3
	s_or_b64 exec, exec, s[36:37]
.LBB4_11851:                            ;   in Loop: Header=BB4_11271 Depth=3
	s_or_b64 exec, exec, s[40:41]
	v_cmp_gt_i16_sdwa vcc, v10, s68 src0_sel:BYTE_0 src1_sel:DWORD
	s_mov_b64 s[40:41], 0
	s_and_saveexec_b64 s[36:37], vcc
	s_xor_b64 vcc, exec, s[36:37]
	s_cbranch_execz .LBB4_12069
; %bb.11852:                            ;   in Loop: Header=BB4_11271 Depth=3
	v_cmp_eq_u16_sdwa s[38:39], v10, s70 src0_sel:BYTE_0 src1_sel:DWORD
	s_mov_b64 s[40:41], -1
	s_and_saveexec_b64 s[36:37], s[38:39]
; %bb.11853:                            ;   in Loop: Header=BB4_11271 Depth=3
	s_xor_b64 s[40:41], exec, -1
; %bb.11854:                            ;   in Loop: Header=BB4_11271 Depth=3
	s_or_b64 exec, exec, s[36:37]
	s_and_b64 s[40:41], s[40:41], exec
	s_or_saveexec_b64 vcc, vcc
	v_bfrev_b32_e32 v9, 1
	s_xor_b64 exec, exec, vcc
	s_cbranch_execnz .LBB4_12070
.LBB4_11855:                            ;   in Loop: Header=BB4_11271 Depth=3
	s_or_b64 exec, exec, vcc
	s_and_saveexec_b64 s[36:37], s[40:41]
	s_cbranch_execz .LBB4_11857
.LBB4_11856:                            ;   in Loop: Header=BB4_11271 Depth=3
	v_and_b32_e32 v9, 7, v10
	v_ffbh_u32_e32 v9, v9
	v_and_b32_e32 v22, 0x7f, v10
	v_min_u32_e32 v9, 32, v9
	v_bfe_u32 v23, v10, 3, 4
	v_subrev_u32_e32 v24, 28, v9
	v_sub_u32_e32 v9, 29, v9
	v_cmp_gt_u32_e32 vcc, 8, v22
	v_cndmask_b32_e32 v9, v23, v9, vcc
	v_cndmask_b32_e32 v23, 0, v24, vcc
	v_lshlrev_b64 v[48:49], v23, v[10:11]
	v_lshlrev_b32_e32 v24, 24, v10
	v_lshlrev_b32_e32 v23, 20, v48
	v_and_b32_e32 v23, 0x700000, v23
	v_and_b32_e32 v24, 0x80000000, v24
	v_lshl_add_u32 v9, v9, 23, v5
	v_or3_b32 v9, v24, v9, v23
	v_cmp_ne_u32_e32 vcc, s68, v22
	v_mov_b32_e32 v22, 0x7f800001
	v_cndmask_b32_e32 v9, v22, v9, vcc
.LBB4_11857:                            ;   in Loop: Header=BB4_11271 Depth=3
	s_or_b64 exec, exec, s[36:37]
	v_add_f32_e32 v8, v8, v9
	v_and_b32_e32 v48, 0x7f800000, v8
	v_mov_b32_e32 v49, v3
	v_cmp_ne_u64_e32 vcc, s[62:63], v[48:49]
                                        ; implicit-def: $vgpr24
	s_and_saveexec_b64 s[40:41], vcc
	s_xor_b64 s[36:37], exec, s[40:41]
	s_cbranch_execz .LBB4_11871
; %bb.11858:                            ;   in Loop: Header=BB4_11271 Depth=3
	v_and_b32_e32 v48, 0x7fffffff, v8
	v_mov_b32_e32 v49, v3
	v_cmp_gt_u64_e32 vcc, s[72:73], v[48:49]
	v_and_b32_sdwa v35, v8, s70 dst_sel:DWORD dst_unused:UNUSED_PAD src0_sel:BYTE_3 src1_sel:DWORD
                                        ; implicit-def: $vgpr24
	s_and_saveexec_b64 s[40:41], vcc
	s_xor_b64 s[38:39], exec, s[40:41]
	s_cbranch_execz .LBB4_11868
; %bb.11859:                            ;   in Loop: Header=BB4_11271 Depth=3
	v_mov_b32_e32 v24, 0
	v_cmp_ne_u32_e32 vcc, 0, v8
	s_and_saveexec_b64 s[48:49], vcc
	s_cbranch_execz .LBB4_11867
; %bb.11860:                            ;   in Loop: Header=BB4_11271 Depth=3
	v_bfe_u32 v24, v8, 23, 8
	v_and_b32_e32 v9, 0x7fffff, v8
	v_cmp_gt_u32_e64 s[40:41], s71, v24
	v_sub_u32_e32 v8, 0x79, v24
	v_cmp_eq_u32_e32 vcc, 0, v24
	v_cndmask_b32_e64 v8, 0, v8, s[40:41]
	v_mov_b32_e32 v23, 0x78
	v_or_b32_e32 v22, 0x800000, v9
	v_cndmask_b32_e32 v37, v8, v23, vcc
	v_cndmask_b32_e32 v8, v22, v9, vcc
	v_add_u32_e32 v22, 20, v37
	v_lshlrev_b64 v[48:49], v22, -1
	v_mov_b32_e32 v9, v3
	v_add_u32_e32 v22, 19, v37
	v_bfi_b32 v48, v48, 0, v8
	v_lshlrev_b64 v[50:51], v22, 1
	v_lshrrev_b64 v[8:9], v37, v[8:9]
	v_bfi_b32 v49, v49, 0, 0
	v_cmp_eq_u64_e64 s[40:41], v[48:49], v[50:51]
	v_mov_b32_e32 v45, v9
	v_mov_b32_e32 v44, v8
	s_and_saveexec_b64 s[50:51], s[40:41]
; %bb.11861:                            ;   in Loop: Header=BB4_11271 Depth=3
	v_bfe_u32 v9, v8, 20, 1
	v_add_co_u32_e64 v9, s[40:41], v8, v9
	v_add_co_u32_e64 v44, s[40:41], -1, v9
; %bb.11862:                            ;   in Loop: Header=BB4_11271 Depth=3
	s_or_b64 exec, exec, s[50:51]
	v_add_u32_e32 v9, 0xffffff81, v24
	v_mov_b32_e32 v22, 0xffffff82
	v_cndmask_b32_e32 v9, v9, v22, vcc
	v_lshrrev_b32_e32 v22, 23, v8
	v_add3_u32 v39, v37, v9, v22
	v_add_u32_e32 v37, 6, v39
	v_and_b32_e32 v9, 0xfffff, v44
	v_add_u32_e32 v8, v9, v8
	v_mov_b32_e32 v9, v3
	v_cmp_ne_u32_e32 vcc, 0, v37
                                        ; implicit-def: $vgpr24
	s_and_saveexec_b64 s[40:41], vcc
	s_xor_b64 s[40:41], exec, s[40:41]
; %bb.11863:                            ;   in Loop: Header=BB4_11271 Depth=3
	v_cmp_lt_u64_e32 vcc, s[74:75], v[8:9]
	v_add_u32_e32 v22, 7, v39
	v_cndmask_b32_e32 v24, v37, v22, vcc
	v_cndmask_b32_e64 v22, 0, 1, vcc
	v_lshrrev_b64 v[8:9], v22, v[8:9]
; %bb.11864:                            ;   in Loop: Header=BB4_11271 Depth=3
	s_andn2_saveexec_b64 s[40:41], s[40:41]
; %bb.11865:                            ;   in Loop: Header=BB4_11271 Depth=3
	v_bfe_u32 v24, v8, 23, 1
; %bb.11866:                            ;   in Loop: Header=BB4_11271 Depth=3
	s_or_b64 exec, exec, s[40:41]
	v_lshrrev_b64 v[8:9], 20, v[8:9]
	v_cmp_gt_i32_e32 vcc, 16, v24
	v_cndmask_b32_e32 v9, 0, v9, vcc
	v_cndmask_b32_e32 v8, 7, v8, vcc
	v_cmp_eq_u64_e64 s[40:41], 0, v[8:9]
	v_min_i32_e32 v9, 15, v24
	v_lshlrev_b32_e32 v9, 3, v9
	v_cmp_eq_u32_e32 vcc, 0, v24
	v_and_b32_e32 v9, 0xf8, v9
	v_and_or_b32 v8, v8, 7, v9
	s_and_b64 s[40:41], vcc, s[40:41]
	v_cndmask_b32_e64 v8, v8, 0, s[40:41]
	v_or_b32_e32 v24, v8, v35
.LBB4_11867:                            ;   in Loop: Header=BB4_11271 Depth=3
	s_or_b64 exec, exec, s[48:49]
                                        ; implicit-def: $vgpr35
.LBB4_11868:                            ;   in Loop: Header=BB4_11271 Depth=3
	s_andn2_saveexec_b64 s[40:41], s[38:39]
; %bb.11869:                            ;   in Loop: Header=BB4_11271 Depth=3
	v_or_b32_e32 v24, 0x7e, v35
; %bb.11870:                            ;   in Loop: Header=BB4_11271 Depth=3
	s_or_b64 exec, exec, s[40:41]
                                        ; implicit-def: $vgpr8
.LBB4_11871:                            ;   in Loop: Header=BB4_11271 Depth=3
	s_andn2_saveexec_b64 s[40:41], s[36:37]
; %bb.11872:                            ;   in Loop: Header=BB4_11271 Depth=3
	v_or_b32_sdwa v24, v8, s68 dst_sel:DWORD dst_unused:UNUSED_PAD src0_sel:BYTE_3 src1_sel:DWORD
; %bb.11873:                            ;   in Loop: Header=BB4_11271 Depth=3
	s_or_b64 exec, exec, s[40:41]
	v_lshrrev_b16_e32 v8, 8, v29
	v_cmp_ne_u16_e32 vcc, 0, v8
	v_mov_b32_e32 v35, 0
	s_and_saveexec_b64 s[40:41], vcc
	s_cbranch_execz .LBB4_11879
; %bb.11874:                            ;   in Loop: Header=BB4_11271 Depth=3
	v_cmp_ne_u16_e32 vcc, s70, v8
	v_bfrev_b32_e32 v35, 1
	s_and_saveexec_b64 s[36:37], vcc
	s_cbranch_execz .LBB4_11878
; %bb.11875:                            ;   in Loop: Header=BB4_11271 Depth=3
	v_and_b32_e32 v9, 0x7f, v8
	v_cmp_ne_u32_e32 vcc, s68, v9
	v_mov_b32_e32 v35, 0x7f800001
	s_and_saveexec_b64 s[38:39], vcc
	s_cbranch_execz .LBB4_11877
; %bb.11876:                            ;   in Loop: Header=BB4_11271 Depth=3
	v_and_b32_e32 v22, 7, v8
	v_lshrrev_b32_e32 v23, 3, v9
	v_cmp_gt_u32_e32 vcc, 8, v9
	v_ffbh_u32_e32 v9, v22
	v_min_u32_e32 v32, 32, v9
	v_subrev_u32_e32 v9, 28, v32
	v_lshlrev_b64 v[8:9], v9, v[8:9]
	v_sub_u32_e32 v9, 29, v32
	v_and_b32_e32 v8, 7, v8
	v_cndmask_b32_e32 v9, v23, v9, vcc
	v_cndmask_b32_e32 v8, v22, v8, vcc
	v_lshlrev_b32_e32 v22, 16, v29
	v_lshlrev_b32_e32 v8, 20, v8
	v_and_b32_e32 v22, 0x80000000, v22
	v_lshl_add_u32 v9, v9, 23, v5
	v_or3_b32 v35, v22, v9, v8
.LBB4_11877:                            ;   in Loop: Header=BB4_11271 Depth=3
	s_or_b64 exec, exec, s[38:39]
.LBB4_11878:                            ;   in Loop: Header=BB4_11271 Depth=3
	s_or_b64 exec, exec, s[36:37]
.LBB4_11879:                            ;   in Loop: Header=BB4_11271 Depth=3
	s_or_b64 exec, exec, s[40:41]
	v_lshrrev_b16_e32 v8, 8, v10
	v_cmp_lt_i16_e32 vcc, s68, v8
	s_mov_b64 s[40:41], 0
	s_and_saveexec_b64 s[36:37], vcc
	s_xor_b64 s[36:37], exec, s[36:37]
	s_cbranch_execz .LBB4_12071
; %bb.11880:                            ;   in Loop: Header=BB4_11271 Depth=3
	v_cmp_eq_u16_e32 vcc, s70, v8
	s_mov_b64 s[40:41], -1
	s_and_saveexec_b64 s[38:39], vcc
; %bb.11881:                            ;   in Loop: Header=BB4_11271 Depth=3
	s_xor_b64 s[40:41], exec, -1
; %bb.11882:                            ;   in Loop: Header=BB4_11271 Depth=3
	s_or_b64 exec, exec, s[38:39]
	s_and_b64 s[40:41], s[40:41], exec
	s_or_saveexec_b64 s[36:37], s[36:37]
	v_bfrev_b32_e32 v9, 1
	s_xor_b64 exec, exec, s[36:37]
	s_cbranch_execnz .LBB4_12072
.LBB4_11883:                            ;   in Loop: Header=BB4_11271 Depth=3
	s_or_b64 exec, exec, s[36:37]
	s_and_saveexec_b64 s[36:37], s[40:41]
	s_cbranch_execz .LBB4_11885
.LBB4_11884:                            ;   in Loop: Header=BB4_11271 Depth=3
	v_and_b32_e32 v22, 7, v8
	v_ffbh_u32_e32 v32, v22
	v_min_u32_e32 v32, 32, v32
	v_mov_b32_e32 v9, v3
	v_subrev_u32_e32 v33, 28, v32
	v_lshlrev_b64 v[48:49], v33, v[8:9]
	v_and_b32_e32 v23, 0x7f, v8
	v_bfe_u32 v29, v8, 3, 4
	v_sub_u32_e32 v9, 29, v32
	v_and_b32_e32 v32, 7, v48
	v_cmp_gt_u32_e32 vcc, 8, v23
	v_cndmask_b32_e32 v9, v29, v9, vcc
	v_cndmask_b32_e32 v22, v22, v32, vcc
	v_lshlrev_b32_e32 v8, 24, v8
	v_lshlrev_b32_e32 v22, 20, v22
	v_and_b32_e32 v8, 0x80000000, v8
	v_lshl_add_u32 v9, v9, 23, v5
	v_or3_b32 v8, v8, v9, v22
	v_cmp_ne_u32_e32 vcc, s68, v23
	v_mov_b32_e32 v9, 0x7f800001
	v_cndmask_b32_e32 v9, v9, v8, vcc
.LBB4_11885:                            ;   in Loop: Header=BB4_11271 Depth=3
	s_or_b64 exec, exec, s[36:37]
	v_add_f32_e32 v8, v35, v9
	v_and_b32_e32 v48, 0x7f800000, v8
	v_mov_b32_e32 v49, v3
	v_cmp_ne_u64_e32 vcc, s[62:63], v[48:49]
                                        ; implicit-def: $vgpr29
	s_and_saveexec_b64 s[40:41], vcc
	s_xor_b64 s[36:37], exec, s[40:41]
	s_cbranch_execz .LBB4_11899
; %bb.11886:                            ;   in Loop: Header=BB4_11271 Depth=3
	v_and_b32_e32 v48, 0x7fffffff, v8
	v_mov_b32_e32 v49, v3
	v_cmp_gt_u64_e32 vcc, s[72:73], v[48:49]
	v_and_b32_sdwa v35, v8, s70 dst_sel:DWORD dst_unused:UNUSED_PAD src0_sel:BYTE_3 src1_sel:DWORD
                                        ; implicit-def: $vgpr29
	s_and_saveexec_b64 s[40:41], vcc
	s_xor_b64 s[38:39], exec, s[40:41]
	s_cbranch_execz .LBB4_11896
; %bb.11887:                            ;   in Loop: Header=BB4_11271 Depth=3
	v_mov_b32_e32 v29, 0
	v_cmp_ne_u32_e32 vcc, 0, v8
	s_and_saveexec_b64 s[48:49], vcc
	s_cbranch_execz .LBB4_11895
; %bb.11888:                            ;   in Loop: Header=BB4_11271 Depth=3
	v_bfe_u32 v29, v8, 23, 8
	v_and_b32_e32 v9, 0x7fffff, v8
	v_cmp_gt_u32_e64 s[40:41], s71, v29
	v_sub_u32_e32 v8, 0x79, v29
	v_cmp_eq_u32_e32 vcc, 0, v29
	v_cndmask_b32_e64 v8, 0, v8, s[40:41]
	v_mov_b32_e32 v23, 0x78
	v_or_b32_e32 v22, 0x800000, v9
	v_cndmask_b32_e32 v37, v8, v23, vcc
	v_cndmask_b32_e32 v8, v22, v9, vcc
	v_add_u32_e32 v22, 20, v37
	v_lshlrev_b64 v[48:49], v22, -1
	v_mov_b32_e32 v9, v3
	v_add_u32_e32 v22, 19, v37
	v_bfi_b32 v48, v48, 0, v8
	v_lshlrev_b64 v[50:51], v22, 1
	v_lshrrev_b64 v[8:9], v37, v[8:9]
	v_bfi_b32 v49, v49, 0, 0
	v_cmp_eq_u64_e64 s[40:41], v[48:49], v[50:51]
	v_mov_b32_e32 v45, v9
	v_mov_b32_e32 v44, v8
	s_and_saveexec_b64 s[50:51], s[40:41]
; %bb.11889:                            ;   in Loop: Header=BB4_11271 Depth=3
	v_bfe_u32 v9, v8, 20, 1
	v_add_co_u32_e64 v9, s[40:41], v8, v9
	v_add_co_u32_e64 v44, s[40:41], -1, v9
; %bb.11890:                            ;   in Loop: Header=BB4_11271 Depth=3
	s_or_b64 exec, exec, s[50:51]
	v_add_u32_e32 v9, 0xffffff81, v29
	v_mov_b32_e32 v22, 0xffffff82
	v_cndmask_b32_e32 v9, v9, v22, vcc
	v_lshrrev_b32_e32 v22, 23, v8
	v_add3_u32 v39, v37, v9, v22
	v_add_u32_e32 v37, 6, v39
	v_and_b32_e32 v9, 0xfffff, v44
	v_add_u32_e32 v8, v9, v8
	v_mov_b32_e32 v9, v3
	v_cmp_ne_u32_e32 vcc, 0, v37
                                        ; implicit-def: $vgpr29
	s_and_saveexec_b64 s[40:41], vcc
	s_xor_b64 s[40:41], exec, s[40:41]
; %bb.11891:                            ;   in Loop: Header=BB4_11271 Depth=3
	v_cmp_lt_u64_e32 vcc, s[74:75], v[8:9]
	v_add_u32_e32 v22, 7, v39
	v_cndmask_b32_e32 v29, v37, v22, vcc
	v_cndmask_b32_e64 v22, 0, 1, vcc
	v_lshrrev_b64 v[8:9], v22, v[8:9]
; %bb.11892:                            ;   in Loop: Header=BB4_11271 Depth=3
	s_andn2_saveexec_b64 s[40:41], s[40:41]
; %bb.11893:                            ;   in Loop: Header=BB4_11271 Depth=3
	v_bfe_u32 v29, v8, 23, 1
; %bb.11894:                            ;   in Loop: Header=BB4_11271 Depth=3
	s_or_b64 exec, exec, s[40:41]
	v_lshrrev_b64 v[8:9], 20, v[8:9]
	v_cmp_gt_i32_e32 vcc, 16, v29
	v_cndmask_b32_e32 v9, 0, v9, vcc
	v_cndmask_b32_e32 v8, 7, v8, vcc
	v_cmp_eq_u64_e64 s[40:41], 0, v[8:9]
	v_min_i32_e32 v9, 15, v29
	v_lshlrev_b32_e32 v9, 3, v9
	v_cmp_eq_u32_e32 vcc, 0, v29
	v_and_b32_e32 v9, 0xf8, v9
	v_and_or_b32 v8, v8, 7, v9
	s_and_b64 s[40:41], vcc, s[40:41]
	v_cndmask_b32_e64 v8, v8, 0, s[40:41]
	v_or_b32_e32 v29, v8, v35
.LBB4_11895:                            ;   in Loop: Header=BB4_11271 Depth=3
	s_or_b64 exec, exec, s[48:49]
                                        ; implicit-def: $vgpr35
.LBB4_11896:                            ;   in Loop: Header=BB4_11271 Depth=3
	s_andn2_saveexec_b64 s[40:41], s[38:39]
; %bb.11897:                            ;   in Loop: Header=BB4_11271 Depth=3
	v_or_b32_e32 v29, 0x7e, v35
; %bb.11898:                            ;   in Loop: Header=BB4_11271 Depth=3
	s_or_b64 exec, exec, s[40:41]
                                        ; implicit-def: $vgpr8
.LBB4_11899:                            ;   in Loop: Header=BB4_11271 Depth=3
	s_andn2_saveexec_b64 s[40:41], s[36:37]
; %bb.11900:                            ;   in Loop: Header=BB4_11271 Depth=3
	v_or_b32_sdwa v29, v8, s68 dst_sel:DWORD dst_unused:UNUSED_PAD src0_sel:BYTE_3 src1_sel:DWORD
; %bb.11901:                            ;   in Loop: Header=BB4_11271 Depth=3
	s_or_b64 exec, exec, s[40:41]
	v_lshrrev_b32_e32 v8, 16, v2
	v_cmp_ne_u16_sdwa vcc, v8, v3 src0_sel:BYTE_0 src1_sel:DWORD
	v_mov_b32_e32 v9, 0
	s_and_saveexec_b64 s[40:41], vcc
	s_cbranch_execz .LBB4_11907
; %bb.11902:                            ;   in Loop: Header=BB4_11271 Depth=3
	v_cmp_ne_u16_sdwa vcc, v8, s70 src0_sel:BYTE_0 src1_sel:DWORD
	v_bfrev_b32_e32 v9, 1
	s_and_saveexec_b64 s[36:37], vcc
	s_cbranch_execz .LBB4_11906
; %bb.11903:                            ;   in Loop: Header=BB4_11271 Depth=3
	v_bfe_u32 v35, v2, 16, 7
	v_cmp_ne_u32_e32 vcc, s68, v35
	v_mov_b32_e32 v9, 0x7f800001
	s_and_saveexec_b64 s[38:39], vcc
	s_cbranch_execz .LBB4_11905
; %bb.11904:                            ;   in Loop: Header=BB4_11271 Depth=3
	v_and_b32_e32 v9, 7, v8
	v_ffbh_u32_e32 v23, v9
	v_min_u32_e32 v23, 32, v23
	v_subrev_u32_e32 v32, 28, v23
	v_lshlrev_b64 v[48:49], v32, v[8:9]
	v_lshrrev_b32_e32 v22, 3, v35
	v_cmp_gt_u32_e32 vcc, 8, v35
	v_sub_u32_e32 v23, 29, v23
	v_and_b32_e32 v32, 7, v48
	v_cndmask_b32_e32 v22, v22, v23, vcc
	v_cndmask_b32_e32 v9, v9, v32, vcc
	v_lshlrev_b32_e32 v8, 24, v8
	v_lshlrev_b32_e32 v9, 20, v9
	v_and_b32_e32 v8, 0x80000000, v8
	v_lshl_add_u32 v22, v22, 23, v5
	v_or3_b32 v9, v8, v22, v9
.LBB4_11905:                            ;   in Loop: Header=BB4_11271 Depth=3
	s_or_b64 exec, exec, s[38:39]
.LBB4_11906:                            ;   in Loop: Header=BB4_11271 Depth=3
	s_or_b64 exec, exec, s[36:37]
.LBB4_11907:                            ;   in Loop: Header=BB4_11271 Depth=3
	s_or_b64 exec, exec, s[40:41]
	v_lshrrev_b32_e32 v8, 16, v10
	v_cmp_gt_i16_sdwa vcc, v8, s68 src0_sel:BYTE_0 src1_sel:DWORD
	s_mov_b64 s[40:41], 0
	s_and_saveexec_b64 s[36:37], vcc
	s_xor_b64 vcc, exec, s[36:37]
	s_cbranch_execz .LBB4_12073
; %bb.11908:                            ;   in Loop: Header=BB4_11271 Depth=3
	v_cmp_eq_u16_sdwa s[38:39], v8, s70 src0_sel:BYTE_0 src1_sel:DWORD
	s_mov_b64 s[40:41], -1
	s_and_saveexec_b64 s[36:37], s[38:39]
; %bb.11909:                            ;   in Loop: Header=BB4_11271 Depth=3
	s_xor_b64 s[40:41], exec, -1
; %bb.11910:                            ;   in Loop: Header=BB4_11271 Depth=3
	s_or_b64 exec, exec, s[36:37]
	s_and_b64 s[40:41], s[40:41], exec
	s_or_saveexec_b64 vcc, vcc
	v_bfrev_b32_e32 v35, 1
	s_xor_b64 exec, exec, vcc
	s_cbranch_execnz .LBB4_12074
.LBB4_11911:                            ;   in Loop: Header=BB4_11271 Depth=3
	s_or_b64 exec, exec, vcc
	s_and_saveexec_b64 s[36:37], s[40:41]
	s_cbranch_execz .LBB4_11913
.LBB4_11912:                            ;   in Loop: Header=BB4_11271 Depth=3
	v_and_b32_e32 v22, 7, v8
	v_ffbh_u32_e32 v33, v22
	v_min_u32_e32 v33, 32, v33
	v_subrev_u32_e32 v35, 28, v33
	v_lshlrev_b64 v[48:49], v35, v[8:9]
	v_and_b32_e32 v23, 0x7f, v8
	v_bfe_u32 v32, v8, 3, 4
	v_sub_u32_e32 v33, 29, v33
	v_and_b32_e32 v35, 7, v48
	v_cmp_gt_u32_e32 vcc, 8, v23
	v_cndmask_b32_e32 v32, v32, v33, vcc
	v_cndmask_b32_e32 v22, v22, v35, vcc
	v_lshlrev_b32_e32 v8, 24, v8
	v_lshlrev_b32_e32 v22, 20, v22
	v_and_b32_e32 v8, 0x80000000, v8
	v_lshl_add_u32 v32, v32, 23, v5
	v_or3_b32 v8, v8, v32, v22
	v_cmp_ne_u32_e32 vcc, s68, v23
	v_mov_b32_e32 v22, 0x7f800001
	v_cndmask_b32_e32 v35, v22, v8, vcc
.LBB4_11913:                            ;   in Loop: Header=BB4_11271 Depth=3
	s_or_b64 exec, exec, s[36:37]
	v_add_f32_e32 v8, v9, v35
	v_and_b32_e32 v48, 0x7f800000, v8
	v_mov_b32_e32 v49, v3
	v_cmp_ne_u64_e32 vcc, s[62:63], v[48:49]
                                        ; implicit-def: $vgpr35
	s_and_saveexec_b64 s[40:41], vcc
	s_xor_b64 s[36:37], exec, s[40:41]
	s_cbranch_execz .LBB4_11927
; %bb.11914:                            ;   in Loop: Header=BB4_11271 Depth=3
	v_and_b32_e32 v48, 0x7fffffff, v8
	v_mov_b32_e32 v49, v3
	v_cmp_gt_u64_e32 vcc, s[72:73], v[48:49]
	v_and_b32_sdwa v37, v8, s70 dst_sel:DWORD dst_unused:UNUSED_PAD src0_sel:BYTE_3 src1_sel:DWORD
                                        ; implicit-def: $vgpr35
	s_and_saveexec_b64 s[40:41], vcc
	s_xor_b64 s[38:39], exec, s[40:41]
	s_cbranch_execz .LBB4_11924
; %bb.11915:                            ;   in Loop: Header=BB4_11271 Depth=3
	v_mov_b32_e32 v35, 0
	v_cmp_ne_u32_e32 vcc, 0, v8
	s_and_saveexec_b64 s[48:49], vcc
	s_cbranch_execz .LBB4_11923
; %bb.11916:                            ;   in Loop: Header=BB4_11271 Depth=3
	v_bfe_u32 v35, v8, 23, 8
	v_and_b32_e32 v9, 0x7fffff, v8
	v_cmp_gt_u32_e64 s[40:41], s71, v35
	v_sub_u32_e32 v8, 0x79, v35
	v_cmp_eq_u32_e32 vcc, 0, v35
	v_cndmask_b32_e64 v8, 0, v8, s[40:41]
	v_mov_b32_e32 v23, 0x78
	v_or_b32_e32 v22, 0x800000, v9
	v_cndmask_b32_e32 v39, v8, v23, vcc
	v_cndmask_b32_e32 v8, v22, v9, vcc
	v_add_u32_e32 v22, 20, v39
	v_lshlrev_b64 v[48:49], v22, -1
	v_mov_b32_e32 v9, v3
	v_add_u32_e32 v22, 19, v39
	v_bfi_b32 v48, v48, 0, v8
	v_lshlrev_b64 v[50:51], v22, 1
	v_lshrrev_b64 v[8:9], v39, v[8:9]
	v_bfi_b32 v49, v49, 0, 0
	v_cmp_eq_u64_e64 s[40:41], v[48:49], v[50:51]
	v_mov_b32_e32 v45, v9
	v_mov_b32_e32 v44, v8
	s_and_saveexec_b64 s[50:51], s[40:41]
; %bb.11917:                            ;   in Loop: Header=BB4_11271 Depth=3
	v_bfe_u32 v9, v8, 20, 1
	v_add_co_u32_e64 v9, s[40:41], v8, v9
	v_add_co_u32_e64 v44, s[40:41], -1, v9
; %bb.11918:                            ;   in Loop: Header=BB4_11271 Depth=3
	s_or_b64 exec, exec, s[50:51]
	v_add_u32_e32 v9, 0xffffff81, v35
	v_mov_b32_e32 v22, 0xffffff82
	v_cndmask_b32_e32 v9, v9, v22, vcc
	v_lshrrev_b32_e32 v22, 23, v8
	v_add3_u32 v48, v39, v9, v22
	v_add_u32_e32 v39, 6, v48
	v_and_b32_e32 v9, 0xfffff, v44
	v_add_u32_e32 v8, v9, v8
	v_mov_b32_e32 v9, v3
	v_cmp_ne_u32_e32 vcc, 0, v39
                                        ; implicit-def: $vgpr35
	s_and_saveexec_b64 s[40:41], vcc
	s_xor_b64 s[40:41], exec, s[40:41]
; %bb.11919:                            ;   in Loop: Header=BB4_11271 Depth=3
	v_cmp_lt_u64_e32 vcc, s[74:75], v[8:9]
	v_add_u32_e32 v22, 7, v48
	v_cndmask_b32_e32 v35, v39, v22, vcc
	v_cndmask_b32_e64 v22, 0, 1, vcc
	v_lshrrev_b64 v[8:9], v22, v[8:9]
; %bb.11920:                            ;   in Loop: Header=BB4_11271 Depth=3
	s_andn2_saveexec_b64 s[40:41], s[40:41]
; %bb.11921:                            ;   in Loop: Header=BB4_11271 Depth=3
	v_bfe_u32 v35, v8, 23, 1
; %bb.11922:                            ;   in Loop: Header=BB4_11271 Depth=3
	s_or_b64 exec, exec, s[40:41]
	v_lshrrev_b64 v[8:9], 20, v[8:9]
	v_cmp_gt_i32_e32 vcc, 16, v35
	v_cndmask_b32_e32 v9, 0, v9, vcc
	v_cndmask_b32_e32 v8, 7, v8, vcc
	v_cmp_eq_u64_e64 s[40:41], 0, v[8:9]
	v_min_i32_e32 v9, 15, v35
	v_lshlrev_b32_e32 v9, 3, v9
	v_cmp_eq_u32_e32 vcc, 0, v35
	v_and_b32_e32 v9, 0xf8, v9
	v_and_or_b32 v8, v8, 7, v9
	s_and_b64 s[40:41], vcc, s[40:41]
	v_cndmask_b32_e64 v8, v8, 0, s[40:41]
	v_or_b32_e32 v35, v8, v37
.LBB4_11923:                            ;   in Loop: Header=BB4_11271 Depth=3
	s_or_b64 exec, exec, s[48:49]
                                        ; implicit-def: $vgpr37
.LBB4_11924:                            ;   in Loop: Header=BB4_11271 Depth=3
	s_andn2_saveexec_b64 s[40:41], s[38:39]
; %bb.11925:                            ;   in Loop: Header=BB4_11271 Depth=3
	v_or_b32_e32 v35, 0x7e, v37
; %bb.11926:                            ;   in Loop: Header=BB4_11271 Depth=3
	s_or_b64 exec, exec, s[40:41]
                                        ; implicit-def: $vgpr8
.LBB4_11927:                            ;   in Loop: Header=BB4_11271 Depth=3
	s_andn2_saveexec_b64 s[40:41], s[36:37]
; %bb.11928:                            ;   in Loop: Header=BB4_11271 Depth=3
	v_or_b32_sdwa v35, v8, s68 dst_sel:DWORD dst_unused:UNUSED_PAD src0_sel:BYTE_3 src1_sel:DWORD
; %bb.11929:                            ;   in Loop: Header=BB4_11271 Depth=3
	s_or_b64 exec, exec, s[40:41]
	v_cmp_lt_u32_e32 vcc, s57, v2
	v_mov_b32_e32 v9, 0
	s_and_saveexec_b64 s[40:41], vcc
	s_cbranch_execz .LBB4_11935
; %bb.11930:                            ;   in Loop: Header=BB4_11271 Depth=3
	v_lshrrev_b32_e32 v8, 24, v2
	v_cmp_ne_u32_sdwa vcc, v2, s70 src0_sel:BYTE_3 src1_sel:DWORD
	v_bfrev_b32_e32 v9, 1
	s_and_saveexec_b64 s[36:37], vcc
	s_cbranch_execz .LBB4_11934
; %bb.11931:                            ;   in Loop: Header=BB4_11271 Depth=3
	v_bfe_u32 v37, v2, 24, 7
	v_cmp_ne_u32_e32 vcc, s68, v37
	v_mov_b32_e32 v9, 0x7f800001
	s_and_saveexec_b64 s[38:39], vcc
	s_cbranch_execz .LBB4_11933
; %bb.11932:                            ;   in Loop: Header=BB4_11271 Depth=3
	v_and_b32_e32 v22, 7, v8
	v_ffbh_u32_e32 v9, v22
	v_min_u32_e32 v32, 32, v9
	v_subrev_u32_e32 v9, 28, v32
	v_lshlrev_b64 v[8:9], v9, v[8:9]
	v_cmp_gt_u32_e32 vcc, 8, v37
	v_and_b32_e32 v8, 7, v8
	v_lshrrev_b32_e32 v23, 3, v37
	v_sub_u32_e32 v9, 29, v32
	v_cndmask_b32_e32 v8, v22, v8, vcc
	v_mov_b32_e32 v22, 24
	v_cndmask_b32_e32 v9, v23, v9, vcc
	v_lshlrev_b32_sdwa v2, v22, v2 dst_sel:DWORD dst_unused:UNUSED_PAD src0_sel:DWORD src1_sel:BYTE_3
	v_lshlrev_b32_e32 v8, 20, v8
	v_and_b32_e32 v2, 0x80000000, v2
	v_lshl_add_u32 v9, v9, 23, v5
	v_or3_b32 v9, v2, v9, v8
.LBB4_11933:                            ;   in Loop: Header=BB4_11271 Depth=3
	s_or_b64 exec, exec, s[38:39]
.LBB4_11934:                            ;   in Loop: Header=BB4_11271 Depth=3
	s_or_b64 exec, exec, s[36:37]
.LBB4_11935:                            ;   in Loop: Header=BB4_11271 Depth=3
	s_or_b64 exec, exec, s[40:41]
	v_bfe_u32 v8, v10, 24, 3
	v_ffbh_u32_e32 v32, v8
	v_min_u32_e32 v32, 32, v32
	v_lshrrev_b32_e32 v2, 24, v10
	v_subrev_u32_e32 v33, 28, v32
	v_lshlrev_b64 v[48:49], v33, v[2:3]
	v_bfe_u32 v22, v10, 24, 7
	v_bfe_u32 v23, v2, 3, 4
	v_sub_u32_e32 v32, 29, v32
	v_and_b32_e32 v33, 7, v48
	v_cmp_gt_u32_e32 vcc, 8, v22
	v_cndmask_b32_e32 v23, v23, v32, vcc
	v_cndmask_b32_e32 v8, v8, v33, vcc
	v_lshlrev_b32_e32 v8, 20, v8
	v_and_b32_e32 v32, 0x80000000, v10
	v_lshl_add_u32 v23, v23, 23, v5
	v_or3_b32 v8, v32, v23, v8
	v_cmp_ne_u32_e32 vcc, s68, v22
	v_mov_b32_e32 v22, 0x7f800001
	v_cndmask_b32_e32 v8, v22, v8, vcc
	v_cmp_ne_u32_e32 vcc, s70, v2
	v_bfrev_b32_e32 v2, 1
	v_cndmask_b32_e32 v2, v2, v8, vcc
	v_cmp_lt_u32_e32 vcc, s57, v10
	v_cndmask_b32_e32 v2, 0, v2, vcc
	v_add_f32_e32 v8, v2, v9
	v_and_b32_e32 v2, 0x7f800000, v8
	v_cmp_ne_u64_e32 vcc, s[62:63], v[2:3]
                                        ; implicit-def: $vgpr37
	s_and_saveexec_b64 s[40:41], vcc
	s_xor_b64 s[36:37], exec, s[40:41]
	s_cbranch_execz .LBB4_11949
; %bb.11936:                            ;   in Loop: Header=BB4_11271 Depth=3
	v_and_b32_e32 v2, 0x7fffffff, v8
	v_cmp_gt_u64_e32 vcc, s[72:73], v[2:3]
	v_and_b32_sdwa v39, v8, s70 dst_sel:DWORD dst_unused:UNUSED_PAD src0_sel:BYTE_3 src1_sel:DWORD
                                        ; implicit-def: $vgpr37
	s_and_saveexec_b64 s[40:41], vcc
	s_xor_b64 s[38:39], exec, s[40:41]
	s_cbranch_execz .LBB4_11946
; %bb.11937:                            ;   in Loop: Header=BB4_11271 Depth=3
	v_mov_b32_e32 v37, 0
	v_cmp_ne_u32_e32 vcc, 0, v8
	s_and_saveexec_b64 s[48:49], vcc
	s_cbranch_execz .LBB4_11945
; %bb.11938:                            ;   in Loop: Header=BB4_11271 Depth=3
	v_bfe_u32 v37, v8, 23, 8
	v_and_b32_e32 v2, 0x7fffff, v8
	v_cmp_gt_u32_e64 s[40:41], s71, v37
	v_sub_u32_e32 v8, 0x79, v37
	v_cmp_eq_u32_e32 vcc, 0, v37
	v_cndmask_b32_e64 v8, 0, v8, s[40:41]
	v_mov_b32_e32 v22, 0x78
	v_cndmask_b32_e32 v48, v8, v22, vcc
	v_or_b32_e32 v9, 0x800000, v2
	v_add_u32_e32 v8, 20, v48
	v_cndmask_b32_e32 v2, v9, v2, vcc
	v_lshlrev_b64 v[8:9], v8, -1
	v_add_u32_e32 v22, 19, v48
	v_lshlrev_b64 v[49:50], v22, 1
	v_bfi_b32 v9, v9, 0, 0
	v_bfi_b32 v8, v8, 0, v2
	v_cmp_eq_u64_e64 s[40:41], v[8:9], v[49:50]
	v_lshrrev_b64 v[8:9], v48, v[2:3]
	v_mov_b32_e32 v45, v9
	v_mov_b32_e32 v44, v8
	s_and_saveexec_b64 s[50:51], s[40:41]
; %bb.11939:                            ;   in Loop: Header=BB4_11271 Depth=3
	v_bfe_u32 v2, v8, 20, 1
	v_add_co_u32_e64 v2, s[40:41], v8, v2
	v_add_co_u32_e64 v44, s[40:41], -1, v2
; %bb.11940:                            ;   in Loop: Header=BB4_11271 Depth=3
	s_or_b64 exec, exec, s[50:51]
	v_add_u32_e32 v2, 0xffffff81, v37
	v_mov_b32_e32 v9, 0xffffff82
	v_cndmask_b32_e32 v2, v2, v9, vcc
	v_lshrrev_b32_e32 v9, 23, v8
	v_add3_u32 v49, v48, v2, v9
	v_add_u32_e32 v48, 6, v49
	v_and_b32_e32 v2, 0xfffff, v44
	v_add_u32_e32 v2, v2, v8
	v_cmp_ne_u32_e32 vcc, 0, v48
                                        ; implicit-def: $vgpr8_vgpr9
                                        ; implicit-def: $vgpr37
	s_and_saveexec_b64 s[40:41], vcc
	s_xor_b64 s[40:41], exec, s[40:41]
; %bb.11941:                            ;   in Loop: Header=BB4_11271 Depth=3
	v_cmp_lt_u64_e32 vcc, s[74:75], v[2:3]
	v_add_u32_e32 v8, 7, v49
	v_cndmask_b32_e32 v37, v48, v8, vcc
	v_cndmask_b32_e64 v8, 0, 1, vcc
	v_lshrrev_b64 v[8:9], v8, v[2:3]
; %bb.11942:                            ;   in Loop: Header=BB4_11271 Depth=3
	s_andn2_saveexec_b64 s[40:41], s[40:41]
; %bb.11943:                            ;   in Loop: Header=BB4_11271 Depth=3
	v_mov_b32_e32 v9, v3
	v_mov_b32_e32 v8, v2
	v_bfe_u32 v37, v2, 23, 1
; %bb.11944:                            ;   in Loop: Header=BB4_11271 Depth=3
	s_or_b64 exec, exec, s[40:41]
	v_lshrrev_b64 v[8:9], 20, v[8:9]
	v_cmp_gt_i32_e32 vcc, 16, v37
	v_cndmask_b32_e32 v9, 0, v9, vcc
	v_cndmask_b32_e32 v8, 7, v8, vcc
	v_min_i32_e32 v2, 15, v37
	v_cmp_eq_u64_e64 s[40:41], 0, v[8:9]
	v_lshlrev_b32_e32 v2, 3, v2
	v_cmp_eq_u32_e32 vcc, 0, v37
	v_and_b32_e32 v2, 0xf8, v2
	v_and_or_b32 v2, v8, 7, v2
	s_and_b64 s[40:41], vcc, s[40:41]
	v_cndmask_b32_e64 v2, v2, 0, s[40:41]
	v_or_b32_e32 v37, v2, v39
.LBB4_11945:                            ;   in Loop: Header=BB4_11271 Depth=3
	s_or_b64 exec, exec, s[48:49]
                                        ; implicit-def: $vgpr39
.LBB4_11946:                            ;   in Loop: Header=BB4_11271 Depth=3
	s_andn2_saveexec_b64 s[40:41], s[38:39]
; %bb.11947:                            ;   in Loop: Header=BB4_11271 Depth=3
	v_or_b32_e32 v37, 0x7e, v39
; %bb.11948:                            ;   in Loop: Header=BB4_11271 Depth=3
	s_or_b64 exec, exec, s[40:41]
                                        ; implicit-def: $vgpr8
.LBB4_11949:                            ;   in Loop: Header=BB4_11271 Depth=3
	s_andn2_saveexec_b64 s[40:41], s[36:37]
; %bb.11950:                            ;   in Loop: Header=BB4_11271 Depth=3
	v_or_b32_sdwa v37, v8, s68 dst_sel:DWORD dst_unused:UNUSED_PAD src0_sel:BYTE_3 src1_sel:DWORD
; %bb.11951:                            ;   in Loop: Header=BB4_11271 Depth=3
	s_or_b64 exec, exec, s[40:41]
	v_lshlrev_b32_e32 v2, 24, v31
	v_lshlrev_b32_e32 v8, 16, v27
	v_lshl_or_b32 v25, v25, 8, v17
	v_or3_b32 v2, v8, v2, v25
	v_cmp_ne_u32_e32 vcc, 0, v17
	v_mov_b32_e32 v27, 0
	s_and_saveexec_b64 s[40:41], vcc
	s_cbranch_execz .LBB4_11957
; %bb.11952:                            ;   in Loop: Header=BB4_11271 Depth=3
	v_cmp_ne_u32_e32 vcc, s70, v17
	v_bfrev_b32_e32 v27, 1
	s_and_saveexec_b64 s[36:37], vcc
	s_cbranch_execz .LBB4_11956
; %bb.11953:                            ;   in Loop: Header=BB4_11271 Depth=3
	v_and_b32_e32 v8, 0x7f, v17
	v_cmp_ne_u32_e32 vcc, s68, v8
	v_mov_b32_e32 v27, 0x7f800001
	s_and_saveexec_b64 s[38:39], vcc
	s_cbranch_execz .LBB4_11955
; %bb.11954:                            ;   in Loop: Header=BB4_11271 Depth=3
	v_and_b32_e32 v9, 7, v17
	v_lshrrev_b32_e32 v17, 3, v8
	v_cmp_gt_u32_e32 vcc, 8, v8
	v_ffbh_u32_e32 v8, v9
	v_min_u32_e32 v8, 32, v8
	v_subrev_u32_e32 v9, 28, v8
	v_sub_u32_e32 v8, 29, v8
	v_cndmask_b32_e32 v17, v17, v8, vcc
	v_cndmask_b32_e32 v8, 0, v9, vcc
	v_lshlrev_b64 v[8:9], v8, v[2:3]
	v_lshlrev_b32_e32 v9, 24, v2
	v_lshlrev_b32_e32 v8, 20, v8
	v_and_b32_e32 v8, 0x700000, v8
	v_and_b32_e32 v9, 0x80000000, v9
	v_lshl_add_u32 v17, v17, 23, v5
	v_or3_b32 v27, v9, v17, v8
.LBB4_11955:                            ;   in Loop: Header=BB4_11271 Depth=3
	s_or_b64 exec, exec, s[38:39]
.LBB4_11956:                            ;   in Loop: Header=BB4_11271 Depth=3
	s_or_b64 exec, exec, s[36:37]
.LBB4_11957:                            ;   in Loop: Header=BB4_11271 Depth=3
	s_or_b64 exec, exec, s[40:41]
	v_cmp_gt_i16_sdwa vcc, v11, s68 src0_sel:BYTE_0 src1_sel:DWORD
	s_mov_b64 s[40:41], 0
	s_and_saveexec_b64 s[36:37], vcc
	s_xor_b64 vcc, exec, s[36:37]
	s_cbranch_execz .LBB4_11961
; %bb.11958:                            ;   in Loop: Header=BB4_11271 Depth=3
	v_cmp_eq_u16_sdwa s[38:39], v11, s70 src0_sel:BYTE_0 src1_sel:DWORD
	s_mov_b64 s[40:41], -1
	s_and_saveexec_b64 s[36:37], s[38:39]
; %bb.11959:                            ;   in Loop: Header=BB4_11271 Depth=3
	s_xor_b64 s[40:41], exec, -1
; %bb.11960:                            ;   in Loop: Header=BB4_11271 Depth=3
	s_or_b64 exec, exec, s[36:37]
	s_and_b64 s[40:41], s[40:41], exec
.LBB4_11961:                            ;   in Loop: Header=BB4_11271 Depth=3
	s_or_saveexec_b64 vcc, vcc
	v_bfrev_b32_e32 v17, 1
	s_xor_b64 exec, exec, vcc
; %bb.11962:                            ;   in Loop: Header=BB4_11271 Depth=3
	v_cmp_ne_u16_sdwa s[36:37], v11, v3 src0_sel:BYTE_0 src1_sel:DWORD
	s_andn2_b64 s[40:41], s[40:41], exec
	s_and_b64 s[36:37], s[36:37], exec
	v_mov_b32_e32 v17, 0
	s_or_b64 s[40:41], s[40:41], s[36:37]
; %bb.11963:                            ;   in Loop: Header=BB4_11271 Depth=3
	s_or_b64 exec, exec, vcc
	v_mov_b32_e32 v8, v11
	v_mov_b32_e32 v9, v3
	s_and_saveexec_b64 s[36:37], s[40:41]
	s_cbranch_execz .LBB4_11965
; %bb.11964:                            ;   in Loop: Header=BB4_11271 Depth=3
	v_and_b32_e32 v17, 7, v11
	v_ffbh_u32_e32 v17, v17
	v_and_b32_e32 v22, 0x7f, v11
	v_min_u32_e32 v17, 32, v17
	v_bfe_u32 v23, v11, 3, 4
	v_subrev_u32_e32 v31, 28, v17
	v_sub_u32_e32 v17, 29, v17
	v_cmp_gt_u32_e32 vcc, 8, v22
	v_cndmask_b32_e32 v17, v23, v17, vcc
	v_cndmask_b32_e32 v23, 0, v31, vcc
	v_lshlrev_b64 v[48:49], v23, v[8:9]
	v_lshlrev_b32_e32 v23, 24, v8
	v_lshlrev_b32_e32 v9, 20, v48
	v_and_b32_e32 v9, 0x700000, v9
	v_and_b32_e32 v23, 0x80000000, v23
	v_lshl_add_u32 v17, v17, 23, v5
	v_or3_b32 v9, v23, v17, v9
	v_cmp_ne_u32_e32 vcc, s68, v22
	v_mov_b32_e32 v17, 0x7f800001
	v_cndmask_b32_e32 v17, v17, v9, vcc
.LBB4_11965:                            ;   in Loop: Header=BB4_11271 Depth=3
	s_or_b64 exec, exec, s[36:37]
	v_add_f32_e32 v27, v27, v17
	v_and_b32_e32 v48, 0x7f800000, v27
	v_mov_b32_e32 v49, v3
	v_cmp_ne_u64_e32 vcc, s[62:63], v[48:49]
                                        ; implicit-def: $vgpr17
	s_and_saveexec_b64 s[40:41], vcc
	s_xor_b64 s[36:37], exec, s[40:41]
	s_cbranch_execz .LBB4_11979
; %bb.11966:                            ;   in Loop: Header=BB4_11271 Depth=3
	v_and_b32_e32 v48, 0x7fffffff, v27
	v_mov_b32_e32 v49, v3
	v_cmp_gt_u64_e32 vcc, s[72:73], v[48:49]
	v_and_b32_sdwa v9, v27, s70 dst_sel:DWORD dst_unused:UNUSED_PAD src0_sel:BYTE_3 src1_sel:DWORD
                                        ; implicit-def: $vgpr17
	s_and_saveexec_b64 s[40:41], vcc
	s_xor_b64 s[38:39], exec, s[40:41]
	s_cbranch_execz .LBB4_11976
; %bb.11967:                            ;   in Loop: Header=BB4_11271 Depth=3
	v_mov_b32_e32 v17, 0
	v_cmp_ne_u32_e32 vcc, 0, v27
	s_and_saveexec_b64 s[48:49], vcc
	s_cbranch_execz .LBB4_11975
; %bb.11968:                            ;   in Loop: Header=BB4_11271 Depth=3
	v_bfe_u32 v17, v27, 23, 8
	v_cmp_gt_u32_e64 s[40:41], s71, v17
	v_sub_u32_e32 v23, 0x79, v17
	v_and_b32_e32 v22, 0x7fffff, v27
	v_cmp_eq_u32_e32 vcc, 0, v17
	v_cndmask_b32_e64 v23, 0, v23, s[40:41]
	v_mov_b32_e32 v27, 0x78
	v_or_b32_e32 v31, 0x800000, v22
	v_cndmask_b32_e32 v27, v23, v27, vcc
	v_cndmask_b32_e32 v48, v31, v22, vcc
	v_add_u32_e32 v22, 20, v27
	v_mov_b32_e32 v49, v3
	v_lshlrev_b64 v[50:51], v22, -1
	v_add_u32_e32 v22, 19, v27
	v_lshlrev_b64 v[52:53], v22, 1
	v_lshrrev_b64 v[44:45], v27, v[48:49]
	v_bfi_b32 v51, v51, 0, 0
	v_bfi_b32 v50, v50, 0, v48
	v_cmp_eq_u64_e64 s[40:41], v[50:51], v[52:53]
	v_mov_b32_e32 v46, v45
	v_mov_b32_e32 v45, v44
	s_and_saveexec_b64 s[50:51], s[40:41]
; %bb.11969:                            ;   in Loop: Header=BB4_11271 Depth=3
	v_bfe_u32 v22, v44, 20, 1
	v_add_co_u32_e64 v22, s[40:41], v44, v22
	v_add_co_u32_e64 v45, s[40:41], -1, v22
; %bb.11970:                            ;   in Loop: Header=BB4_11271 Depth=3
	s_or_b64 exec, exec, s[50:51]
	v_add_u32_e32 v17, 0xffffff81, v17
	v_mov_b32_e32 v22, 0xffffff82
	v_cndmask_b32_e32 v17, v17, v22, vcc
	v_lshrrev_b32_e32 v22, 23, v44
	v_add3_u32 v31, v27, v17, v22
	v_add_u32_e32 v27, 6, v31
	v_and_b32_e32 v17, 0xfffff, v45
	v_add_u32_e32 v44, v17, v44
	v_mov_b32_e32 v45, v3
	v_cmp_ne_u32_e32 vcc, 0, v27
                                        ; implicit-def: $vgpr17
	s_and_saveexec_b64 s[40:41], vcc
	s_xor_b64 s[40:41], exec, s[40:41]
; %bb.11971:                            ;   in Loop: Header=BB4_11271 Depth=3
	v_cmp_lt_u64_e32 vcc, s[74:75], v[44:45]
	v_add_u32_e32 v17, 7, v31
	v_cndmask_b32_e64 v22, 0, 1, vcc
	v_cndmask_b32_e32 v17, v27, v17, vcc
	v_lshrrev_b64 v[44:45], v22, v[44:45]
; %bb.11972:                            ;   in Loop: Header=BB4_11271 Depth=3
	s_andn2_saveexec_b64 s[40:41], s[40:41]
; %bb.11973:                            ;   in Loop: Header=BB4_11271 Depth=3
	v_bfe_u32 v17, v44, 23, 1
; %bb.11974:                            ;   in Loop: Header=BB4_11271 Depth=3
	s_or_b64 exec, exec, s[40:41]
	v_lshrrev_b64 v[48:49], 20, v[44:45]
	v_cmp_gt_i32_e32 vcc, 16, v17
	v_cndmask_b32_e32 v49, 0, v49, vcc
	v_cndmask_b32_e32 v48, 7, v48, vcc
	v_cmp_eq_u32_e32 vcc, 0, v17
	v_min_i32_e32 v17, 15, v17
	v_cmp_eq_u64_e64 s[40:41], 0, v[48:49]
	v_lshlrev_b32_e32 v17, 3, v17
	v_and_b32_e32 v17, 0xf8, v17
	v_and_or_b32 v17, v48, 7, v17
	s_and_b64 s[40:41], vcc, s[40:41]
	v_cndmask_b32_e64 v17, v17, 0, s[40:41]
	v_or_b32_e32 v17, v17, v9
.LBB4_11975:                            ;   in Loop: Header=BB4_11271 Depth=3
	s_or_b64 exec, exec, s[48:49]
                                        ; implicit-def: $vgpr9
.LBB4_11976:                            ;   in Loop: Header=BB4_11271 Depth=3
	s_andn2_saveexec_b64 s[40:41], s[38:39]
; %bb.11977:                            ;   in Loop: Header=BB4_11271 Depth=3
	v_or_b32_e32 v17, 0x7e, v9
; %bb.11978:                            ;   in Loop: Header=BB4_11271 Depth=3
	s_or_b64 exec, exec, s[40:41]
                                        ; implicit-def: $vgpr27
.LBB4_11979:                            ;   in Loop: Header=BB4_11271 Depth=3
	s_andn2_saveexec_b64 s[40:41], s[36:37]
; %bb.11980:                            ;   in Loop: Header=BB4_11271 Depth=3
	v_or_b32_sdwa v17, v27, s68 dst_sel:DWORD dst_unused:UNUSED_PAD src0_sel:BYTE_3 src1_sel:DWORD
; %bb.11981:                            ;   in Loop: Header=BB4_11271 Depth=3
	s_or_b64 exec, exec, s[40:41]
	v_lshrrev_b16_e32 v9, 8, v25
	v_cmp_ne_u16_e32 vcc, 0, v9
	v_mov_b32_e32 v27, 0
	s_and_saveexec_b64 s[40:41], vcc
	s_cbranch_execz .LBB4_11987
; %bb.11982:                            ;   in Loop: Header=BB4_11271 Depth=3
	v_cmp_ne_u16_e32 vcc, s70, v9
	v_bfrev_b32_e32 v27, 1
	s_and_saveexec_b64 s[36:37], vcc
	s_cbranch_execz .LBB4_11986
; %bb.11983:                            ;   in Loop: Header=BB4_11271 Depth=3
	v_and_b32_e32 v31, 0x7f, v9
	v_cmp_ne_u32_e32 vcc, s68, v31
	v_mov_b32_e32 v27, 0x7f800001
	s_and_saveexec_b64 s[38:39], vcc
	s_cbranch_execz .LBB4_11985
; %bb.11984:                            ;   in Loop: Header=BB4_11271 Depth=3
	v_and_b32_e32 v22, 7, v9
	v_ffbh_u32_e32 v27, v22
	v_min_u32_e32 v27, 32, v27
	v_lshrrev_b32_e32 v23, 3, v31
	v_cmp_gt_u32_e32 vcc, 8, v31
	v_subrev_u32_e32 v31, 28, v27
	v_lshlrev_b64 v[48:49], v31, v[9:10]
	v_sub_u32_e32 v9, 29, v27
	v_and_b32_e32 v27, 7, v48
	v_cndmask_b32_e32 v9, v23, v9, vcc
	v_cndmask_b32_e32 v22, v22, v27, vcc
	v_lshlrev_b32_e32 v23, 16, v25
	v_lshlrev_b32_e32 v22, 20, v22
	v_and_b32_e32 v23, 0x80000000, v23
	v_lshl_add_u32 v9, v9, 23, v5
	v_or3_b32 v27, v23, v9, v22
.LBB4_11985:                            ;   in Loop: Header=BB4_11271 Depth=3
	s_or_b64 exec, exec, s[38:39]
.LBB4_11986:                            ;   in Loop: Header=BB4_11271 Depth=3
	s_or_b64 exec, exec, s[36:37]
.LBB4_11987:                            ;   in Loop: Header=BB4_11271 Depth=3
	s_or_b64 exec, exec, s[40:41]
	v_lshrrev_b16_e32 v8, 8, v8
	v_cmp_lt_i16_e32 vcc, s68, v8
	s_mov_b64 s[40:41], 0
	s_and_saveexec_b64 s[36:37], vcc
	s_xor_b64 s[36:37], exec, s[36:37]
	s_cbranch_execz .LBB4_12075
; %bb.11988:                            ;   in Loop: Header=BB4_11271 Depth=3
	v_cmp_eq_u16_e32 vcc, s70, v8
	s_mov_b64 s[40:41], -1
	s_and_saveexec_b64 s[38:39], vcc
; %bb.11989:                            ;   in Loop: Header=BB4_11271 Depth=3
	s_xor_b64 s[40:41], exec, -1
; %bb.11990:                            ;   in Loop: Header=BB4_11271 Depth=3
	s_or_b64 exec, exec, s[38:39]
	s_and_b64 s[40:41], s[40:41], exec
	s_or_saveexec_b64 s[36:37], s[36:37]
	v_bfrev_b32_e32 v9, 1
	s_xor_b64 exec, exec, s[36:37]
	s_cbranch_execnz .LBB4_12076
.LBB4_11991:                            ;   in Loop: Header=BB4_11271 Depth=3
	s_or_b64 exec, exec, s[36:37]
	s_and_saveexec_b64 s[36:37], s[40:41]
	s_cbranch_execz .LBB4_11993
.LBB4_11992:                            ;   in Loop: Header=BB4_11271 Depth=3
	v_and_b32_e32 v22, 7, v8
	v_ffbh_u32_e32 v31, v22
	v_min_u32_e32 v31, 32, v31
	v_mov_b32_e32 v9, v3
	v_subrev_u32_e32 v32, 28, v31
	v_lshlrev_b64 v[48:49], v32, v[8:9]
	v_and_b32_e32 v23, 0x7f, v8
	v_bfe_u32 v25, v8, 3, 4
	v_sub_u32_e32 v9, 29, v31
	v_and_b32_e32 v31, 7, v48
	v_cmp_gt_u32_e32 vcc, 8, v23
	v_cndmask_b32_e32 v9, v25, v9, vcc
	v_cndmask_b32_e32 v22, v22, v31, vcc
	v_lshlrev_b32_e32 v8, 24, v8
	v_lshlrev_b32_e32 v22, 20, v22
	v_and_b32_e32 v8, 0x80000000, v8
	v_lshl_add_u32 v9, v9, 23, v5
	v_or3_b32 v8, v8, v9, v22
	v_cmp_ne_u32_e32 vcc, s68, v23
	v_mov_b32_e32 v9, 0x7f800001
	v_cndmask_b32_e32 v9, v9, v8, vcc
.LBB4_11993:                            ;   in Loop: Header=BB4_11271 Depth=3
	s_or_b64 exec, exec, s[36:37]
	v_add_f32_e32 v8, v27, v9
	v_and_b32_e32 v48, 0x7f800000, v8
	v_mov_b32_e32 v49, v3
	v_cmp_ne_u64_e32 vcc, s[62:63], v[48:49]
                                        ; implicit-def: $vgpr25
	s_and_saveexec_b64 s[40:41], vcc
	s_xor_b64 s[36:37], exec, s[40:41]
	s_cbranch_execz .LBB4_12007
; %bb.11994:                            ;   in Loop: Header=BB4_11271 Depth=3
	v_and_b32_e32 v48, 0x7fffffff, v8
	v_mov_b32_e32 v49, v3
	v_cmp_gt_u64_e32 vcc, s[72:73], v[48:49]
	v_and_b32_sdwa v27, v8, s70 dst_sel:DWORD dst_unused:UNUSED_PAD src0_sel:BYTE_3 src1_sel:DWORD
                                        ; implicit-def: $vgpr25
	s_and_saveexec_b64 s[40:41], vcc
	s_xor_b64 s[38:39], exec, s[40:41]
	s_cbranch_execz .LBB4_12004
; %bb.11995:                            ;   in Loop: Header=BB4_11271 Depth=3
	v_mov_b32_e32 v25, 0
	v_cmp_ne_u32_e32 vcc, 0, v8
	s_and_saveexec_b64 s[48:49], vcc
	s_cbranch_execz .LBB4_12003
; %bb.11996:                            ;   in Loop: Header=BB4_11271 Depth=3
	v_bfe_u32 v25, v8, 23, 8
	v_and_b32_e32 v9, 0x7fffff, v8
	v_cmp_gt_u32_e64 s[40:41], s71, v25
	v_sub_u32_e32 v8, 0x79, v25
	v_cmp_eq_u32_e32 vcc, 0, v25
	v_cndmask_b32_e64 v8, 0, v8, s[40:41]
	v_mov_b32_e32 v23, 0x78
	v_or_b32_e32 v22, 0x800000, v9
	v_cndmask_b32_e32 v31, v8, v23, vcc
	v_cndmask_b32_e32 v8, v22, v9, vcc
	v_add_u32_e32 v22, 20, v31
	v_lshlrev_b64 v[48:49], v22, -1
	v_mov_b32_e32 v9, v3
	v_add_u32_e32 v22, 19, v31
	v_bfi_b32 v48, v48, 0, v8
	v_lshlrev_b64 v[50:51], v22, 1
	v_lshrrev_b64 v[8:9], v31, v[8:9]
	v_bfi_b32 v49, v49, 0, 0
	v_cmp_eq_u64_e64 s[40:41], v[48:49], v[50:51]
	v_mov_b32_e32 v45, v9
	v_mov_b32_e32 v44, v8
	s_and_saveexec_b64 s[50:51], s[40:41]
; %bb.11997:                            ;   in Loop: Header=BB4_11271 Depth=3
	v_bfe_u32 v9, v8, 20, 1
	v_add_co_u32_e64 v9, s[40:41], v8, v9
	v_add_co_u32_e64 v44, s[40:41], -1, v9
; %bb.11998:                            ;   in Loop: Header=BB4_11271 Depth=3
	s_or_b64 exec, exec, s[50:51]
	v_add_u32_e32 v9, 0xffffff81, v25
	v_mov_b32_e32 v22, 0xffffff82
	v_cndmask_b32_e32 v9, v9, v22, vcc
	v_lshrrev_b32_e32 v22, 23, v8
	v_add3_u32 v39, v31, v9, v22
	v_add_u32_e32 v31, 6, v39
	v_and_b32_e32 v9, 0xfffff, v44
	v_add_u32_e32 v8, v9, v8
	v_mov_b32_e32 v9, v3
	v_cmp_ne_u32_e32 vcc, 0, v31
                                        ; implicit-def: $vgpr25
	s_and_saveexec_b64 s[40:41], vcc
	s_xor_b64 s[40:41], exec, s[40:41]
; %bb.11999:                            ;   in Loop: Header=BB4_11271 Depth=3
	v_cmp_lt_u64_e32 vcc, s[74:75], v[8:9]
	v_add_u32_e32 v22, 7, v39
	v_cndmask_b32_e32 v25, v31, v22, vcc
	v_cndmask_b32_e64 v22, 0, 1, vcc
	v_lshrrev_b64 v[8:9], v22, v[8:9]
; %bb.12000:                            ;   in Loop: Header=BB4_11271 Depth=3
	s_andn2_saveexec_b64 s[40:41], s[40:41]
; %bb.12001:                            ;   in Loop: Header=BB4_11271 Depth=3
	v_bfe_u32 v25, v8, 23, 1
; %bb.12002:                            ;   in Loop: Header=BB4_11271 Depth=3
	s_or_b64 exec, exec, s[40:41]
	v_lshrrev_b64 v[8:9], 20, v[8:9]
	v_cmp_gt_i32_e32 vcc, 16, v25
	v_cndmask_b32_e32 v9, 0, v9, vcc
	v_cndmask_b32_e32 v8, 7, v8, vcc
	v_cmp_eq_u64_e64 s[40:41], 0, v[8:9]
	v_min_i32_e32 v9, 15, v25
	v_lshlrev_b32_e32 v9, 3, v9
	v_cmp_eq_u32_e32 vcc, 0, v25
	v_and_b32_e32 v9, 0xf8, v9
	v_and_or_b32 v8, v8, 7, v9
	s_and_b64 s[40:41], vcc, s[40:41]
	v_cndmask_b32_e64 v8, v8, 0, s[40:41]
	v_or_b32_e32 v25, v8, v27
.LBB4_12003:                            ;   in Loop: Header=BB4_11271 Depth=3
	s_or_b64 exec, exec, s[48:49]
                                        ; implicit-def: $vgpr27
.LBB4_12004:                            ;   in Loop: Header=BB4_11271 Depth=3
	s_andn2_saveexec_b64 s[40:41], s[38:39]
; %bb.12005:                            ;   in Loop: Header=BB4_11271 Depth=3
	v_or_b32_e32 v25, 0x7e, v27
; %bb.12006:                            ;   in Loop: Header=BB4_11271 Depth=3
	s_or_b64 exec, exec, s[40:41]
                                        ; implicit-def: $vgpr8
.LBB4_12007:                            ;   in Loop: Header=BB4_11271 Depth=3
	s_andn2_saveexec_b64 s[40:41], s[36:37]
; %bb.12008:                            ;   in Loop: Header=BB4_11271 Depth=3
	v_or_b32_sdwa v25, v8, s68 dst_sel:DWORD dst_unused:UNUSED_PAD src0_sel:BYTE_3 src1_sel:DWORD
; %bb.12009:                            ;   in Loop: Header=BB4_11271 Depth=3
	s_or_b64 exec, exec, s[40:41]
	v_lshrrev_b32_e32 v8, 16, v2
	v_cmp_ne_u16_sdwa vcc, v8, v3 src0_sel:BYTE_0 src1_sel:DWORD
	v_mov_b32_e32 v9, 0
	s_and_saveexec_b64 s[40:41], vcc
	s_cbranch_execz .LBB4_12015
; %bb.12010:                            ;   in Loop: Header=BB4_11271 Depth=3
	v_cmp_ne_u16_sdwa vcc, v8, s70 src0_sel:BYTE_0 src1_sel:DWORD
	v_bfrev_b32_e32 v9, 1
	s_and_saveexec_b64 s[36:37], vcc
	s_cbranch_execz .LBB4_12014
; %bb.12011:                            ;   in Loop: Header=BB4_11271 Depth=3
	v_bfe_u32 v27, v2, 16, 7
	v_cmp_ne_u32_e32 vcc, s68, v27
	v_mov_b32_e32 v9, 0x7f800001
	s_and_saveexec_b64 s[38:39], vcc
	s_cbranch_execz .LBB4_12013
; %bb.12012:                            ;   in Loop: Header=BB4_11271 Depth=3
	v_and_b32_e32 v9, 7, v8
	v_ffbh_u32_e32 v23, v9
	v_min_u32_e32 v23, 32, v23
	v_lshrrev_b32_e32 v22, 3, v27
	v_cmp_gt_u32_e32 vcc, 8, v27
	v_subrev_u32_e32 v27, 28, v23
	v_lshlrev_b64 v[48:49], v27, v[8:9]
	v_sub_u32_e32 v23, 29, v23
	v_and_b32_e32 v27, 7, v48
	v_cndmask_b32_e32 v22, v22, v23, vcc
	v_cndmask_b32_e32 v9, v9, v27, vcc
	v_lshlrev_b32_e32 v8, 24, v8
	v_lshlrev_b32_e32 v9, 20, v9
	v_and_b32_e32 v8, 0x80000000, v8
	v_lshl_add_u32 v22, v22, 23, v5
	v_or3_b32 v9, v8, v22, v9
.LBB4_12013:                            ;   in Loop: Header=BB4_11271 Depth=3
	s_or_b64 exec, exec, s[38:39]
.LBB4_12014:                            ;   in Loop: Header=BB4_11271 Depth=3
	s_or_b64 exec, exec, s[36:37]
.LBB4_12015:                            ;   in Loop: Header=BB4_11271 Depth=3
	s_or_b64 exec, exec, s[40:41]
	v_lshrrev_b32_e32 v8, 16, v11
	v_cmp_gt_i16_sdwa vcc, v8, s68 src0_sel:BYTE_0 src1_sel:DWORD
	s_mov_b64 s[40:41], 0
	s_and_saveexec_b64 s[36:37], vcc
	s_xor_b64 vcc, exec, s[36:37]
	s_cbranch_execz .LBB4_12077
; %bb.12016:                            ;   in Loop: Header=BB4_11271 Depth=3
	v_cmp_eq_u16_sdwa s[38:39], v8, s70 src0_sel:BYTE_0 src1_sel:DWORD
	s_mov_b64 s[40:41], -1
	s_and_saveexec_b64 s[36:37], s[38:39]
; %bb.12017:                            ;   in Loop: Header=BB4_11271 Depth=3
	s_xor_b64 s[40:41], exec, -1
; %bb.12018:                            ;   in Loop: Header=BB4_11271 Depth=3
	s_or_b64 exec, exec, s[36:37]
	s_and_b64 s[40:41], s[40:41], exec
	s_or_saveexec_b64 vcc, vcc
	v_bfrev_b32_e32 v27, 1
	s_xor_b64 exec, exec, vcc
	s_cbranch_execnz .LBB4_12078
.LBB4_12019:                            ;   in Loop: Header=BB4_11271 Depth=3
	s_or_b64 exec, exec, vcc
	s_and_saveexec_b64 s[36:37], s[40:41]
	s_cbranch_execz .LBB4_12021
.LBB4_12020:                            ;   in Loop: Header=BB4_11271 Depth=3
	v_and_b32_e32 v22, 7, v8
	v_ffbh_u32_e32 v31, v22
	v_min_u32_e32 v31, 32, v31
	v_subrev_u32_e32 v32, 28, v31
	v_lshlrev_b64 v[48:49], v32, v[8:9]
	v_and_b32_e32 v23, 0x7f, v8
	v_bfe_u32 v27, v8, 3, 4
	v_sub_u32_e32 v31, 29, v31
	v_and_b32_e32 v32, 7, v48
	v_cmp_gt_u32_e32 vcc, 8, v23
	v_cndmask_b32_e32 v27, v27, v31, vcc
	v_cndmask_b32_e32 v22, v22, v32, vcc
	v_lshlrev_b32_e32 v8, 24, v8
	v_lshlrev_b32_e32 v22, 20, v22
	v_and_b32_e32 v8, 0x80000000, v8
	v_lshl_add_u32 v27, v27, 23, v5
	v_or3_b32 v8, v8, v27, v22
	v_cmp_ne_u32_e32 vcc, s68, v23
	v_mov_b32_e32 v22, 0x7f800001
	v_cndmask_b32_e32 v27, v22, v8, vcc
.LBB4_12021:                            ;   in Loop: Header=BB4_11271 Depth=3
	s_or_b64 exec, exec, s[36:37]
	v_add_f32_e32 v8, v9, v27
	v_and_b32_e32 v48, 0x7f800000, v8
	v_mov_b32_e32 v49, v3
	v_cmp_ne_u64_e32 vcc, s[62:63], v[48:49]
                                        ; implicit-def: $vgpr27
	s_and_saveexec_b64 s[40:41], vcc
	s_xor_b64 s[36:37], exec, s[40:41]
	s_cbranch_execz .LBB4_12035
; %bb.12022:                            ;   in Loop: Header=BB4_11271 Depth=3
	v_and_b32_e32 v48, 0x7fffffff, v8
	v_mov_b32_e32 v49, v3
	v_cmp_gt_u64_e32 vcc, s[72:73], v[48:49]
	v_and_b32_sdwa v31, v8, s70 dst_sel:DWORD dst_unused:UNUSED_PAD src0_sel:BYTE_3 src1_sel:DWORD
                                        ; implicit-def: $vgpr27
	s_and_saveexec_b64 s[40:41], vcc
	s_xor_b64 s[38:39], exec, s[40:41]
	s_cbranch_execz .LBB4_12032
; %bb.12023:                            ;   in Loop: Header=BB4_11271 Depth=3
	v_mov_b32_e32 v27, 0
	v_cmp_ne_u32_e32 vcc, 0, v8
	s_and_saveexec_b64 s[48:49], vcc
	s_cbranch_execz .LBB4_12031
; %bb.12024:                            ;   in Loop: Header=BB4_11271 Depth=3
	v_bfe_u32 v27, v8, 23, 8
	v_and_b32_e32 v9, 0x7fffff, v8
	v_cmp_gt_u32_e64 s[40:41], s71, v27
	v_sub_u32_e32 v8, 0x79, v27
	v_cmp_eq_u32_e32 vcc, 0, v27
	v_cndmask_b32_e64 v8, 0, v8, s[40:41]
	v_mov_b32_e32 v23, 0x78
	v_or_b32_e32 v22, 0x800000, v9
	v_cndmask_b32_e32 v39, v8, v23, vcc
	v_cndmask_b32_e32 v8, v22, v9, vcc
	v_add_u32_e32 v22, 20, v39
	v_lshlrev_b64 v[48:49], v22, -1
	v_mov_b32_e32 v9, v3
	v_add_u32_e32 v22, 19, v39
	v_bfi_b32 v48, v48, 0, v8
	v_lshlrev_b64 v[50:51], v22, 1
	v_lshrrev_b64 v[8:9], v39, v[8:9]
	v_bfi_b32 v49, v49, 0, 0
	v_cmp_eq_u64_e64 s[40:41], v[48:49], v[50:51]
	v_mov_b32_e32 v45, v9
	v_mov_b32_e32 v44, v8
	s_and_saveexec_b64 s[50:51], s[40:41]
; %bb.12025:                            ;   in Loop: Header=BB4_11271 Depth=3
	v_bfe_u32 v9, v8, 20, 1
	v_add_co_u32_e64 v9, s[40:41], v8, v9
	v_add_co_u32_e64 v44, s[40:41], -1, v9
; %bb.12026:                            ;   in Loop: Header=BB4_11271 Depth=3
	s_or_b64 exec, exec, s[50:51]
	v_add_u32_e32 v9, 0xffffff81, v27
	v_mov_b32_e32 v22, 0xffffff82
	v_cndmask_b32_e32 v9, v9, v22, vcc
	v_lshrrev_b32_e32 v22, 23, v8
	v_add3_u32 v48, v39, v9, v22
	v_add_u32_e32 v39, 6, v48
	v_and_b32_e32 v9, 0xfffff, v44
	v_add_u32_e32 v8, v9, v8
	v_mov_b32_e32 v9, v3
	v_cmp_ne_u32_e32 vcc, 0, v39
                                        ; implicit-def: $vgpr27
	s_and_saveexec_b64 s[40:41], vcc
	s_xor_b64 s[40:41], exec, s[40:41]
; %bb.12027:                            ;   in Loop: Header=BB4_11271 Depth=3
	v_cmp_lt_u64_e32 vcc, s[74:75], v[8:9]
	v_add_u32_e32 v22, 7, v48
	v_cndmask_b32_e32 v27, v39, v22, vcc
	v_cndmask_b32_e64 v22, 0, 1, vcc
	v_lshrrev_b64 v[8:9], v22, v[8:9]
; %bb.12028:                            ;   in Loop: Header=BB4_11271 Depth=3
	s_andn2_saveexec_b64 s[40:41], s[40:41]
; %bb.12029:                            ;   in Loop: Header=BB4_11271 Depth=3
	v_bfe_u32 v27, v8, 23, 1
; %bb.12030:                            ;   in Loop: Header=BB4_11271 Depth=3
	s_or_b64 exec, exec, s[40:41]
	v_lshrrev_b64 v[8:9], 20, v[8:9]
	v_cmp_gt_i32_e32 vcc, 16, v27
	v_cndmask_b32_e32 v9, 0, v9, vcc
	v_cndmask_b32_e32 v8, 7, v8, vcc
	v_cmp_eq_u64_e64 s[40:41], 0, v[8:9]
	v_min_i32_e32 v9, 15, v27
	v_lshlrev_b32_e32 v9, 3, v9
	v_cmp_eq_u32_e32 vcc, 0, v27
	v_and_b32_e32 v9, 0xf8, v9
	v_and_or_b32 v8, v8, 7, v9
	s_and_b64 s[40:41], vcc, s[40:41]
	v_cndmask_b32_e64 v8, v8, 0, s[40:41]
	v_or_b32_e32 v27, v8, v31
.LBB4_12031:                            ;   in Loop: Header=BB4_11271 Depth=3
	s_or_b64 exec, exec, s[48:49]
                                        ; implicit-def: $vgpr31
.LBB4_12032:                            ;   in Loop: Header=BB4_11271 Depth=3
	s_andn2_saveexec_b64 s[40:41], s[38:39]
; %bb.12033:                            ;   in Loop: Header=BB4_11271 Depth=3
	v_or_b32_e32 v27, 0x7e, v31
; %bb.12034:                            ;   in Loop: Header=BB4_11271 Depth=3
	s_or_b64 exec, exec, s[40:41]
                                        ; implicit-def: $vgpr8
.LBB4_12035:                            ;   in Loop: Header=BB4_11271 Depth=3
	s_andn2_saveexec_b64 s[40:41], s[36:37]
; %bb.12036:                            ;   in Loop: Header=BB4_11271 Depth=3
	v_or_b32_sdwa v27, v8, s68 dst_sel:DWORD dst_unused:UNUSED_PAD src0_sel:BYTE_3 src1_sel:DWORD
; %bb.12037:                            ;   in Loop: Header=BB4_11271 Depth=3
	s_or_b64 exec, exec, s[40:41]
	v_cmp_lt_u32_e32 vcc, s57, v2
	v_mov_b32_e32 v9, 0
	s_and_saveexec_b64 s[40:41], vcc
	s_cbranch_execz .LBB4_12043
; %bb.12038:                            ;   in Loop: Header=BB4_11271 Depth=3
	v_lshrrev_b32_e32 v8, 24, v2
	v_cmp_ne_u32_sdwa vcc, v2, s70 src0_sel:BYTE_3 src1_sel:DWORD
	v_bfrev_b32_e32 v9, 1
	s_and_saveexec_b64 s[36:37], vcc
	s_cbranch_execz .LBB4_12042
; %bb.12039:                            ;   in Loop: Header=BB4_11271 Depth=3
	v_bfe_u32 v31, v2, 24, 7
	v_cmp_ne_u32_e32 vcc, s68, v31
	v_mov_b32_e32 v9, 0x7f800001
	s_and_saveexec_b64 s[38:39], vcc
	s_cbranch_execz .LBB4_12041
; %bb.12040:                            ;   in Loop: Header=BB4_11271 Depth=3
	v_and_b32_e32 v22, 7, v8
	v_ffbh_u32_e32 v9, v22
	v_lshrrev_b32_e32 v23, 3, v31
	v_cmp_gt_u32_e32 vcc, 8, v31
	v_min_u32_e32 v31, 32, v9
	v_subrev_u32_e32 v9, 28, v31
	v_lshlrev_b64 v[8:9], v9, v[8:9]
	v_sub_u32_e32 v9, 29, v31
	v_and_b32_e32 v8, 7, v8
	v_cndmask_b32_e32 v8, v22, v8, vcc
	v_mov_b32_e32 v22, 24
	v_cndmask_b32_e32 v9, v23, v9, vcc
	v_lshlrev_b32_sdwa v2, v22, v2 dst_sel:DWORD dst_unused:UNUSED_PAD src0_sel:DWORD src1_sel:BYTE_3
	v_lshlrev_b32_e32 v8, 20, v8
	v_and_b32_e32 v2, 0x80000000, v2
	v_lshl_add_u32 v9, v9, 23, v5
	v_or3_b32 v9, v2, v9, v8
.LBB4_12041:                            ;   in Loop: Header=BB4_11271 Depth=3
	s_or_b64 exec, exec, s[38:39]
.LBB4_12042:                            ;   in Loop: Header=BB4_11271 Depth=3
	s_or_b64 exec, exec, s[36:37]
.LBB4_12043:                            ;   in Loop: Header=BB4_11271 Depth=3
	s_or_b64 exec, exec, s[40:41]
	v_bfe_u32 v8, v11, 24, 3
	v_ffbh_u32_e32 v31, v8
	v_min_u32_e32 v31, 32, v31
	v_lshrrev_b32_e32 v2, 24, v11
	v_subrev_u32_e32 v32, 28, v31
	v_lshlrev_b64 v[48:49], v32, v[2:3]
	v_bfe_u32 v22, v11, 24, 7
	v_bfe_u32 v23, v2, 3, 4
	v_sub_u32_e32 v31, 29, v31
	v_and_b32_e32 v32, 7, v48
	v_cmp_gt_u32_e32 vcc, 8, v22
	v_cndmask_b32_e32 v23, v23, v31, vcc
	v_cndmask_b32_e32 v8, v8, v32, vcc
	v_lshlrev_b32_e32 v8, 20, v8
	v_and_b32_e32 v31, 0x80000000, v11
	v_lshl_add_u32 v23, v23, 23, v5
	v_or3_b32 v8, v31, v23, v8
	v_cmp_ne_u32_e32 vcc, s68, v22
	v_mov_b32_e32 v22, 0x7f800001
	v_cndmask_b32_e32 v8, v22, v8, vcc
	v_cmp_ne_u32_e32 vcc, s70, v2
	v_bfrev_b32_e32 v2, 1
	v_cndmask_b32_e32 v2, v2, v8, vcc
	v_cmp_lt_u64_e32 vcc, s[56:57], v[10:11]
	v_cndmask_b32_e32 v2, 0, v2, vcc
	v_add_f32_e32 v8, v2, v9
	v_and_b32_e32 v2, 0x7f800000, v8
	v_cmp_ne_u64_e32 vcc, s[62:63], v[2:3]
                                        ; implicit-def: $vgpr2
	s_and_saveexec_b64 s[40:41], vcc
	s_xor_b64 s[36:37], exec, s[40:41]
	s_cbranch_execz .LBB4_12057
; %bb.12044:                            ;   in Loop: Header=BB4_11271 Depth=3
	v_and_b32_e32 v2, 0x7fffffff, v8
	v_cmp_gt_u64_e32 vcc, s[72:73], v[2:3]
	v_and_b32_sdwa v11, v8, s70 dst_sel:DWORD dst_unused:UNUSED_PAD src0_sel:BYTE_3 src1_sel:DWORD
                                        ; implicit-def: $vgpr2
	s_and_saveexec_b64 s[40:41], vcc
	s_xor_b64 s[38:39], exec, s[40:41]
	s_cbranch_execz .LBB4_12054
; %bb.12045:                            ;   in Loop: Header=BB4_11271 Depth=3
	v_mov_b32_e32 v2, 0
	v_cmp_ne_u32_e32 vcc, 0, v8
	s_and_saveexec_b64 s[48:49], vcc
	s_cbranch_execz .LBB4_12053
; %bb.12046:                            ;   in Loop: Header=BB4_11271 Depth=3
	v_bfe_u32 v31, v8, 23, 8
	v_and_b32_e32 v2, 0x7fffff, v8
	v_cmp_gt_u32_e64 s[40:41], s71, v31
	v_sub_u32_e32 v8, 0x79, v31
	v_cmp_eq_u32_e32 vcc, 0, v31
	v_cndmask_b32_e64 v8, 0, v8, s[40:41]
	v_mov_b32_e32 v10, 0x78
	v_cndmask_b32_e32 v39, v8, v10, vcc
	v_or_b32_e32 v9, 0x800000, v2
	v_add_u32_e32 v8, 20, v39
	v_cndmask_b32_e32 v2, v9, v2, vcc
	v_lshlrev_b64 v[8:9], v8, -1
	v_add_u32_e32 v10, 19, v39
	v_lshlrev_b64 v[48:49], v10, 1
	v_bfi_b32 v9, v9, 0, 0
	v_bfi_b32 v8, v8, 0, v2
	v_cmp_eq_u64_e64 s[40:41], v[8:9], v[48:49]
	v_lshrrev_b64 v[8:9], v39, v[2:3]
	v_mov_b32_e32 v10, v9
	v_mov_b32_e32 v9, v8
	s_and_saveexec_b64 s[50:51], s[40:41]
; %bb.12047:                            ;   in Loop: Header=BB4_11271 Depth=3
	v_bfe_u32 v2, v8, 20, 1
	v_add_co_u32_e64 v2, s[40:41], v8, v2
	v_add_co_u32_e64 v9, s[40:41], -1, v2
; %bb.12048:                            ;   in Loop: Header=BB4_11271 Depth=3
	s_or_b64 exec, exec, s[50:51]
	v_add_u32_e32 v2, 0xffffff81, v31
	v_mov_b32_e32 v10, 0xffffff82
	v_cndmask_b32_e32 v2, v2, v10, vcc
	v_lshrrev_b32_e32 v10, 23, v8
	v_add3_u32 v39, v39, v2, v10
	v_add_u32_e32 v31, 6, v39
	v_and_b32_e32 v2, 0xfffff, v9
	v_add_u32_e32 v2, v2, v8
	v_cmp_ne_u32_e32 vcc, 0, v31
                                        ; implicit-def: $vgpr8_vgpr9
                                        ; implicit-def: $vgpr10
	s_and_saveexec_b64 s[40:41], vcc
	s_xor_b64 s[40:41], exec, s[40:41]
; %bb.12049:                            ;   in Loop: Header=BB4_11271 Depth=3
	v_cmp_lt_u64_e32 vcc, s[74:75], v[2:3]
	v_add_u32_e32 v8, 7, v39
	v_cndmask_b32_e32 v10, v31, v8, vcc
	v_cndmask_b32_e64 v8, 0, 1, vcc
	v_lshrrev_b64 v[8:9], v8, v[2:3]
; %bb.12050:                            ;   in Loop: Header=BB4_11271 Depth=3
	s_andn2_saveexec_b64 s[40:41], s[40:41]
; %bb.12051:                            ;   in Loop: Header=BB4_11271 Depth=3
	v_mov_b32_e32 v9, v3
	v_mov_b32_e32 v8, v2
	v_bfe_u32 v10, v2, 23, 1
; %bb.12052:                            ;   in Loop: Header=BB4_11271 Depth=3
	s_or_b64 exec, exec, s[40:41]
	v_lshrrev_b64 v[8:9], 20, v[8:9]
	v_cmp_gt_i32_e32 vcc, 16, v10
	v_cndmask_b32_e32 v9, 0, v9, vcc
	v_cndmask_b32_e32 v8, 7, v8, vcc
	v_min_i32_e32 v2, 15, v10
	v_cmp_eq_u64_e64 s[40:41], 0, v[8:9]
	v_lshlrev_b32_e32 v2, 3, v2
	v_cmp_eq_u32_e32 vcc, 0, v10
	v_and_b32_e32 v2, 0xf8, v2
	v_and_or_b32 v2, v8, 7, v2
	s_and_b64 s[40:41], vcc, s[40:41]
	v_cndmask_b32_e64 v2, v2, 0, s[40:41]
	v_or_b32_e32 v2, v2, v11
.LBB4_12053:                            ;   in Loop: Header=BB4_11271 Depth=3
	s_or_b64 exec, exec, s[48:49]
                                        ; implicit-def: $vgpr11
.LBB4_12054:                            ;   in Loop: Header=BB4_11271 Depth=3
	s_andn2_saveexec_b64 s[40:41], s[38:39]
; %bb.12055:                            ;   in Loop: Header=BB4_11271 Depth=3
	v_or_b32_e32 v2, 0x7e, v11
; %bb.12056:                            ;   in Loop: Header=BB4_11271 Depth=3
	s_or_b64 exec, exec, s[40:41]
                                        ; implicit-def: $vgpr8
.LBB4_12057:                            ;   in Loop: Header=BB4_11271 Depth=3
	s_andn2_saveexec_b64 s[40:41], s[36:37]
	s_cbranch_execz .LBB4_11270
; %bb.12058:                            ;   in Loop: Header=BB4_11271 Depth=3
	v_or_b32_sdwa v2, v8, s68 dst_sel:DWORD dst_unused:UNUSED_PAD src0_sel:BYTE_3 src1_sel:DWORD
	s_branch .LBB4_11270
.LBB4_12059:                            ;   in Loop: Header=BB4_11271 Depth=3
	s_or_saveexec_b64 vcc, vcc
	v_bfrev_b32_e32 v4, 1
	s_xor_b64 exec, exec, vcc
	s_cbranch_execz .LBB4_11641
.LBB4_12060:                            ;   in Loop: Header=BB4_11271 Depth=3
	v_cmp_ne_u16_sdwa s[36:37], v8, v3 src0_sel:BYTE_0 src1_sel:DWORD
	s_andn2_b64 s[40:41], s[40:41], exec
	s_and_b64 s[36:37], s[36:37], exec
	v_mov_b32_e32 v4, 0
	s_or_b64 s[40:41], s[40:41], s[36:37]
	s_or_b64 exec, exec, vcc
	s_and_saveexec_b64 s[36:37], s[40:41]
	s_cbranch_execnz .LBB4_11642
	s_branch .LBB4_11643
.LBB4_12061:                            ;   in Loop: Header=BB4_11271 Depth=3
	s_or_saveexec_b64 s[36:37], s[36:37]
	v_bfrev_b32_e32 v21, 1
	s_xor_b64 exec, exec, s[36:37]
	s_cbranch_execz .LBB4_11669
.LBB4_12062:                            ;   in Loop: Header=BB4_11271 Depth=3
	v_cmp_ne_u16_e32 vcc, 0, v44
	s_andn2_b64 s[40:41], s[40:41], exec
	s_and_b64 vcc, vcc, exec
	v_mov_b32_e32 v21, 0
	s_or_b64 s[40:41], s[40:41], vcc
	s_or_b64 exec, exec, s[36:37]
	s_and_saveexec_b64 s[36:37], s[40:41]
	s_cbranch_execnz .LBB4_11670
	s_branch .LBB4_11671
.LBB4_12063:                            ;   in Loop: Header=BB4_11271 Depth=3
	s_or_saveexec_b64 vcc, vcc
	v_bfrev_b32_e32 v34, 1
	s_xor_b64 exec, exec, vcc
	s_cbranch_execz .LBB4_11697
.LBB4_12064:                            ;   in Loop: Header=BB4_11271 Depth=3
	v_cmp_ne_u16_sdwa s[36:37], v30, v3 src0_sel:BYTE_0 src1_sel:DWORD
	s_andn2_b64 s[40:41], s[40:41], exec
	s_and_b64 s[36:37], s[36:37], exec
	v_mov_b32_e32 v34, 0
	s_or_b64 s[40:41], s[40:41], s[36:37]
	s_or_b64 exec, exec, vcc
	s_and_saveexec_b64 s[36:37], s[40:41]
	s_cbranch_execnz .LBB4_11698
	s_branch .LBB4_11699
.LBB4_12065:                            ;   in Loop: Header=BB4_11271 Depth=3
	s_or_saveexec_b64 s[36:37], s[36:37]
	v_bfrev_b32_e32 v30, 1
	s_xor_b64 exec, exec, s[36:37]
	s_cbranch_execz .LBB4_11777
.LBB4_12066:                            ;   in Loop: Header=BB4_11271 Depth=3
	v_cmp_ne_u16_e32 vcc, 0, v44
	s_andn2_b64 s[40:41], s[40:41], exec
	s_and_b64 vcc, vcc, exec
	v_mov_b32_e32 v30, 0
	s_or_b64 s[40:41], s[40:41], vcc
	s_or_b64 exec, exec, s[36:37]
	s_and_saveexec_b64 s[36:37], s[40:41]
	s_cbranch_execnz .LBB4_11778
	s_branch .LBB4_11779
.LBB4_12067:                            ;   in Loop: Header=BB4_11271 Depth=3
	s_or_saveexec_b64 vcc, vcc
	v_bfrev_b32_e32 v39, 1
	s_xor_b64 exec, exec, vcc
	s_cbranch_execz .LBB4_11805
.LBB4_12068:                            ;   in Loop: Header=BB4_11271 Depth=3
	v_cmp_ne_u16_sdwa s[36:37], v30, v3 src0_sel:BYTE_0 src1_sel:DWORD
	s_andn2_b64 s[40:41], s[40:41], exec
	s_and_b64 s[36:37], s[36:37], exec
	v_mov_b32_e32 v39, 0
	s_or_b64 s[40:41], s[40:41], s[36:37]
	s_or_b64 exec, exec, vcc
	s_and_saveexec_b64 s[36:37], s[40:41]
	s_cbranch_execnz .LBB4_11806
	s_branch .LBB4_11807
.LBB4_12069:                            ;   in Loop: Header=BB4_11271 Depth=3
	s_or_saveexec_b64 vcc, vcc
	v_bfrev_b32_e32 v9, 1
	s_xor_b64 exec, exec, vcc
	s_cbranch_execz .LBB4_11855
.LBB4_12070:                            ;   in Loop: Header=BB4_11271 Depth=3
	v_cmp_ne_u16_sdwa s[36:37], v10, v3 src0_sel:BYTE_0 src1_sel:DWORD
	s_andn2_b64 s[40:41], s[40:41], exec
	s_and_b64 s[36:37], s[36:37], exec
	v_mov_b32_e32 v9, 0
	s_or_b64 s[40:41], s[40:41], s[36:37]
	s_or_b64 exec, exec, vcc
	s_and_saveexec_b64 s[36:37], s[40:41]
	s_cbranch_execnz .LBB4_11856
	s_branch .LBB4_11857
.LBB4_12071:                            ;   in Loop: Header=BB4_11271 Depth=3
	s_or_saveexec_b64 s[36:37], s[36:37]
	v_bfrev_b32_e32 v9, 1
	s_xor_b64 exec, exec, s[36:37]
	s_cbranch_execz .LBB4_11883
.LBB4_12072:                            ;   in Loop: Header=BB4_11271 Depth=3
	v_cmp_ne_u16_e32 vcc, 0, v8
	s_andn2_b64 s[40:41], s[40:41], exec
	s_and_b64 vcc, vcc, exec
	v_mov_b32_e32 v9, 0
	s_or_b64 s[40:41], s[40:41], vcc
	s_or_b64 exec, exec, s[36:37]
	s_and_saveexec_b64 s[36:37], s[40:41]
	s_cbranch_execnz .LBB4_11884
	s_branch .LBB4_11885
.LBB4_12073:                            ;   in Loop: Header=BB4_11271 Depth=3
	s_or_saveexec_b64 vcc, vcc
	v_bfrev_b32_e32 v35, 1
	s_xor_b64 exec, exec, vcc
	s_cbranch_execz .LBB4_11911
.LBB4_12074:                            ;   in Loop: Header=BB4_11271 Depth=3
	v_cmp_ne_u16_sdwa s[36:37], v8, v3 src0_sel:BYTE_0 src1_sel:DWORD
	s_andn2_b64 s[40:41], s[40:41], exec
	s_and_b64 s[36:37], s[36:37], exec
	v_mov_b32_e32 v35, 0
	s_or_b64 s[40:41], s[40:41], s[36:37]
	s_or_b64 exec, exec, vcc
	s_and_saveexec_b64 s[36:37], s[40:41]
	s_cbranch_execnz .LBB4_11912
	s_branch .LBB4_11913
.LBB4_12075:                            ;   in Loop: Header=BB4_11271 Depth=3
	s_or_saveexec_b64 s[36:37], s[36:37]
	v_bfrev_b32_e32 v9, 1
	s_xor_b64 exec, exec, s[36:37]
	s_cbranch_execz .LBB4_11991
.LBB4_12076:                            ;   in Loop: Header=BB4_11271 Depth=3
	v_cmp_ne_u16_e32 vcc, 0, v8
	s_andn2_b64 s[40:41], s[40:41], exec
	s_and_b64 vcc, vcc, exec
	v_mov_b32_e32 v9, 0
	s_or_b64 s[40:41], s[40:41], vcc
	s_or_b64 exec, exec, s[36:37]
	s_and_saveexec_b64 s[36:37], s[40:41]
	s_cbranch_execnz .LBB4_11992
	s_branch .LBB4_11993
.LBB4_12077:                            ;   in Loop: Header=BB4_11271 Depth=3
	s_or_saveexec_b64 vcc, vcc
	v_bfrev_b32_e32 v27, 1
	s_xor_b64 exec, exec, vcc
	s_cbranch_execz .LBB4_12019
.LBB4_12078:                            ;   in Loop: Header=BB4_11271 Depth=3
	v_cmp_ne_u16_sdwa s[36:37], v8, v3 src0_sel:BYTE_0 src1_sel:DWORD
	s_andn2_b64 s[40:41], s[40:41], exec
	s_and_b64 s[36:37], s[36:37], exec
	v_mov_b32_e32 v27, 0
	s_or_b64 s[40:41], s[40:41], s[36:37]
	s_or_b64 exec, exec, vcc
	s_and_saveexec_b64 s[36:37], s[40:41]
	s_cbranch_execnz .LBB4_12020
	s_branch .LBB4_12021
.LBB4_12079:                            ;   in Loop: Header=BB4_6132 Depth=2
	s_or_b64 exec, exec, s[34:35]
.LBB4_12080:                            ;   in Loop: Header=BB4_6132 Depth=2
	s_or_b64 exec, exec, s[30:31]
	buffer_load_dword v2, off, s[0:3], s33 offset:228 ; 4-byte Folded Reload
	v_cmp_lt_i32_e32 vcc, 0, v7
	s_waitcnt vmcnt(0)
	v_and_b32_e32 v2, 15, v2
	v_sub_u32_e32 v4, v6, v2
	v_cndmask_b32_e64 v6, v6, v2, s[28:29]
	buffer_load_dword v2, off, s[0:3], s33 offset:88 ; 4-byte Folded Reload
	v_cndmask_b32_e64 v4, 0, v4, s[28:29]
	v_add3_u32 v1, v1, v16, v4
	s_waitcnt vmcnt(0)
	v_cndmask_b32_e32 v2, 0, v2, vcc
	v_sub_u32_e32 v2, v2, v7
	v_cmp_ne_u32_e32 vcc, 0, v6
	v_lshl_add_u32 v7, v2, 6, v0
	s_and_b64 s[28:29], vcc, exec
.LBB4_12081:                            ;   in Loop: Header=BB4_6132 Depth=2
	s_or_b64 exec, exec, s[42:43]
	s_and_saveexec_b64 s[40:41], s[28:29]
	s_cbranch_execz .LBB4_13086
.LBB4_12082:                            ;   in Loop: Header=BB4_6132 Depth=2
	v_ashrrev_i32_e32 v0, 31, v7
	v_ashrrev_i32_e32 v4, 31, v6
	v_lshrrev_b32_e32 v0, 26, v0
	v_lshrrev_b32_e32 v4, 22, v4
	v_add_u32_e32 v2, v7, v0
	v_add_u32_e32 v4, v6, v4
	v_ashrrev_i32_e32 v0, 6, v2
	v_ashrrev_i32_e32 v18, 10, v4
	v_sub_u32_e32 v16, v18, v0
	v_cmp_lt_i32_e32 vcc, 0, v16
	s_and_saveexec_b64 s[42:43], vcc
	s_cbranch_execz .LBB4_13019
; %bb.12083:                            ;   in Loop: Header=BB4_6132 Depth=2
	s_trap 2
	ds_read_b64 v[10:11], v0
	buffer_load_dword v8, off, s[0:3], s33 offset:236 ; 4-byte Folded Reload
	buffer_load_dword v9, off, s[0:3], s33 offset:240 ; 4-byte Folded Reload
	buffer_load_dword v12, off, s[0:3], s33 offset:248 ; 4-byte Folded Reload
	buffer_load_dword v13, off, s[0:3], s33 offset:252 ; 4-byte Folded Reload
	v_and_b32_e32 v2, 0xffffffc0, v2
	v_sub_u32_e32 v2, v7, v2
	v_lshlrev_b32_e32 v4, 10, v0
	v_add3_u32 v2, v1, v2, v4
	v_ashrrev_i32_e32 v4, 31, v2
	s_mov_b64 s[30:31], 0
	s_waitcnt vmcnt(0)
	v_add_co_u32_e32 v8, vcc, v2, v8
	v_addc_co_u32_e32 v9, vcc, v4, v9, vcc
	s_waitcnt lgkmcnt(0)
	v_add_co_u32_e32 v10, vcc, v10, v2
	v_addc_co_u32_e32 v11, vcc, v11, v4, vcc
	v_add_co_u32_e32 v12, vcc, 0x3c0, v12
	v_addc_co_u32_e32 v13, vcc, 0, v13, vcc
	;; [unrolled: 2-line block ×3, first 2 shown]
	s_branch .LBB4_12085
.LBB4_12084:                            ;   in Loop: Header=BB4_12085 Depth=3
	s_or_b64 exec, exec, s[28:29]
	v_add_co_u32_e32 v14, vcc, 0xfffffc40, v12
	v_addc_co_u32_e32 v15, vcc, -1, v13, vcc
	flat_store_byte v[14:15], v20 glc slc
	v_add_co_u32_e32 v14, vcc, 0xfffffc80, v12
	v_addc_co_u32_e32 v15, vcc, -1, v13, vcc
	flat_store_byte v[14:15], v30 glc slc
	;; [unrolled: 3-line block ×15, first 2 shown]
	flat_store_byte v[12:13], v2 glc slc
	buffer_load_dword v4, off, s[0:3], s33 offset:92 ; 4-byte Folded Reload
	s_nop 0
	buffer_load_dword v2, off, s[0:3], s33 offset:88 ; 4-byte Folded Reload
	s_waitcnt vmcnt(0)
	v_add_co_u32_e32 v8, vcc, v8, v4
	v_addc_co_u32_e32 v9, vcc, 0, v9, vcc
	v_add_co_u32_e32 v10, vcc, v10, v4
	v_addc_co_u32_e32 v11, vcc, 0, v11, vcc
	v_sub_u32_e32 v16, v16, v2
	v_cmp_gt_i32_e32 vcc, 1, v16
	s_or_b64 s[30:31], vcc, s[30:31]
	v_add_co_u32_e32 v12, vcc, v12, v4
	v_addc_co_u32_e32 v13, vcc, 0, v13, vcc
	s_andn2_b64 exec, exec, s[30:31]
	s_cbranch_execz .LBB4_13018
.LBB4_12085:                            ;   Parent Loop BB4_47 Depth=1
                                        ;     Parent Loop BB4_6132 Depth=2
                                        ; =>    This Inner Loop Header: Depth=3
	s_trap 2
	ds_read_b64 v[14:15], v0
	s_waitcnt lgkmcnt(0)
	v_cmp_eq_u32_sdwa s[44:45], v14, v3 src0_sel:BYTE_0 src1_sel:DWORD
	v_readfirstlane_b32 s28, v14
	v_readfirstlane_b32 s29, v15
	s_and_b64 vcc, exec, s[44:45]
	s_cbranch_vccnz .LBB4_12089
; %bb.12086:                            ;   in Loop: Header=BB4_12085 Depth=3
	v_cmp_eq_u32_sdwa vcc, v14, s70 src0_sel:BYTE_0 src1_sel:DWORD
	s_brev_b32 s44, 1
	s_and_b64 vcc, exec, vcc
	s_cbranch_vccnz .LBB4_12090
; %bb.12087:                            ;   in Loop: Header=BB4_12085 Depth=3
	s_and_b32 s45, s28, 0x7f
	s_cmpk_eq_i32 s45, 0x7f
	s_mov_b32 s44, 0x7f800001
	s_cbranch_scc1 .LBB4_12090
; %bb.12088:                            ;   in Loop: Header=BB4_12085 Depth=3
	s_and_b32 s44, s28, 7
	s_flbit_i32_b32 s44, s44
	s_min_u32 s44, s44, 32
	s_lshr_b32 vcc_lo, s45, 3
	s_sub_i32 vcc_hi, s44, 28
	s_sub_i32 s44, 29, s44
	s_cmp_lt_u32 s45, 8
	s_cselect_b32 vcc_lo, s44, vcc_lo
	s_cselect_b32 s44, vcc_hi, 0
	s_lshl_b64 s[44:45], s[28:29], s44
	s_lshl_b32 s29, s44, 20
	s_lshl_b32 s28, s28, 24
	s_lshl_b32 s44, vcc_lo, 23
	s_and_b32 s28, s28, 0x80000000
	s_add_i32 s44, s44, 0x3c000000
	s_and_b32 s29, s29, 0x700000
	s_or_b32 s28, s28, s44
	s_or_b32 s44, s28, s29
	s_branch .LBB4_12090
.LBB4_12089:                            ;   in Loop: Header=BB4_12085 Depth=3
	s_mov_b32 s44, 0
.LBB4_12090:                            ;   in Loop: Header=BB4_12085 Depth=3
	flat_load_ubyte v4, v[8:9] glc slc
	v_mov_b32_e32 v14, 0
	s_waitcnt vmcnt(0) lgkmcnt(0)
	v_cmp_ne_u16_e32 vcc, 0, v4
	s_and_saveexec_b64 s[28:29], vcc
	s_cbranch_execz .LBB4_12096
; %bb.12091:                            ;   in Loop: Header=BB4_12085 Depth=3
	v_cmp_ne_u16_e32 vcc, s70, v4
	v_bfrev_b32_e32 v14, 1
	s_and_saveexec_b64 s[34:35], vcc
	s_cbranch_execz .LBB4_12095
; %bb.12092:                            ;   in Loop: Header=BB4_12085 Depth=3
	v_and_b32_e32 v2, 0xffff, v4
	v_and_b32_e32 v15, 0x7f, v2
	v_cmp_ne_u32_e32 vcc, s68, v15
	v_mov_b32_e32 v14, 0x7f800001
	s_and_saveexec_b64 s[36:37], vcc
	s_cbranch_execz .LBB4_12094
; %bb.12093:                            ;   in Loop: Header=BB4_12085 Depth=3
	v_and_b32_e32 v17, 7, v2
	v_ffbh_u32_e32 v14, v17
	v_min_u32_e32 v21, 32, v14
	v_subrev_u32_e32 v14, 28, v21
	v_lshrrev_b32_e32 v20, 3, v15
	v_cmp_gt_u32_e32 vcc, 8, v15
	v_lshlrev_b64 v[14:15], v14, v[2:3]
	v_sub_u32_e32 v2, 29, v21
	v_and_b32_e32 v14, 7, v14
	v_cndmask_b32_e32 v2, v20, v2, vcc
	v_cndmask_b32_e32 v14, v17, v14, vcc
	v_lshlrev_b32_e32 v4, 24, v4
	v_lshlrev_b32_e32 v14, 20, v14
	v_and_b32_e32 v4, 0x80000000, v4
	v_lshl_add_u32 v2, v2, 23, v5
	v_or3_b32 v14, v4, v2, v14
.LBB4_12094:                            ;   in Loop: Header=BB4_12085 Depth=3
	s_or_b64 exec, exec, s[36:37]
.LBB4_12095:                            ;   in Loop: Header=BB4_12085 Depth=3
	s_or_b64 exec, exec, s[34:35]
.LBB4_12096:                            ;   in Loop: Header=BB4_12085 Depth=3
	s_or_b64 exec, exec, s[28:29]
	v_mul_f32_e32 v14, s44, v14
	v_and_b32_e32 v2, 0x7f800000, v14
	v_cmp_ne_u64_e32 vcc, s[62:63], v[2:3]
                                        ; implicit-def: $vgpr20
	s_and_saveexec_b64 s[28:29], vcc
	s_xor_b64 s[34:35], exec, s[28:29]
	s_cbranch_execz .LBB4_12114
; %bb.12097:                            ;   in Loop: Header=BB4_12085 Depth=3
	v_and_b32_e32 v2, 0x7fffffff, v14
	v_cmp_gt_u64_e32 vcc, s[72:73], v[2:3]
	v_and_b32_sdwa v4, v14, s70 dst_sel:DWORD dst_unused:UNUSED_PAD src0_sel:BYTE_3 src1_sel:DWORD
                                        ; implicit-def: $vgpr20
	s_and_saveexec_b64 s[28:29], vcc
	s_xor_b64 s[36:37], exec, s[28:29]
	s_cbranch_execz .LBB4_12111
; %bb.12098:                            ;   in Loop: Header=BB4_12085 Depth=3
	v_cmp_ne_u32_e32 vcc, 0, v14
	v_mov_b32_e32 v20, 0
	s_and_saveexec_b64 s[38:39], vcc
	s_cbranch_execz .LBB4_12110
; %bb.12099:                            ;   in Loop: Header=BB4_12085 Depth=3
	v_bfe_u32 v17, v14, 23, 8
	v_and_b32_e32 v2, 0x7fffff, v14
	v_cmp_gt_u32_e64 s[28:29], s71, v17
	v_sub_u32_e32 v14, 0x79, v17
	v_cmp_eq_u32_e32 vcc, 0, v17
	v_cndmask_b32_e64 v14, 0, v14, s[28:29]
	v_mov_b32_e32 v20, 0x78
	v_cndmask_b32_e32 v20, v14, v20, vcc
	v_or_b32_e32 v15, 0x800000, v2
	v_add_u32_e32 v14, 20, v20
	v_cndmask_b32_e32 v2, v15, v2, vcc
	v_lshlrev_b64 v[14:15], v14, -1
	v_add_u32_e32 v21, 19, v20
	v_lshlrev_b64 v[24:25], v21, 1
	v_bfi_b32 v15, v15, 0, 0
	v_bfi_b32 v14, v14, 0, v2
	v_cmp_eq_u64_e64 s[28:29], v[14:15], v[24:25]
	v_lshrrev_b64 v[14:15], v20, v[2:3]
	v_mov_b32_e32 v54, v15
	v_mov_b32_e32 v53, v14
	s_and_saveexec_b64 s[48:49], s[28:29]
; %bb.12100:                            ;   in Loop: Header=BB4_12085 Depth=3
	v_bfe_u32 v2, v14, 20, 1
	v_add_co_u32_e64 v2, s[28:29], v14, v2
	v_add_co_u32_e64 v53, s[28:29], -1, v2
; %bb.12101:                            ;   in Loop: Header=BB4_12085 Depth=3
	s_or_b64 exec, exec, s[48:49]
	v_add_u32_e32 v2, 0xffffff81, v17
	v_mov_b32_e32 v15, 0xffffff82
	v_cndmask_b32_e32 v2, v2, v15, vcc
	v_lshrrev_b32_e32 v15, 23, v14
	v_add3_u32 v21, v20, v2, v15
	v_add_u32_e32 v20, 6, v21
	v_and_b32_e32 v2, 0xfffff, v53
	v_add_u32_e32 v2, v2, v14
	v_cmp_ne_u32_e32 vcc, 0, v20
                                        ; implicit-def: $vgpr14_vgpr15
                                        ; implicit-def: $vgpr17
	s_and_saveexec_b64 s[28:29], vcc
	s_xor_b64 s[28:29], exec, s[28:29]
; %bb.12102:                            ;   in Loop: Header=BB4_12085 Depth=3
	v_cmp_lt_u64_e32 vcc, s[74:75], v[2:3]
	v_add_u32_e32 v14, 7, v21
	v_cndmask_b32_e32 v17, v20, v14, vcc
	v_cndmask_b32_e64 v14, 0, 1, vcc
	v_lshrrev_b64 v[14:15], v14, v[2:3]
; %bb.12103:                            ;   in Loop: Header=BB4_12085 Depth=3
	s_andn2_saveexec_b64 s[28:29], s[28:29]
; %bb.12104:                            ;   in Loop: Header=BB4_12085 Depth=3
	v_mov_b32_e32 v15, v3
	v_mov_b32_e32 v14, v2
	v_bfe_u32 v17, v2, 23, 1
; %bb.12105:                            ;   in Loop: Header=BB4_12085 Depth=3
	s_or_b64 exec, exec, s[28:29]
	v_lshrrev_b64 v[14:15], 20, v[14:15]
	v_cmp_gt_i32_e32 vcc, 16, v17
	v_cndmask_b32_e32 v15, 0, v15, vcc
	v_cndmask_b32_e32 v14, 7, v14, vcc
	v_cmp_ne_u64_e32 vcc, 0, v[14:15]
	v_cmp_ne_u32_e64 s[28:29], 0, v17
	s_or_b64 s[28:29], s[28:29], vcc
                                        ; implicit-def: $vgpr20
	s_and_saveexec_b64 vcc, s[28:29]
	s_xor_b64 s[28:29], exec, vcc
; %bb.12106:                            ;   in Loop: Header=BB4_12085 Depth=3
	v_min_i32_e32 v2, 15, v17
	v_lshl_or_b32 v2, v2, 3, v4
	v_and_or_b32 v20, v14, 7, v2
                                        ; implicit-def: $vgpr4
; %bb.12107:                            ;   in Loop: Header=BB4_12085 Depth=3
	s_andn2_saveexec_b64 s[28:29], s[28:29]
; %bb.12108:                            ;   in Loop: Header=BB4_12085 Depth=3
	v_mov_b32_e32 v20, v4
; %bb.12109:                            ;   in Loop: Header=BB4_12085 Depth=3
	s_or_b64 exec, exec, s[28:29]
.LBB4_12110:                            ;   in Loop: Header=BB4_12085 Depth=3
	s_or_b64 exec, exec, s[38:39]
                                        ; implicit-def: $vgpr4
.LBB4_12111:                            ;   in Loop: Header=BB4_12085 Depth=3
	s_andn2_saveexec_b64 s[28:29], s[36:37]
; %bb.12112:                            ;   in Loop: Header=BB4_12085 Depth=3
	v_or_b32_e32 v20, 0x7e, v4
; %bb.12113:                            ;   in Loop: Header=BB4_12085 Depth=3
	s_or_b64 exec, exec, s[28:29]
                                        ; implicit-def: $vgpr14
.LBB4_12114:                            ;   in Loop: Header=BB4_12085 Depth=3
	s_andn2_saveexec_b64 s[28:29], s[34:35]
; %bb.12115:                            ;   in Loop: Header=BB4_12085 Depth=3
	v_or_b32_sdwa v20, v14, s68 dst_sel:DWORD dst_unused:UNUSED_PAD src0_sel:BYTE_3 src1_sel:DWORD
; %bb.12116:                            ;   in Loop: Header=BB4_12085 Depth=3
	s_or_b64 exec, exec, s[28:29]
	flat_load_ubyte v4, v[8:9] offset:64 glc slc
	v_mov_b32_e32 v14, 0
	s_waitcnt vmcnt(0) lgkmcnt(0)
	v_cmp_ne_u16_e32 vcc, 0, v4
	s_and_saveexec_b64 s[28:29], vcc
	s_cbranch_execz .LBB4_12122
; %bb.12117:                            ;   in Loop: Header=BB4_12085 Depth=3
	v_cmp_ne_u16_e32 vcc, s70, v4
	v_bfrev_b32_e32 v14, 1
	s_and_saveexec_b64 s[34:35], vcc
	s_cbranch_execz .LBB4_12121
; %bb.12118:                            ;   in Loop: Header=BB4_12085 Depth=3
	v_and_b32_e32 v2, 0xffff, v4
	v_and_b32_e32 v15, 0x7f, v2
	v_cmp_ne_u32_e32 vcc, s68, v15
	v_mov_b32_e32 v14, 0x7f800001
	s_and_saveexec_b64 s[36:37], vcc
	s_cbranch_execz .LBB4_12120
; %bb.12119:                            ;   in Loop: Header=BB4_12085 Depth=3
	v_and_b32_e32 v17, 7, v2
	v_ffbh_u32_e32 v14, v17
	v_min_u32_e32 v22, 32, v14
	v_subrev_u32_e32 v14, 28, v22
	v_lshrrev_b32_e32 v21, 3, v15
	v_cmp_gt_u32_e32 vcc, 8, v15
	v_lshlrev_b64 v[14:15], v14, v[2:3]
	v_sub_u32_e32 v2, 29, v22
	v_and_b32_e32 v14, 7, v14
	v_cndmask_b32_e32 v2, v21, v2, vcc
	v_cndmask_b32_e32 v14, v17, v14, vcc
	v_lshlrev_b32_e32 v4, 24, v4
	v_lshlrev_b32_e32 v14, 20, v14
	v_and_b32_e32 v4, 0x80000000, v4
	v_lshl_add_u32 v2, v2, 23, v5
	v_or3_b32 v14, v4, v2, v14
.LBB4_12120:                            ;   in Loop: Header=BB4_12085 Depth=3
	s_or_b64 exec, exec, s[36:37]
.LBB4_12121:                            ;   in Loop: Header=BB4_12085 Depth=3
	s_or_b64 exec, exec, s[34:35]
.LBB4_12122:                            ;   in Loop: Header=BB4_12085 Depth=3
	s_or_b64 exec, exec, s[28:29]
	v_mul_f32_e32 v14, s44, v14
	v_and_b32_e32 v2, 0x7f800000, v14
	v_cmp_ne_u64_e32 vcc, s[62:63], v[2:3]
                                        ; implicit-def: $vgpr30
	s_and_saveexec_b64 s[28:29], vcc
	s_xor_b64 s[34:35], exec, s[28:29]
	s_cbranch_execz .LBB4_12140
; %bb.12123:                            ;   in Loop: Header=BB4_12085 Depth=3
	v_and_b32_e32 v2, 0x7fffffff, v14
	v_cmp_gt_u64_e32 vcc, s[72:73], v[2:3]
	v_and_b32_sdwa v4, v14, s70 dst_sel:DWORD dst_unused:UNUSED_PAD src0_sel:BYTE_3 src1_sel:DWORD
                                        ; implicit-def: $vgpr30
	s_and_saveexec_b64 s[28:29], vcc
	s_xor_b64 s[36:37], exec, s[28:29]
	s_cbranch_execz .LBB4_12137
; %bb.12124:                            ;   in Loop: Header=BB4_12085 Depth=3
	v_cmp_ne_u32_e32 vcc, 0, v14
	v_mov_b32_e32 v30, 0
	s_and_saveexec_b64 s[38:39], vcc
	s_cbranch_execz .LBB4_12136
; %bb.12125:                            ;   in Loop: Header=BB4_12085 Depth=3
	v_bfe_u32 v17, v14, 23, 8
	v_and_b32_e32 v2, 0x7fffff, v14
	v_cmp_gt_u32_e64 s[28:29], s71, v17
	v_sub_u32_e32 v14, 0x79, v17
	v_cmp_eq_u32_e32 vcc, 0, v17
	v_cndmask_b32_e64 v14, 0, v14, s[28:29]
	v_mov_b32_e32 v21, 0x78
	v_cndmask_b32_e32 v21, v14, v21, vcc
	v_or_b32_e32 v15, 0x800000, v2
	v_add_u32_e32 v14, 20, v21
	v_cndmask_b32_e32 v2, v15, v2, vcc
	v_lshlrev_b64 v[14:15], v14, -1
	v_add_u32_e32 v22, 19, v21
	v_lshlrev_b64 v[24:25], v22, 1
	v_bfi_b32 v15, v15, 0, 0
	v_bfi_b32 v14, v14, 0, v2
	v_cmp_eq_u64_e64 s[28:29], v[14:15], v[24:25]
	v_lshrrev_b64 v[14:15], v21, v[2:3]
	v_mov_b32_e32 v54, v15
	v_mov_b32_e32 v53, v14
	s_and_saveexec_b64 s[48:49], s[28:29]
; %bb.12126:                            ;   in Loop: Header=BB4_12085 Depth=3
	v_bfe_u32 v2, v14, 20, 1
	v_add_co_u32_e64 v2, s[28:29], v14, v2
	v_add_co_u32_e64 v53, s[28:29], -1, v2
; %bb.12127:                            ;   in Loop: Header=BB4_12085 Depth=3
	s_or_b64 exec, exec, s[48:49]
	v_add_u32_e32 v2, 0xffffff81, v17
	v_mov_b32_e32 v15, 0xffffff82
	v_cndmask_b32_e32 v2, v2, v15, vcc
	v_lshrrev_b32_e32 v15, 23, v14
	v_add3_u32 v24, v21, v2, v15
	v_add_u32_e32 v21, 6, v24
	v_and_b32_e32 v2, 0xfffff, v53
	v_add_u32_e32 v2, v2, v14
	v_cmp_ne_u32_e32 vcc, 0, v21
                                        ; implicit-def: $vgpr14_vgpr15
                                        ; implicit-def: $vgpr17
	s_and_saveexec_b64 s[28:29], vcc
	s_xor_b64 s[28:29], exec, s[28:29]
; %bb.12128:                            ;   in Loop: Header=BB4_12085 Depth=3
	v_cmp_lt_u64_e32 vcc, s[74:75], v[2:3]
	v_add_u32_e32 v14, 7, v24
	v_cndmask_b32_e32 v17, v21, v14, vcc
	v_cndmask_b32_e64 v14, 0, 1, vcc
	v_lshrrev_b64 v[14:15], v14, v[2:3]
; %bb.12129:                            ;   in Loop: Header=BB4_12085 Depth=3
	s_andn2_saveexec_b64 s[28:29], s[28:29]
; %bb.12130:                            ;   in Loop: Header=BB4_12085 Depth=3
	v_mov_b32_e32 v15, v3
	v_mov_b32_e32 v14, v2
	v_bfe_u32 v17, v2, 23, 1
; %bb.12131:                            ;   in Loop: Header=BB4_12085 Depth=3
	s_or_b64 exec, exec, s[28:29]
	v_lshrrev_b64 v[14:15], 20, v[14:15]
	v_cmp_gt_i32_e32 vcc, 16, v17
	v_cndmask_b32_e32 v15, 0, v15, vcc
	v_cndmask_b32_e32 v14, 7, v14, vcc
	v_cmp_ne_u64_e32 vcc, 0, v[14:15]
	v_cmp_ne_u32_e64 s[28:29], 0, v17
	s_or_b64 s[28:29], s[28:29], vcc
                                        ; implicit-def: $vgpr30
	s_and_saveexec_b64 vcc, s[28:29]
	s_xor_b64 s[28:29], exec, vcc
; %bb.12132:                            ;   in Loop: Header=BB4_12085 Depth=3
	v_min_i32_e32 v2, 15, v17
	v_lshl_or_b32 v2, v2, 3, v4
	v_and_or_b32 v30, v14, 7, v2
                                        ; implicit-def: $vgpr4
; %bb.12133:                            ;   in Loop: Header=BB4_12085 Depth=3
	s_andn2_saveexec_b64 s[28:29], s[28:29]
; %bb.12134:                            ;   in Loop: Header=BB4_12085 Depth=3
	v_mov_b32_e32 v30, v4
; %bb.12135:                            ;   in Loop: Header=BB4_12085 Depth=3
	s_or_b64 exec, exec, s[28:29]
.LBB4_12136:                            ;   in Loop: Header=BB4_12085 Depth=3
	s_or_b64 exec, exec, s[38:39]
                                        ; implicit-def: $vgpr4
.LBB4_12137:                            ;   in Loop: Header=BB4_12085 Depth=3
	s_andn2_saveexec_b64 s[28:29], s[36:37]
; %bb.12138:                            ;   in Loop: Header=BB4_12085 Depth=3
	v_or_b32_e32 v30, 0x7e, v4
; %bb.12139:                            ;   in Loop: Header=BB4_12085 Depth=3
	s_or_b64 exec, exec, s[28:29]
                                        ; implicit-def: $vgpr14
.LBB4_12140:                            ;   in Loop: Header=BB4_12085 Depth=3
	s_andn2_saveexec_b64 s[28:29], s[34:35]
; %bb.12141:                            ;   in Loop: Header=BB4_12085 Depth=3
	v_or_b32_sdwa v30, v14, s68 dst_sel:DWORD dst_unused:UNUSED_PAD src0_sel:BYTE_3 src1_sel:DWORD
; %bb.12142:                            ;   in Loop: Header=BB4_12085 Depth=3
	s_or_b64 exec, exec, s[28:29]
	flat_load_ubyte v4, v[8:9] offset:128 glc slc
	v_mov_b32_e32 v14, 0
	s_waitcnt vmcnt(0) lgkmcnt(0)
	v_cmp_ne_u16_e32 vcc, 0, v4
	s_and_saveexec_b64 s[28:29], vcc
	s_cbranch_execz .LBB4_12148
; %bb.12143:                            ;   in Loop: Header=BB4_12085 Depth=3
	v_cmp_ne_u16_e32 vcc, s70, v4
	v_bfrev_b32_e32 v14, 1
	s_and_saveexec_b64 s[34:35], vcc
	s_cbranch_execz .LBB4_12147
; %bb.12144:                            ;   in Loop: Header=BB4_12085 Depth=3
	v_and_b32_e32 v2, 0xffff, v4
	v_and_b32_e32 v15, 0x7f, v2
	v_cmp_ne_u32_e32 vcc, s68, v15
	v_mov_b32_e32 v14, 0x7f800001
	s_and_saveexec_b64 s[36:37], vcc
	s_cbranch_execz .LBB4_12146
; %bb.12145:                            ;   in Loop: Header=BB4_12085 Depth=3
	v_and_b32_e32 v17, 7, v2
	v_ffbh_u32_e32 v14, v17
	v_min_u32_e32 v22, 32, v14
	v_subrev_u32_e32 v14, 28, v22
	v_lshrrev_b32_e32 v21, 3, v15
	v_cmp_gt_u32_e32 vcc, 8, v15
	v_lshlrev_b64 v[14:15], v14, v[2:3]
	v_sub_u32_e32 v2, 29, v22
	v_and_b32_e32 v14, 7, v14
	v_cndmask_b32_e32 v2, v21, v2, vcc
	v_cndmask_b32_e32 v14, v17, v14, vcc
	v_lshlrev_b32_e32 v4, 24, v4
	v_lshlrev_b32_e32 v14, 20, v14
	v_and_b32_e32 v4, 0x80000000, v4
	v_lshl_add_u32 v2, v2, 23, v5
	v_or3_b32 v14, v4, v2, v14
.LBB4_12146:                            ;   in Loop: Header=BB4_12085 Depth=3
	s_or_b64 exec, exec, s[36:37]
.LBB4_12147:                            ;   in Loop: Header=BB4_12085 Depth=3
	s_or_b64 exec, exec, s[34:35]
.LBB4_12148:                            ;   in Loop: Header=BB4_12085 Depth=3
	s_or_b64 exec, exec, s[28:29]
	v_mul_f32_e32 v14, s44, v14
	v_and_b32_e32 v2, 0x7f800000, v14
	v_cmp_ne_u64_e32 vcc, s[62:63], v[2:3]
                                        ; implicit-def: $vgpr48
	s_and_saveexec_b64 s[28:29], vcc
	s_xor_b64 s[34:35], exec, s[28:29]
	s_cbranch_execz .LBB4_12166
; %bb.12149:                            ;   in Loop: Header=BB4_12085 Depth=3
	v_and_b32_e32 v2, 0x7fffffff, v14
	v_cmp_gt_u64_e32 vcc, s[72:73], v[2:3]
	v_and_b32_sdwa v4, v14, s70 dst_sel:DWORD dst_unused:UNUSED_PAD src0_sel:BYTE_3 src1_sel:DWORD
                                        ; implicit-def: $vgpr48
	s_and_saveexec_b64 s[28:29], vcc
	s_xor_b64 s[36:37], exec, s[28:29]
	s_cbranch_execz .LBB4_12163
; %bb.12150:                            ;   in Loop: Header=BB4_12085 Depth=3
	v_cmp_ne_u32_e32 vcc, 0, v14
	v_mov_b32_e32 v48, 0
	s_and_saveexec_b64 s[38:39], vcc
	s_cbranch_execz .LBB4_12162
; %bb.12151:                            ;   in Loop: Header=BB4_12085 Depth=3
	v_bfe_u32 v17, v14, 23, 8
	v_and_b32_e32 v2, 0x7fffff, v14
	v_cmp_gt_u32_e64 s[28:29], s71, v17
	v_sub_u32_e32 v14, 0x79, v17
	v_cmp_eq_u32_e32 vcc, 0, v17
	v_cndmask_b32_e64 v14, 0, v14, s[28:29]
	v_mov_b32_e32 v21, 0x78
	v_cndmask_b32_e32 v21, v14, v21, vcc
	v_or_b32_e32 v15, 0x800000, v2
	v_add_u32_e32 v14, 20, v21
	v_cndmask_b32_e32 v2, v15, v2, vcc
	v_lshlrev_b64 v[14:15], v14, -1
	v_add_u32_e32 v22, 19, v21
	v_lshlrev_b64 v[24:25], v22, 1
	v_bfi_b32 v15, v15, 0, 0
	v_bfi_b32 v14, v14, 0, v2
	v_cmp_eq_u64_e64 s[28:29], v[14:15], v[24:25]
	v_lshrrev_b64 v[14:15], v21, v[2:3]
	v_mov_b32_e32 v54, v15
	v_mov_b32_e32 v53, v14
	s_and_saveexec_b64 s[48:49], s[28:29]
; %bb.12152:                            ;   in Loop: Header=BB4_12085 Depth=3
	v_bfe_u32 v2, v14, 20, 1
	v_add_co_u32_e64 v2, s[28:29], v14, v2
	v_add_co_u32_e64 v53, s[28:29], -1, v2
; %bb.12153:                            ;   in Loop: Header=BB4_12085 Depth=3
	s_or_b64 exec, exec, s[48:49]
	v_add_u32_e32 v2, 0xffffff81, v17
	v_mov_b32_e32 v15, 0xffffff82
	v_cndmask_b32_e32 v2, v2, v15, vcc
	v_lshrrev_b32_e32 v15, 23, v14
	v_add3_u32 v24, v21, v2, v15
	v_add_u32_e32 v21, 6, v24
	v_and_b32_e32 v2, 0xfffff, v53
	v_add_u32_e32 v2, v2, v14
	v_cmp_ne_u32_e32 vcc, 0, v21
                                        ; implicit-def: $vgpr14_vgpr15
                                        ; implicit-def: $vgpr17
	s_and_saveexec_b64 s[28:29], vcc
	s_xor_b64 s[28:29], exec, s[28:29]
; %bb.12154:                            ;   in Loop: Header=BB4_12085 Depth=3
	v_cmp_lt_u64_e32 vcc, s[74:75], v[2:3]
	v_add_u32_e32 v14, 7, v24
	v_cndmask_b32_e32 v17, v21, v14, vcc
	v_cndmask_b32_e64 v14, 0, 1, vcc
	v_lshrrev_b64 v[14:15], v14, v[2:3]
; %bb.12155:                            ;   in Loop: Header=BB4_12085 Depth=3
	s_andn2_saveexec_b64 s[28:29], s[28:29]
; %bb.12156:                            ;   in Loop: Header=BB4_12085 Depth=3
	v_mov_b32_e32 v15, v3
	v_mov_b32_e32 v14, v2
	v_bfe_u32 v17, v2, 23, 1
; %bb.12157:                            ;   in Loop: Header=BB4_12085 Depth=3
	s_or_b64 exec, exec, s[28:29]
	v_lshrrev_b64 v[14:15], 20, v[14:15]
	v_cmp_gt_i32_e32 vcc, 16, v17
	v_cndmask_b32_e32 v15, 0, v15, vcc
	v_cndmask_b32_e32 v14, 7, v14, vcc
	v_cmp_ne_u64_e32 vcc, 0, v[14:15]
	v_cmp_ne_u32_e64 s[28:29], 0, v17
	s_or_b64 s[28:29], s[28:29], vcc
                                        ; implicit-def: $vgpr48
	s_and_saveexec_b64 vcc, s[28:29]
	s_xor_b64 s[28:29], exec, vcc
; %bb.12158:                            ;   in Loop: Header=BB4_12085 Depth=3
	v_min_i32_e32 v2, 15, v17
	v_lshl_or_b32 v2, v2, 3, v4
	v_and_or_b32 v48, v14, 7, v2
                                        ; implicit-def: $vgpr4
; %bb.12159:                            ;   in Loop: Header=BB4_12085 Depth=3
	s_andn2_saveexec_b64 s[28:29], s[28:29]
; %bb.12160:                            ;   in Loop: Header=BB4_12085 Depth=3
	v_mov_b32_e32 v48, v4
; %bb.12161:                            ;   in Loop: Header=BB4_12085 Depth=3
	s_or_b64 exec, exec, s[28:29]
.LBB4_12162:                            ;   in Loop: Header=BB4_12085 Depth=3
	s_or_b64 exec, exec, s[38:39]
                                        ; implicit-def: $vgpr4
.LBB4_12163:                            ;   in Loop: Header=BB4_12085 Depth=3
	s_andn2_saveexec_b64 s[28:29], s[36:37]
; %bb.12164:                            ;   in Loop: Header=BB4_12085 Depth=3
	v_or_b32_e32 v48, 0x7e, v4
; %bb.12165:                            ;   in Loop: Header=BB4_12085 Depth=3
	s_or_b64 exec, exec, s[28:29]
                                        ; implicit-def: $vgpr14
.LBB4_12166:                            ;   in Loop: Header=BB4_12085 Depth=3
	s_andn2_saveexec_b64 s[28:29], s[34:35]
; %bb.12167:                            ;   in Loop: Header=BB4_12085 Depth=3
	v_or_b32_sdwa v48, v14, s68 dst_sel:DWORD dst_unused:UNUSED_PAD src0_sel:BYTE_3 src1_sel:DWORD
; %bb.12168:                            ;   in Loop: Header=BB4_12085 Depth=3
	s_or_b64 exec, exec, s[28:29]
	flat_load_ubyte v4, v[8:9] offset:192 glc slc
	v_mov_b32_e32 v14, 0
	s_waitcnt vmcnt(0) lgkmcnt(0)
	v_cmp_ne_u16_e32 vcc, 0, v4
	s_and_saveexec_b64 s[28:29], vcc
	s_cbranch_execz .LBB4_12174
; %bb.12169:                            ;   in Loop: Header=BB4_12085 Depth=3
	v_cmp_ne_u16_e32 vcc, s70, v4
	v_bfrev_b32_e32 v14, 1
	s_and_saveexec_b64 s[34:35], vcc
	s_cbranch_execz .LBB4_12173
; %bb.12170:                            ;   in Loop: Header=BB4_12085 Depth=3
	v_and_b32_e32 v2, 0xffff, v4
	v_and_b32_e32 v15, 0x7f, v2
	v_cmp_ne_u32_e32 vcc, s68, v15
	v_mov_b32_e32 v14, 0x7f800001
	s_and_saveexec_b64 s[36:37], vcc
	s_cbranch_execz .LBB4_12172
; %bb.12171:                            ;   in Loop: Header=BB4_12085 Depth=3
	v_and_b32_e32 v17, 7, v2
	v_ffbh_u32_e32 v14, v17
	v_min_u32_e32 v22, 32, v14
	v_subrev_u32_e32 v14, 28, v22
	v_lshrrev_b32_e32 v21, 3, v15
	v_cmp_gt_u32_e32 vcc, 8, v15
	v_lshlrev_b64 v[14:15], v14, v[2:3]
	v_sub_u32_e32 v2, 29, v22
	v_and_b32_e32 v14, 7, v14
	v_cndmask_b32_e32 v2, v21, v2, vcc
	v_cndmask_b32_e32 v14, v17, v14, vcc
	v_lshlrev_b32_e32 v4, 24, v4
	v_lshlrev_b32_e32 v14, 20, v14
	v_and_b32_e32 v4, 0x80000000, v4
	v_lshl_add_u32 v2, v2, 23, v5
	v_or3_b32 v14, v4, v2, v14
.LBB4_12172:                            ;   in Loop: Header=BB4_12085 Depth=3
	s_or_b64 exec, exec, s[36:37]
.LBB4_12173:                            ;   in Loop: Header=BB4_12085 Depth=3
	s_or_b64 exec, exec, s[34:35]
.LBB4_12174:                            ;   in Loop: Header=BB4_12085 Depth=3
	s_or_b64 exec, exec, s[28:29]
	v_mul_f32_e32 v14, s44, v14
	v_and_b32_e32 v2, 0x7f800000, v14
	v_cmp_ne_u64_e32 vcc, s[62:63], v[2:3]
                                        ; implicit-def: $vgpr38
	s_and_saveexec_b64 s[28:29], vcc
	s_xor_b64 s[34:35], exec, s[28:29]
	s_cbranch_execz .LBB4_12192
; %bb.12175:                            ;   in Loop: Header=BB4_12085 Depth=3
	v_and_b32_e32 v2, 0x7fffffff, v14
	v_cmp_gt_u64_e32 vcc, s[72:73], v[2:3]
	v_and_b32_sdwa v4, v14, s70 dst_sel:DWORD dst_unused:UNUSED_PAD src0_sel:BYTE_3 src1_sel:DWORD
                                        ; implicit-def: $vgpr38
	s_and_saveexec_b64 s[28:29], vcc
	s_xor_b64 s[36:37], exec, s[28:29]
	s_cbranch_execz .LBB4_12189
; %bb.12176:                            ;   in Loop: Header=BB4_12085 Depth=3
	v_cmp_ne_u32_e32 vcc, 0, v14
	v_mov_b32_e32 v38, 0
	s_and_saveexec_b64 s[38:39], vcc
	s_cbranch_execz .LBB4_12188
; %bb.12177:                            ;   in Loop: Header=BB4_12085 Depth=3
	v_bfe_u32 v17, v14, 23, 8
	v_and_b32_e32 v2, 0x7fffff, v14
	v_cmp_gt_u32_e64 s[28:29], s71, v17
	v_sub_u32_e32 v14, 0x79, v17
	v_cmp_eq_u32_e32 vcc, 0, v17
	v_cndmask_b32_e64 v14, 0, v14, s[28:29]
	v_mov_b32_e32 v21, 0x78
	v_cndmask_b32_e32 v21, v14, v21, vcc
	v_or_b32_e32 v15, 0x800000, v2
	v_add_u32_e32 v14, 20, v21
	v_cndmask_b32_e32 v2, v15, v2, vcc
	v_lshlrev_b64 v[14:15], v14, -1
	v_add_u32_e32 v22, 19, v21
	v_lshlrev_b64 v[24:25], v22, 1
	v_bfi_b32 v15, v15, 0, 0
	v_bfi_b32 v14, v14, 0, v2
	v_cmp_eq_u64_e64 s[28:29], v[14:15], v[24:25]
	v_lshrrev_b64 v[14:15], v21, v[2:3]
	v_mov_b32_e32 v54, v15
	v_mov_b32_e32 v53, v14
	s_and_saveexec_b64 s[48:49], s[28:29]
; %bb.12178:                            ;   in Loop: Header=BB4_12085 Depth=3
	v_bfe_u32 v2, v14, 20, 1
	v_add_co_u32_e64 v2, s[28:29], v14, v2
	v_add_co_u32_e64 v53, s[28:29], -1, v2
; %bb.12179:                            ;   in Loop: Header=BB4_12085 Depth=3
	s_or_b64 exec, exec, s[48:49]
	v_add_u32_e32 v2, 0xffffff81, v17
	v_mov_b32_e32 v15, 0xffffff82
	v_cndmask_b32_e32 v2, v2, v15, vcc
	v_lshrrev_b32_e32 v15, 23, v14
	v_add3_u32 v24, v21, v2, v15
	v_add_u32_e32 v21, 6, v24
	v_and_b32_e32 v2, 0xfffff, v53
	v_add_u32_e32 v2, v2, v14
	v_cmp_ne_u32_e32 vcc, 0, v21
                                        ; implicit-def: $vgpr14_vgpr15
                                        ; implicit-def: $vgpr17
	s_and_saveexec_b64 s[28:29], vcc
	s_xor_b64 s[28:29], exec, s[28:29]
; %bb.12180:                            ;   in Loop: Header=BB4_12085 Depth=3
	v_cmp_lt_u64_e32 vcc, s[74:75], v[2:3]
	v_add_u32_e32 v14, 7, v24
	v_cndmask_b32_e32 v17, v21, v14, vcc
	v_cndmask_b32_e64 v14, 0, 1, vcc
	v_lshrrev_b64 v[14:15], v14, v[2:3]
; %bb.12181:                            ;   in Loop: Header=BB4_12085 Depth=3
	s_andn2_saveexec_b64 s[28:29], s[28:29]
; %bb.12182:                            ;   in Loop: Header=BB4_12085 Depth=3
	v_mov_b32_e32 v15, v3
	v_mov_b32_e32 v14, v2
	v_bfe_u32 v17, v2, 23, 1
; %bb.12183:                            ;   in Loop: Header=BB4_12085 Depth=3
	s_or_b64 exec, exec, s[28:29]
	v_lshrrev_b64 v[14:15], 20, v[14:15]
	v_cmp_gt_i32_e32 vcc, 16, v17
	v_cndmask_b32_e32 v15, 0, v15, vcc
	v_cndmask_b32_e32 v14, 7, v14, vcc
	v_cmp_ne_u64_e32 vcc, 0, v[14:15]
	v_cmp_ne_u32_e64 s[28:29], 0, v17
	s_or_b64 s[28:29], s[28:29], vcc
                                        ; implicit-def: $vgpr38
	s_and_saveexec_b64 vcc, s[28:29]
	s_xor_b64 s[28:29], exec, vcc
; %bb.12184:                            ;   in Loop: Header=BB4_12085 Depth=3
	v_min_i32_e32 v2, 15, v17
	v_lshl_or_b32 v2, v2, 3, v4
	v_and_or_b32 v38, v14, 7, v2
                                        ; implicit-def: $vgpr4
; %bb.12185:                            ;   in Loop: Header=BB4_12085 Depth=3
	s_andn2_saveexec_b64 s[28:29], s[28:29]
; %bb.12186:                            ;   in Loop: Header=BB4_12085 Depth=3
	v_mov_b32_e32 v38, v4
; %bb.12187:                            ;   in Loop: Header=BB4_12085 Depth=3
	s_or_b64 exec, exec, s[28:29]
.LBB4_12188:                            ;   in Loop: Header=BB4_12085 Depth=3
	s_or_b64 exec, exec, s[38:39]
                                        ; implicit-def: $vgpr4
.LBB4_12189:                            ;   in Loop: Header=BB4_12085 Depth=3
	s_andn2_saveexec_b64 s[28:29], s[36:37]
; %bb.12190:                            ;   in Loop: Header=BB4_12085 Depth=3
	v_or_b32_e32 v38, 0x7e, v4
; %bb.12191:                            ;   in Loop: Header=BB4_12085 Depth=3
	s_or_b64 exec, exec, s[28:29]
                                        ; implicit-def: $vgpr14
.LBB4_12192:                            ;   in Loop: Header=BB4_12085 Depth=3
	s_andn2_saveexec_b64 s[28:29], s[34:35]
; %bb.12193:                            ;   in Loop: Header=BB4_12085 Depth=3
	v_or_b32_sdwa v38, v14, s68 dst_sel:DWORD dst_unused:UNUSED_PAD src0_sel:BYTE_3 src1_sel:DWORD
; %bb.12194:                            ;   in Loop: Header=BB4_12085 Depth=3
	s_or_b64 exec, exec, s[28:29]
	flat_load_ubyte v4, v[8:9] offset:256 glc slc
	v_mov_b32_e32 v14, 0
	s_waitcnt vmcnt(0) lgkmcnt(0)
	v_cmp_ne_u16_e32 vcc, 0, v4
	s_and_saveexec_b64 s[28:29], vcc
	s_cbranch_execz .LBB4_12200
; %bb.12195:                            ;   in Loop: Header=BB4_12085 Depth=3
	v_cmp_ne_u16_e32 vcc, s70, v4
	v_bfrev_b32_e32 v14, 1
	s_and_saveexec_b64 s[34:35], vcc
	s_cbranch_execz .LBB4_12199
; %bb.12196:                            ;   in Loop: Header=BB4_12085 Depth=3
	v_and_b32_e32 v2, 0xffff, v4
	v_and_b32_e32 v15, 0x7f, v2
	v_cmp_ne_u32_e32 vcc, s68, v15
	v_mov_b32_e32 v14, 0x7f800001
	s_and_saveexec_b64 s[36:37], vcc
	s_cbranch_execz .LBB4_12198
; %bb.12197:                            ;   in Loop: Header=BB4_12085 Depth=3
	v_and_b32_e32 v17, 7, v2
	v_ffbh_u32_e32 v14, v17
	v_min_u32_e32 v22, 32, v14
	v_subrev_u32_e32 v14, 28, v22
	v_lshrrev_b32_e32 v21, 3, v15
	v_cmp_gt_u32_e32 vcc, 8, v15
	v_lshlrev_b64 v[14:15], v14, v[2:3]
	v_sub_u32_e32 v2, 29, v22
	v_and_b32_e32 v14, 7, v14
	v_cndmask_b32_e32 v2, v21, v2, vcc
	v_cndmask_b32_e32 v14, v17, v14, vcc
	v_lshlrev_b32_e32 v4, 24, v4
	v_lshlrev_b32_e32 v14, 20, v14
	v_and_b32_e32 v4, 0x80000000, v4
	v_lshl_add_u32 v2, v2, 23, v5
	v_or3_b32 v14, v4, v2, v14
.LBB4_12198:                            ;   in Loop: Header=BB4_12085 Depth=3
	s_or_b64 exec, exec, s[36:37]
.LBB4_12199:                            ;   in Loop: Header=BB4_12085 Depth=3
	s_or_b64 exec, exec, s[34:35]
.LBB4_12200:                            ;   in Loop: Header=BB4_12085 Depth=3
	s_or_b64 exec, exec, s[28:29]
	v_mul_f32_e32 v14, s44, v14
	v_and_b32_e32 v2, 0x7f800000, v14
	v_cmp_ne_u64_e32 vcc, s[62:63], v[2:3]
                                        ; implicit-def: $vgpr37
	s_and_saveexec_b64 s[28:29], vcc
	s_xor_b64 s[34:35], exec, s[28:29]
	s_cbranch_execz .LBB4_12218
; %bb.12201:                            ;   in Loop: Header=BB4_12085 Depth=3
	v_and_b32_e32 v2, 0x7fffffff, v14
	v_cmp_gt_u64_e32 vcc, s[72:73], v[2:3]
	v_and_b32_sdwa v4, v14, s70 dst_sel:DWORD dst_unused:UNUSED_PAD src0_sel:BYTE_3 src1_sel:DWORD
                                        ; implicit-def: $vgpr37
	s_and_saveexec_b64 s[28:29], vcc
	s_xor_b64 s[36:37], exec, s[28:29]
	s_cbranch_execz .LBB4_12215
; %bb.12202:                            ;   in Loop: Header=BB4_12085 Depth=3
	v_cmp_ne_u32_e32 vcc, 0, v14
	v_mov_b32_e32 v37, 0
	s_and_saveexec_b64 s[38:39], vcc
	s_cbranch_execz .LBB4_12214
; %bb.12203:                            ;   in Loop: Header=BB4_12085 Depth=3
	v_bfe_u32 v17, v14, 23, 8
	v_and_b32_e32 v2, 0x7fffff, v14
	v_cmp_gt_u32_e64 s[28:29], s71, v17
	v_sub_u32_e32 v14, 0x79, v17
	v_cmp_eq_u32_e32 vcc, 0, v17
	v_cndmask_b32_e64 v14, 0, v14, s[28:29]
	v_mov_b32_e32 v21, 0x78
	v_cndmask_b32_e32 v21, v14, v21, vcc
	v_or_b32_e32 v15, 0x800000, v2
	v_add_u32_e32 v14, 20, v21
	v_cndmask_b32_e32 v2, v15, v2, vcc
	v_lshlrev_b64 v[14:15], v14, -1
	v_add_u32_e32 v22, 19, v21
	v_lshlrev_b64 v[24:25], v22, 1
	v_bfi_b32 v15, v15, 0, 0
	v_bfi_b32 v14, v14, 0, v2
	v_cmp_eq_u64_e64 s[28:29], v[14:15], v[24:25]
	v_lshrrev_b64 v[14:15], v21, v[2:3]
	v_mov_b32_e32 v54, v15
	v_mov_b32_e32 v53, v14
	s_and_saveexec_b64 s[48:49], s[28:29]
; %bb.12204:                            ;   in Loop: Header=BB4_12085 Depth=3
	v_bfe_u32 v2, v14, 20, 1
	v_add_co_u32_e64 v2, s[28:29], v14, v2
	v_add_co_u32_e64 v53, s[28:29], -1, v2
; %bb.12205:                            ;   in Loop: Header=BB4_12085 Depth=3
	s_or_b64 exec, exec, s[48:49]
	v_add_u32_e32 v2, 0xffffff81, v17
	v_mov_b32_e32 v15, 0xffffff82
	v_cndmask_b32_e32 v2, v2, v15, vcc
	v_lshrrev_b32_e32 v15, 23, v14
	v_add3_u32 v24, v21, v2, v15
	v_add_u32_e32 v21, 6, v24
	v_and_b32_e32 v2, 0xfffff, v53
	v_add_u32_e32 v2, v2, v14
	v_cmp_ne_u32_e32 vcc, 0, v21
                                        ; implicit-def: $vgpr14_vgpr15
                                        ; implicit-def: $vgpr17
	s_and_saveexec_b64 s[28:29], vcc
	s_xor_b64 s[28:29], exec, s[28:29]
; %bb.12206:                            ;   in Loop: Header=BB4_12085 Depth=3
	v_cmp_lt_u64_e32 vcc, s[74:75], v[2:3]
	v_add_u32_e32 v14, 7, v24
	v_cndmask_b32_e32 v17, v21, v14, vcc
	v_cndmask_b32_e64 v14, 0, 1, vcc
	v_lshrrev_b64 v[14:15], v14, v[2:3]
; %bb.12207:                            ;   in Loop: Header=BB4_12085 Depth=3
	s_andn2_saveexec_b64 s[28:29], s[28:29]
; %bb.12208:                            ;   in Loop: Header=BB4_12085 Depth=3
	v_mov_b32_e32 v15, v3
	v_mov_b32_e32 v14, v2
	v_bfe_u32 v17, v2, 23, 1
; %bb.12209:                            ;   in Loop: Header=BB4_12085 Depth=3
	s_or_b64 exec, exec, s[28:29]
	v_lshrrev_b64 v[14:15], 20, v[14:15]
	v_cmp_gt_i32_e32 vcc, 16, v17
	v_cndmask_b32_e32 v15, 0, v15, vcc
	v_cndmask_b32_e32 v14, 7, v14, vcc
	v_cmp_ne_u64_e32 vcc, 0, v[14:15]
	v_cmp_ne_u32_e64 s[28:29], 0, v17
	s_or_b64 s[28:29], s[28:29], vcc
                                        ; implicit-def: $vgpr37
	s_and_saveexec_b64 vcc, s[28:29]
	s_xor_b64 s[28:29], exec, vcc
; %bb.12210:                            ;   in Loop: Header=BB4_12085 Depth=3
	v_min_i32_e32 v2, 15, v17
	v_lshl_or_b32 v2, v2, 3, v4
	v_and_or_b32 v37, v14, 7, v2
                                        ; implicit-def: $vgpr4
; %bb.12211:                            ;   in Loop: Header=BB4_12085 Depth=3
	s_andn2_saveexec_b64 s[28:29], s[28:29]
; %bb.12212:                            ;   in Loop: Header=BB4_12085 Depth=3
	v_mov_b32_e32 v37, v4
; %bb.12213:                            ;   in Loop: Header=BB4_12085 Depth=3
	s_or_b64 exec, exec, s[28:29]
.LBB4_12214:                            ;   in Loop: Header=BB4_12085 Depth=3
	s_or_b64 exec, exec, s[38:39]
                                        ; implicit-def: $vgpr4
.LBB4_12215:                            ;   in Loop: Header=BB4_12085 Depth=3
	s_andn2_saveexec_b64 s[28:29], s[36:37]
; %bb.12216:                            ;   in Loop: Header=BB4_12085 Depth=3
	v_or_b32_e32 v37, 0x7e, v4
; %bb.12217:                            ;   in Loop: Header=BB4_12085 Depth=3
	s_or_b64 exec, exec, s[28:29]
                                        ; implicit-def: $vgpr14
.LBB4_12218:                            ;   in Loop: Header=BB4_12085 Depth=3
	s_andn2_saveexec_b64 s[28:29], s[34:35]
; %bb.12219:                            ;   in Loop: Header=BB4_12085 Depth=3
	v_or_b32_sdwa v37, v14, s68 dst_sel:DWORD dst_unused:UNUSED_PAD src0_sel:BYTE_3 src1_sel:DWORD
; %bb.12220:                            ;   in Loop: Header=BB4_12085 Depth=3
	s_or_b64 exec, exec, s[28:29]
	flat_load_ubyte v4, v[8:9] offset:320 glc slc
	v_mov_b32_e32 v14, 0
	s_waitcnt vmcnt(0) lgkmcnt(0)
	v_cmp_ne_u16_e32 vcc, 0, v4
	s_and_saveexec_b64 s[28:29], vcc
	s_cbranch_execz .LBB4_12226
; %bb.12221:                            ;   in Loop: Header=BB4_12085 Depth=3
	v_cmp_ne_u16_e32 vcc, s70, v4
	v_bfrev_b32_e32 v14, 1
	s_and_saveexec_b64 s[34:35], vcc
	s_cbranch_execz .LBB4_12225
; %bb.12222:                            ;   in Loop: Header=BB4_12085 Depth=3
	v_and_b32_e32 v2, 0xffff, v4
	v_and_b32_e32 v15, 0x7f, v2
	v_cmp_ne_u32_e32 vcc, s68, v15
	v_mov_b32_e32 v14, 0x7f800001
	s_and_saveexec_b64 s[36:37], vcc
	s_cbranch_execz .LBB4_12224
; %bb.12223:                            ;   in Loop: Header=BB4_12085 Depth=3
	v_and_b32_e32 v17, 7, v2
	v_ffbh_u32_e32 v14, v17
	v_min_u32_e32 v22, 32, v14
	v_subrev_u32_e32 v14, 28, v22
	v_lshrrev_b32_e32 v21, 3, v15
	v_cmp_gt_u32_e32 vcc, 8, v15
	v_lshlrev_b64 v[14:15], v14, v[2:3]
	v_sub_u32_e32 v2, 29, v22
	v_and_b32_e32 v14, 7, v14
	v_cndmask_b32_e32 v2, v21, v2, vcc
	v_cndmask_b32_e32 v14, v17, v14, vcc
	v_lshlrev_b32_e32 v4, 24, v4
	v_lshlrev_b32_e32 v14, 20, v14
	v_and_b32_e32 v4, 0x80000000, v4
	v_lshl_add_u32 v2, v2, 23, v5
	v_or3_b32 v14, v4, v2, v14
.LBB4_12224:                            ;   in Loop: Header=BB4_12085 Depth=3
	s_or_b64 exec, exec, s[36:37]
.LBB4_12225:                            ;   in Loop: Header=BB4_12085 Depth=3
	s_or_b64 exec, exec, s[34:35]
.LBB4_12226:                            ;   in Loop: Header=BB4_12085 Depth=3
	s_or_b64 exec, exec, s[28:29]
	v_mul_f32_e32 v14, s44, v14
	v_and_b32_e32 v2, 0x7f800000, v14
	v_cmp_ne_u64_e32 vcc, s[62:63], v[2:3]
                                        ; implicit-def: $vgpr36
	s_and_saveexec_b64 s[28:29], vcc
	s_xor_b64 s[34:35], exec, s[28:29]
	s_cbranch_execz .LBB4_12244
; %bb.12227:                            ;   in Loop: Header=BB4_12085 Depth=3
	v_and_b32_e32 v2, 0x7fffffff, v14
	v_cmp_gt_u64_e32 vcc, s[72:73], v[2:3]
	v_and_b32_sdwa v4, v14, s70 dst_sel:DWORD dst_unused:UNUSED_PAD src0_sel:BYTE_3 src1_sel:DWORD
                                        ; implicit-def: $vgpr36
	s_and_saveexec_b64 s[28:29], vcc
	s_xor_b64 s[36:37], exec, s[28:29]
	s_cbranch_execz .LBB4_12241
; %bb.12228:                            ;   in Loop: Header=BB4_12085 Depth=3
	v_cmp_ne_u32_e32 vcc, 0, v14
	v_mov_b32_e32 v36, 0
	s_and_saveexec_b64 s[38:39], vcc
	s_cbranch_execz .LBB4_12240
; %bb.12229:                            ;   in Loop: Header=BB4_12085 Depth=3
	v_bfe_u32 v17, v14, 23, 8
	v_and_b32_e32 v2, 0x7fffff, v14
	v_cmp_gt_u32_e64 s[28:29], s71, v17
	v_sub_u32_e32 v14, 0x79, v17
	v_cmp_eq_u32_e32 vcc, 0, v17
	v_cndmask_b32_e64 v14, 0, v14, s[28:29]
	v_mov_b32_e32 v21, 0x78
	v_cndmask_b32_e32 v21, v14, v21, vcc
	v_or_b32_e32 v15, 0x800000, v2
	v_add_u32_e32 v14, 20, v21
	v_cndmask_b32_e32 v2, v15, v2, vcc
	v_lshlrev_b64 v[14:15], v14, -1
	v_add_u32_e32 v22, 19, v21
	v_lshlrev_b64 v[24:25], v22, 1
	v_bfi_b32 v15, v15, 0, 0
	v_bfi_b32 v14, v14, 0, v2
	v_cmp_eq_u64_e64 s[28:29], v[14:15], v[24:25]
	v_lshrrev_b64 v[14:15], v21, v[2:3]
	v_mov_b32_e32 v54, v15
	v_mov_b32_e32 v53, v14
	s_and_saveexec_b64 s[48:49], s[28:29]
; %bb.12230:                            ;   in Loop: Header=BB4_12085 Depth=3
	v_bfe_u32 v2, v14, 20, 1
	v_add_co_u32_e64 v2, s[28:29], v14, v2
	v_add_co_u32_e64 v53, s[28:29], -1, v2
; %bb.12231:                            ;   in Loop: Header=BB4_12085 Depth=3
	s_or_b64 exec, exec, s[48:49]
	v_add_u32_e32 v2, 0xffffff81, v17
	v_mov_b32_e32 v15, 0xffffff82
	v_cndmask_b32_e32 v2, v2, v15, vcc
	v_lshrrev_b32_e32 v15, 23, v14
	v_add3_u32 v24, v21, v2, v15
	v_add_u32_e32 v21, 6, v24
	v_and_b32_e32 v2, 0xfffff, v53
	v_add_u32_e32 v2, v2, v14
	v_cmp_ne_u32_e32 vcc, 0, v21
                                        ; implicit-def: $vgpr14_vgpr15
                                        ; implicit-def: $vgpr17
	s_and_saveexec_b64 s[28:29], vcc
	s_xor_b64 s[28:29], exec, s[28:29]
; %bb.12232:                            ;   in Loop: Header=BB4_12085 Depth=3
	v_cmp_lt_u64_e32 vcc, s[74:75], v[2:3]
	v_add_u32_e32 v14, 7, v24
	v_cndmask_b32_e32 v17, v21, v14, vcc
	v_cndmask_b32_e64 v14, 0, 1, vcc
	v_lshrrev_b64 v[14:15], v14, v[2:3]
; %bb.12233:                            ;   in Loop: Header=BB4_12085 Depth=3
	s_andn2_saveexec_b64 s[28:29], s[28:29]
; %bb.12234:                            ;   in Loop: Header=BB4_12085 Depth=3
	v_mov_b32_e32 v15, v3
	v_mov_b32_e32 v14, v2
	v_bfe_u32 v17, v2, 23, 1
; %bb.12235:                            ;   in Loop: Header=BB4_12085 Depth=3
	s_or_b64 exec, exec, s[28:29]
	v_lshrrev_b64 v[14:15], 20, v[14:15]
	v_cmp_gt_i32_e32 vcc, 16, v17
	v_cndmask_b32_e32 v15, 0, v15, vcc
	v_cndmask_b32_e32 v14, 7, v14, vcc
	v_cmp_ne_u64_e32 vcc, 0, v[14:15]
	v_cmp_ne_u32_e64 s[28:29], 0, v17
	s_or_b64 s[28:29], s[28:29], vcc
                                        ; implicit-def: $vgpr36
	s_and_saveexec_b64 vcc, s[28:29]
	s_xor_b64 s[28:29], exec, vcc
; %bb.12236:                            ;   in Loop: Header=BB4_12085 Depth=3
	v_min_i32_e32 v2, 15, v17
	v_lshl_or_b32 v2, v2, 3, v4
	v_and_or_b32 v36, v14, 7, v2
                                        ; implicit-def: $vgpr4
; %bb.12237:                            ;   in Loop: Header=BB4_12085 Depth=3
	s_andn2_saveexec_b64 s[28:29], s[28:29]
; %bb.12238:                            ;   in Loop: Header=BB4_12085 Depth=3
	v_mov_b32_e32 v36, v4
; %bb.12239:                            ;   in Loop: Header=BB4_12085 Depth=3
	s_or_b64 exec, exec, s[28:29]
.LBB4_12240:                            ;   in Loop: Header=BB4_12085 Depth=3
	s_or_b64 exec, exec, s[38:39]
                                        ; implicit-def: $vgpr4
.LBB4_12241:                            ;   in Loop: Header=BB4_12085 Depth=3
	s_andn2_saveexec_b64 s[28:29], s[36:37]
; %bb.12242:                            ;   in Loop: Header=BB4_12085 Depth=3
	v_or_b32_e32 v36, 0x7e, v4
; %bb.12243:                            ;   in Loop: Header=BB4_12085 Depth=3
	s_or_b64 exec, exec, s[28:29]
                                        ; implicit-def: $vgpr14
.LBB4_12244:                            ;   in Loop: Header=BB4_12085 Depth=3
	s_andn2_saveexec_b64 s[28:29], s[34:35]
; %bb.12245:                            ;   in Loop: Header=BB4_12085 Depth=3
	v_or_b32_sdwa v36, v14, s68 dst_sel:DWORD dst_unused:UNUSED_PAD src0_sel:BYTE_3 src1_sel:DWORD
; %bb.12246:                            ;   in Loop: Header=BB4_12085 Depth=3
	s_or_b64 exec, exec, s[28:29]
	flat_load_ubyte v4, v[8:9] offset:384 glc slc
	v_mov_b32_e32 v14, 0
	s_waitcnt vmcnt(0) lgkmcnt(0)
	v_cmp_ne_u16_e32 vcc, 0, v4
	s_and_saveexec_b64 s[28:29], vcc
	s_cbranch_execz .LBB4_12252
; %bb.12247:                            ;   in Loop: Header=BB4_12085 Depth=3
	v_cmp_ne_u16_e32 vcc, s70, v4
	v_bfrev_b32_e32 v14, 1
	s_and_saveexec_b64 s[34:35], vcc
	s_cbranch_execz .LBB4_12251
; %bb.12248:                            ;   in Loop: Header=BB4_12085 Depth=3
	v_and_b32_e32 v2, 0xffff, v4
	v_and_b32_e32 v15, 0x7f, v2
	v_cmp_ne_u32_e32 vcc, s68, v15
	v_mov_b32_e32 v14, 0x7f800001
	s_and_saveexec_b64 s[36:37], vcc
	s_cbranch_execz .LBB4_12250
; %bb.12249:                            ;   in Loop: Header=BB4_12085 Depth=3
	v_and_b32_e32 v17, 7, v2
	v_ffbh_u32_e32 v14, v17
	v_min_u32_e32 v22, 32, v14
	v_subrev_u32_e32 v14, 28, v22
	v_lshrrev_b32_e32 v21, 3, v15
	v_cmp_gt_u32_e32 vcc, 8, v15
	v_lshlrev_b64 v[14:15], v14, v[2:3]
	v_sub_u32_e32 v2, 29, v22
	v_and_b32_e32 v14, 7, v14
	v_cndmask_b32_e32 v2, v21, v2, vcc
	v_cndmask_b32_e32 v14, v17, v14, vcc
	v_lshlrev_b32_e32 v4, 24, v4
	v_lshlrev_b32_e32 v14, 20, v14
	v_and_b32_e32 v4, 0x80000000, v4
	v_lshl_add_u32 v2, v2, 23, v5
	v_or3_b32 v14, v4, v2, v14
.LBB4_12250:                            ;   in Loop: Header=BB4_12085 Depth=3
	s_or_b64 exec, exec, s[36:37]
.LBB4_12251:                            ;   in Loop: Header=BB4_12085 Depth=3
	s_or_b64 exec, exec, s[34:35]
.LBB4_12252:                            ;   in Loop: Header=BB4_12085 Depth=3
	s_or_b64 exec, exec, s[28:29]
	v_mul_f32_e32 v14, s44, v14
	v_and_b32_e32 v2, 0x7f800000, v14
	v_cmp_ne_u64_e32 vcc, s[62:63], v[2:3]
                                        ; implicit-def: $vgpr35
	s_and_saveexec_b64 s[28:29], vcc
	s_xor_b64 s[34:35], exec, s[28:29]
	s_cbranch_execz .LBB4_12270
; %bb.12253:                            ;   in Loop: Header=BB4_12085 Depth=3
	v_and_b32_e32 v2, 0x7fffffff, v14
	v_cmp_gt_u64_e32 vcc, s[72:73], v[2:3]
	v_and_b32_sdwa v4, v14, s70 dst_sel:DWORD dst_unused:UNUSED_PAD src0_sel:BYTE_3 src1_sel:DWORD
                                        ; implicit-def: $vgpr35
	s_and_saveexec_b64 s[28:29], vcc
	s_xor_b64 s[36:37], exec, s[28:29]
	s_cbranch_execz .LBB4_12267
; %bb.12254:                            ;   in Loop: Header=BB4_12085 Depth=3
	v_cmp_ne_u32_e32 vcc, 0, v14
	v_mov_b32_e32 v35, 0
	s_and_saveexec_b64 s[38:39], vcc
	s_cbranch_execz .LBB4_12266
; %bb.12255:                            ;   in Loop: Header=BB4_12085 Depth=3
	v_bfe_u32 v17, v14, 23, 8
	v_and_b32_e32 v2, 0x7fffff, v14
	v_cmp_gt_u32_e64 s[28:29], s71, v17
	v_sub_u32_e32 v14, 0x79, v17
	v_cmp_eq_u32_e32 vcc, 0, v17
	v_cndmask_b32_e64 v14, 0, v14, s[28:29]
	v_mov_b32_e32 v21, 0x78
	v_cndmask_b32_e32 v21, v14, v21, vcc
	v_or_b32_e32 v15, 0x800000, v2
	v_add_u32_e32 v14, 20, v21
	v_cndmask_b32_e32 v2, v15, v2, vcc
	v_lshlrev_b64 v[14:15], v14, -1
	v_add_u32_e32 v22, 19, v21
	v_lshlrev_b64 v[24:25], v22, 1
	v_bfi_b32 v15, v15, 0, 0
	v_bfi_b32 v14, v14, 0, v2
	v_cmp_eq_u64_e64 s[28:29], v[14:15], v[24:25]
	v_lshrrev_b64 v[14:15], v21, v[2:3]
	v_mov_b32_e32 v54, v15
	v_mov_b32_e32 v53, v14
	s_and_saveexec_b64 s[48:49], s[28:29]
; %bb.12256:                            ;   in Loop: Header=BB4_12085 Depth=3
	v_bfe_u32 v2, v14, 20, 1
	v_add_co_u32_e64 v2, s[28:29], v14, v2
	v_add_co_u32_e64 v53, s[28:29], -1, v2
; %bb.12257:                            ;   in Loop: Header=BB4_12085 Depth=3
	s_or_b64 exec, exec, s[48:49]
	v_add_u32_e32 v2, 0xffffff81, v17
	v_mov_b32_e32 v15, 0xffffff82
	v_cndmask_b32_e32 v2, v2, v15, vcc
	v_lshrrev_b32_e32 v15, 23, v14
	v_add3_u32 v24, v21, v2, v15
	v_add_u32_e32 v21, 6, v24
	v_and_b32_e32 v2, 0xfffff, v53
	v_add_u32_e32 v2, v2, v14
	v_cmp_ne_u32_e32 vcc, 0, v21
                                        ; implicit-def: $vgpr14_vgpr15
                                        ; implicit-def: $vgpr17
	s_and_saveexec_b64 s[28:29], vcc
	s_xor_b64 s[28:29], exec, s[28:29]
; %bb.12258:                            ;   in Loop: Header=BB4_12085 Depth=3
	v_cmp_lt_u64_e32 vcc, s[74:75], v[2:3]
	v_add_u32_e32 v14, 7, v24
	v_cndmask_b32_e32 v17, v21, v14, vcc
	v_cndmask_b32_e64 v14, 0, 1, vcc
	v_lshrrev_b64 v[14:15], v14, v[2:3]
; %bb.12259:                            ;   in Loop: Header=BB4_12085 Depth=3
	s_andn2_saveexec_b64 s[28:29], s[28:29]
; %bb.12260:                            ;   in Loop: Header=BB4_12085 Depth=3
	v_mov_b32_e32 v15, v3
	v_mov_b32_e32 v14, v2
	v_bfe_u32 v17, v2, 23, 1
; %bb.12261:                            ;   in Loop: Header=BB4_12085 Depth=3
	s_or_b64 exec, exec, s[28:29]
	v_lshrrev_b64 v[14:15], 20, v[14:15]
	v_cmp_gt_i32_e32 vcc, 16, v17
	v_cndmask_b32_e32 v15, 0, v15, vcc
	v_cndmask_b32_e32 v14, 7, v14, vcc
	v_cmp_ne_u64_e32 vcc, 0, v[14:15]
	v_cmp_ne_u32_e64 s[28:29], 0, v17
	s_or_b64 s[28:29], s[28:29], vcc
                                        ; implicit-def: $vgpr35
	s_and_saveexec_b64 vcc, s[28:29]
	s_xor_b64 s[28:29], exec, vcc
; %bb.12262:                            ;   in Loop: Header=BB4_12085 Depth=3
	v_min_i32_e32 v2, 15, v17
	v_lshl_or_b32 v2, v2, 3, v4
	v_and_or_b32 v35, v14, 7, v2
                                        ; implicit-def: $vgpr4
; %bb.12263:                            ;   in Loop: Header=BB4_12085 Depth=3
	s_andn2_saveexec_b64 s[28:29], s[28:29]
; %bb.12264:                            ;   in Loop: Header=BB4_12085 Depth=3
	v_mov_b32_e32 v35, v4
; %bb.12265:                            ;   in Loop: Header=BB4_12085 Depth=3
	s_or_b64 exec, exec, s[28:29]
.LBB4_12266:                            ;   in Loop: Header=BB4_12085 Depth=3
	s_or_b64 exec, exec, s[38:39]
                                        ; implicit-def: $vgpr4
.LBB4_12267:                            ;   in Loop: Header=BB4_12085 Depth=3
	s_andn2_saveexec_b64 s[28:29], s[36:37]
; %bb.12268:                            ;   in Loop: Header=BB4_12085 Depth=3
	v_or_b32_e32 v35, 0x7e, v4
; %bb.12269:                            ;   in Loop: Header=BB4_12085 Depth=3
	s_or_b64 exec, exec, s[28:29]
                                        ; implicit-def: $vgpr14
.LBB4_12270:                            ;   in Loop: Header=BB4_12085 Depth=3
	s_andn2_saveexec_b64 s[28:29], s[34:35]
; %bb.12271:                            ;   in Loop: Header=BB4_12085 Depth=3
	v_or_b32_sdwa v35, v14, s68 dst_sel:DWORD dst_unused:UNUSED_PAD src0_sel:BYTE_3 src1_sel:DWORD
; %bb.12272:                            ;   in Loop: Header=BB4_12085 Depth=3
	s_or_b64 exec, exec, s[28:29]
	flat_load_ubyte v4, v[8:9] offset:448 glc slc
	v_mov_b32_e32 v14, 0
	s_waitcnt vmcnt(0) lgkmcnt(0)
	v_cmp_ne_u16_e32 vcc, 0, v4
	s_and_saveexec_b64 s[28:29], vcc
	s_cbranch_execz .LBB4_12278
; %bb.12273:                            ;   in Loop: Header=BB4_12085 Depth=3
	v_cmp_ne_u16_e32 vcc, s70, v4
	v_bfrev_b32_e32 v14, 1
	s_and_saveexec_b64 s[34:35], vcc
	s_cbranch_execz .LBB4_12277
; %bb.12274:                            ;   in Loop: Header=BB4_12085 Depth=3
	v_and_b32_e32 v2, 0xffff, v4
	v_and_b32_e32 v15, 0x7f, v2
	v_cmp_ne_u32_e32 vcc, s68, v15
	v_mov_b32_e32 v14, 0x7f800001
	s_and_saveexec_b64 s[36:37], vcc
	s_cbranch_execz .LBB4_12276
; %bb.12275:                            ;   in Loop: Header=BB4_12085 Depth=3
	v_and_b32_e32 v17, 7, v2
	v_ffbh_u32_e32 v14, v17
	v_min_u32_e32 v22, 32, v14
	v_subrev_u32_e32 v14, 28, v22
	v_lshrrev_b32_e32 v21, 3, v15
	v_cmp_gt_u32_e32 vcc, 8, v15
	v_lshlrev_b64 v[14:15], v14, v[2:3]
	v_sub_u32_e32 v2, 29, v22
	v_and_b32_e32 v14, 7, v14
	v_cndmask_b32_e32 v2, v21, v2, vcc
	v_cndmask_b32_e32 v14, v17, v14, vcc
	v_lshlrev_b32_e32 v4, 24, v4
	v_lshlrev_b32_e32 v14, 20, v14
	v_and_b32_e32 v4, 0x80000000, v4
	v_lshl_add_u32 v2, v2, 23, v5
	v_or3_b32 v14, v4, v2, v14
.LBB4_12276:                            ;   in Loop: Header=BB4_12085 Depth=3
	s_or_b64 exec, exec, s[36:37]
.LBB4_12277:                            ;   in Loop: Header=BB4_12085 Depth=3
	s_or_b64 exec, exec, s[34:35]
.LBB4_12278:                            ;   in Loop: Header=BB4_12085 Depth=3
	s_or_b64 exec, exec, s[28:29]
	v_mul_f32_e32 v14, s44, v14
	v_and_b32_e32 v2, 0x7f800000, v14
	v_cmp_ne_u64_e32 vcc, s[62:63], v[2:3]
                                        ; implicit-def: $vgpr34
	s_and_saveexec_b64 s[28:29], vcc
	s_xor_b64 s[34:35], exec, s[28:29]
	s_cbranch_execz .LBB4_12296
; %bb.12279:                            ;   in Loop: Header=BB4_12085 Depth=3
	v_and_b32_e32 v2, 0x7fffffff, v14
	v_cmp_gt_u64_e32 vcc, s[72:73], v[2:3]
	v_and_b32_sdwa v4, v14, s70 dst_sel:DWORD dst_unused:UNUSED_PAD src0_sel:BYTE_3 src1_sel:DWORD
                                        ; implicit-def: $vgpr34
	s_and_saveexec_b64 s[28:29], vcc
	s_xor_b64 s[36:37], exec, s[28:29]
	s_cbranch_execz .LBB4_12293
; %bb.12280:                            ;   in Loop: Header=BB4_12085 Depth=3
	v_cmp_ne_u32_e32 vcc, 0, v14
	v_mov_b32_e32 v34, 0
	s_and_saveexec_b64 s[38:39], vcc
	s_cbranch_execz .LBB4_12292
; %bb.12281:                            ;   in Loop: Header=BB4_12085 Depth=3
	v_bfe_u32 v17, v14, 23, 8
	v_and_b32_e32 v2, 0x7fffff, v14
	v_cmp_gt_u32_e64 s[28:29], s71, v17
	v_sub_u32_e32 v14, 0x79, v17
	v_cmp_eq_u32_e32 vcc, 0, v17
	v_cndmask_b32_e64 v14, 0, v14, s[28:29]
	v_mov_b32_e32 v21, 0x78
	v_cndmask_b32_e32 v21, v14, v21, vcc
	v_or_b32_e32 v15, 0x800000, v2
	v_add_u32_e32 v14, 20, v21
	v_cndmask_b32_e32 v2, v15, v2, vcc
	v_lshlrev_b64 v[14:15], v14, -1
	v_add_u32_e32 v22, 19, v21
	v_lshlrev_b64 v[24:25], v22, 1
	v_bfi_b32 v15, v15, 0, 0
	v_bfi_b32 v14, v14, 0, v2
	v_cmp_eq_u64_e64 s[28:29], v[14:15], v[24:25]
	v_lshrrev_b64 v[14:15], v21, v[2:3]
	v_mov_b32_e32 v54, v15
	v_mov_b32_e32 v53, v14
	s_and_saveexec_b64 s[48:49], s[28:29]
; %bb.12282:                            ;   in Loop: Header=BB4_12085 Depth=3
	v_bfe_u32 v2, v14, 20, 1
	v_add_co_u32_e64 v2, s[28:29], v14, v2
	v_add_co_u32_e64 v53, s[28:29], -1, v2
; %bb.12283:                            ;   in Loop: Header=BB4_12085 Depth=3
	s_or_b64 exec, exec, s[48:49]
	v_add_u32_e32 v2, 0xffffff81, v17
	v_mov_b32_e32 v15, 0xffffff82
	v_cndmask_b32_e32 v2, v2, v15, vcc
	v_lshrrev_b32_e32 v15, 23, v14
	v_add3_u32 v24, v21, v2, v15
	v_add_u32_e32 v21, 6, v24
	v_and_b32_e32 v2, 0xfffff, v53
	v_add_u32_e32 v2, v2, v14
	v_cmp_ne_u32_e32 vcc, 0, v21
                                        ; implicit-def: $vgpr14_vgpr15
                                        ; implicit-def: $vgpr17
	s_and_saveexec_b64 s[28:29], vcc
	s_xor_b64 s[28:29], exec, s[28:29]
; %bb.12284:                            ;   in Loop: Header=BB4_12085 Depth=3
	v_cmp_lt_u64_e32 vcc, s[74:75], v[2:3]
	v_add_u32_e32 v14, 7, v24
	v_cndmask_b32_e32 v17, v21, v14, vcc
	v_cndmask_b32_e64 v14, 0, 1, vcc
	v_lshrrev_b64 v[14:15], v14, v[2:3]
; %bb.12285:                            ;   in Loop: Header=BB4_12085 Depth=3
	s_andn2_saveexec_b64 s[28:29], s[28:29]
; %bb.12286:                            ;   in Loop: Header=BB4_12085 Depth=3
	v_mov_b32_e32 v15, v3
	v_mov_b32_e32 v14, v2
	v_bfe_u32 v17, v2, 23, 1
; %bb.12287:                            ;   in Loop: Header=BB4_12085 Depth=3
	s_or_b64 exec, exec, s[28:29]
	v_lshrrev_b64 v[14:15], 20, v[14:15]
	v_cmp_gt_i32_e32 vcc, 16, v17
	v_cndmask_b32_e32 v15, 0, v15, vcc
	v_cndmask_b32_e32 v14, 7, v14, vcc
	v_cmp_ne_u64_e32 vcc, 0, v[14:15]
	v_cmp_ne_u32_e64 s[28:29], 0, v17
	s_or_b64 s[28:29], s[28:29], vcc
                                        ; implicit-def: $vgpr34
	s_and_saveexec_b64 vcc, s[28:29]
	s_xor_b64 s[28:29], exec, vcc
; %bb.12288:                            ;   in Loop: Header=BB4_12085 Depth=3
	v_min_i32_e32 v2, 15, v17
	v_lshl_or_b32 v2, v2, 3, v4
	v_and_or_b32 v34, v14, 7, v2
                                        ; implicit-def: $vgpr4
; %bb.12289:                            ;   in Loop: Header=BB4_12085 Depth=3
	s_andn2_saveexec_b64 s[28:29], s[28:29]
; %bb.12290:                            ;   in Loop: Header=BB4_12085 Depth=3
	v_mov_b32_e32 v34, v4
; %bb.12291:                            ;   in Loop: Header=BB4_12085 Depth=3
	s_or_b64 exec, exec, s[28:29]
.LBB4_12292:                            ;   in Loop: Header=BB4_12085 Depth=3
	s_or_b64 exec, exec, s[38:39]
                                        ; implicit-def: $vgpr4
.LBB4_12293:                            ;   in Loop: Header=BB4_12085 Depth=3
	s_andn2_saveexec_b64 s[28:29], s[36:37]
; %bb.12294:                            ;   in Loop: Header=BB4_12085 Depth=3
	v_or_b32_e32 v34, 0x7e, v4
; %bb.12295:                            ;   in Loop: Header=BB4_12085 Depth=3
	s_or_b64 exec, exec, s[28:29]
                                        ; implicit-def: $vgpr14
.LBB4_12296:                            ;   in Loop: Header=BB4_12085 Depth=3
	s_andn2_saveexec_b64 s[28:29], s[34:35]
; %bb.12297:                            ;   in Loop: Header=BB4_12085 Depth=3
	v_or_b32_sdwa v34, v14, s68 dst_sel:DWORD dst_unused:UNUSED_PAD src0_sel:BYTE_3 src1_sel:DWORD
; %bb.12298:                            ;   in Loop: Header=BB4_12085 Depth=3
	s_or_b64 exec, exec, s[28:29]
	flat_load_ubyte v4, v[8:9] offset:512 glc slc
	v_mov_b32_e32 v14, 0
	s_waitcnt vmcnt(0) lgkmcnt(0)
	v_cmp_ne_u16_e32 vcc, 0, v4
	s_and_saveexec_b64 s[28:29], vcc
	s_cbranch_execz .LBB4_12304
; %bb.12299:                            ;   in Loop: Header=BB4_12085 Depth=3
	v_cmp_ne_u16_e32 vcc, s70, v4
	v_bfrev_b32_e32 v14, 1
	s_and_saveexec_b64 s[34:35], vcc
	s_cbranch_execz .LBB4_12303
; %bb.12300:                            ;   in Loop: Header=BB4_12085 Depth=3
	v_and_b32_e32 v2, 0xffff, v4
	v_and_b32_e32 v15, 0x7f, v2
	v_cmp_ne_u32_e32 vcc, s68, v15
	v_mov_b32_e32 v14, 0x7f800001
	s_and_saveexec_b64 s[36:37], vcc
	s_cbranch_execz .LBB4_12302
; %bb.12301:                            ;   in Loop: Header=BB4_12085 Depth=3
	v_and_b32_e32 v17, 7, v2
	v_ffbh_u32_e32 v14, v17
	v_min_u32_e32 v22, 32, v14
	v_subrev_u32_e32 v14, 28, v22
	v_lshrrev_b32_e32 v21, 3, v15
	v_cmp_gt_u32_e32 vcc, 8, v15
	v_lshlrev_b64 v[14:15], v14, v[2:3]
	v_sub_u32_e32 v2, 29, v22
	v_and_b32_e32 v14, 7, v14
	v_cndmask_b32_e32 v2, v21, v2, vcc
	v_cndmask_b32_e32 v14, v17, v14, vcc
	v_lshlrev_b32_e32 v4, 24, v4
	v_lshlrev_b32_e32 v14, 20, v14
	v_and_b32_e32 v4, 0x80000000, v4
	v_lshl_add_u32 v2, v2, 23, v5
	v_or3_b32 v14, v4, v2, v14
.LBB4_12302:                            ;   in Loop: Header=BB4_12085 Depth=3
	s_or_b64 exec, exec, s[36:37]
.LBB4_12303:                            ;   in Loop: Header=BB4_12085 Depth=3
	s_or_b64 exec, exec, s[34:35]
.LBB4_12304:                            ;   in Loop: Header=BB4_12085 Depth=3
	s_or_b64 exec, exec, s[28:29]
	v_mul_f32_e32 v14, s44, v14
	v_and_b32_e32 v2, 0x7f800000, v14
	v_cmp_ne_u64_e32 vcc, s[62:63], v[2:3]
                                        ; implicit-def: $vgpr31
	s_and_saveexec_b64 s[28:29], vcc
	s_xor_b64 s[34:35], exec, s[28:29]
	s_cbranch_execz .LBB4_12322
; %bb.12305:                            ;   in Loop: Header=BB4_12085 Depth=3
	v_and_b32_e32 v2, 0x7fffffff, v14
	v_cmp_gt_u64_e32 vcc, s[72:73], v[2:3]
	v_and_b32_sdwa v4, v14, s70 dst_sel:DWORD dst_unused:UNUSED_PAD src0_sel:BYTE_3 src1_sel:DWORD
                                        ; implicit-def: $vgpr31
	s_and_saveexec_b64 s[28:29], vcc
	s_xor_b64 s[36:37], exec, s[28:29]
	s_cbranch_execz .LBB4_12319
; %bb.12306:                            ;   in Loop: Header=BB4_12085 Depth=3
	v_cmp_ne_u32_e32 vcc, 0, v14
	v_mov_b32_e32 v31, 0
	s_and_saveexec_b64 s[38:39], vcc
	s_cbranch_execz .LBB4_12318
; %bb.12307:                            ;   in Loop: Header=BB4_12085 Depth=3
	v_bfe_u32 v17, v14, 23, 8
	v_and_b32_e32 v2, 0x7fffff, v14
	v_cmp_gt_u32_e64 s[28:29], s71, v17
	v_sub_u32_e32 v14, 0x79, v17
	v_cmp_eq_u32_e32 vcc, 0, v17
	v_cndmask_b32_e64 v14, 0, v14, s[28:29]
	v_mov_b32_e32 v21, 0x78
	v_cndmask_b32_e32 v21, v14, v21, vcc
	v_or_b32_e32 v15, 0x800000, v2
	v_add_u32_e32 v14, 20, v21
	v_cndmask_b32_e32 v2, v15, v2, vcc
	v_lshlrev_b64 v[14:15], v14, -1
	v_add_u32_e32 v22, 19, v21
	v_lshlrev_b64 v[24:25], v22, 1
	v_bfi_b32 v15, v15, 0, 0
	v_bfi_b32 v14, v14, 0, v2
	v_cmp_eq_u64_e64 s[28:29], v[14:15], v[24:25]
	v_lshrrev_b64 v[14:15], v21, v[2:3]
	v_mov_b32_e32 v54, v15
	v_mov_b32_e32 v53, v14
	s_and_saveexec_b64 s[48:49], s[28:29]
; %bb.12308:                            ;   in Loop: Header=BB4_12085 Depth=3
	v_bfe_u32 v2, v14, 20, 1
	v_add_co_u32_e64 v2, s[28:29], v14, v2
	v_add_co_u32_e64 v53, s[28:29], -1, v2
; %bb.12309:                            ;   in Loop: Header=BB4_12085 Depth=3
	s_or_b64 exec, exec, s[48:49]
	v_add_u32_e32 v2, 0xffffff81, v17
	v_mov_b32_e32 v15, 0xffffff82
	v_cndmask_b32_e32 v2, v2, v15, vcc
	v_lshrrev_b32_e32 v15, 23, v14
	v_add3_u32 v24, v21, v2, v15
	v_add_u32_e32 v21, 6, v24
	v_and_b32_e32 v2, 0xfffff, v53
	v_add_u32_e32 v2, v2, v14
	v_cmp_ne_u32_e32 vcc, 0, v21
                                        ; implicit-def: $vgpr14_vgpr15
                                        ; implicit-def: $vgpr17
	s_and_saveexec_b64 s[28:29], vcc
	s_xor_b64 s[28:29], exec, s[28:29]
; %bb.12310:                            ;   in Loop: Header=BB4_12085 Depth=3
	v_cmp_lt_u64_e32 vcc, s[74:75], v[2:3]
	v_add_u32_e32 v14, 7, v24
	v_cndmask_b32_e32 v17, v21, v14, vcc
	v_cndmask_b32_e64 v14, 0, 1, vcc
	v_lshrrev_b64 v[14:15], v14, v[2:3]
; %bb.12311:                            ;   in Loop: Header=BB4_12085 Depth=3
	s_andn2_saveexec_b64 s[28:29], s[28:29]
; %bb.12312:                            ;   in Loop: Header=BB4_12085 Depth=3
	v_mov_b32_e32 v15, v3
	v_mov_b32_e32 v14, v2
	v_bfe_u32 v17, v2, 23, 1
; %bb.12313:                            ;   in Loop: Header=BB4_12085 Depth=3
	s_or_b64 exec, exec, s[28:29]
	v_lshrrev_b64 v[14:15], 20, v[14:15]
	v_cmp_gt_i32_e32 vcc, 16, v17
	v_cndmask_b32_e32 v15, 0, v15, vcc
	v_cndmask_b32_e32 v14, 7, v14, vcc
	v_cmp_ne_u64_e32 vcc, 0, v[14:15]
	v_cmp_ne_u32_e64 s[28:29], 0, v17
	s_or_b64 s[28:29], s[28:29], vcc
                                        ; implicit-def: $vgpr31
	s_and_saveexec_b64 vcc, s[28:29]
	s_xor_b64 s[28:29], exec, vcc
; %bb.12314:                            ;   in Loop: Header=BB4_12085 Depth=3
	v_min_i32_e32 v2, 15, v17
	v_lshl_or_b32 v2, v2, 3, v4
	v_and_or_b32 v31, v14, 7, v2
                                        ; implicit-def: $vgpr4
; %bb.12315:                            ;   in Loop: Header=BB4_12085 Depth=3
	s_andn2_saveexec_b64 s[28:29], s[28:29]
; %bb.12316:                            ;   in Loop: Header=BB4_12085 Depth=3
	v_mov_b32_e32 v31, v4
; %bb.12317:                            ;   in Loop: Header=BB4_12085 Depth=3
	s_or_b64 exec, exec, s[28:29]
.LBB4_12318:                            ;   in Loop: Header=BB4_12085 Depth=3
	s_or_b64 exec, exec, s[38:39]
                                        ; implicit-def: $vgpr4
.LBB4_12319:                            ;   in Loop: Header=BB4_12085 Depth=3
	s_andn2_saveexec_b64 s[28:29], s[36:37]
; %bb.12320:                            ;   in Loop: Header=BB4_12085 Depth=3
	v_or_b32_e32 v31, 0x7e, v4
; %bb.12321:                            ;   in Loop: Header=BB4_12085 Depth=3
	s_or_b64 exec, exec, s[28:29]
                                        ; implicit-def: $vgpr14
.LBB4_12322:                            ;   in Loop: Header=BB4_12085 Depth=3
	s_andn2_saveexec_b64 s[28:29], s[34:35]
; %bb.12323:                            ;   in Loop: Header=BB4_12085 Depth=3
	v_or_b32_sdwa v31, v14, s68 dst_sel:DWORD dst_unused:UNUSED_PAD src0_sel:BYTE_3 src1_sel:DWORD
; %bb.12324:                            ;   in Loop: Header=BB4_12085 Depth=3
	s_or_b64 exec, exec, s[28:29]
	flat_load_ubyte v4, v[8:9] offset:576 glc slc
	v_mov_b32_e32 v14, 0
	s_waitcnt vmcnt(0) lgkmcnt(0)
	v_cmp_ne_u16_e32 vcc, 0, v4
	s_and_saveexec_b64 s[28:29], vcc
	s_cbranch_execz .LBB4_12330
; %bb.12325:                            ;   in Loop: Header=BB4_12085 Depth=3
	v_cmp_ne_u16_e32 vcc, s70, v4
	v_bfrev_b32_e32 v14, 1
	s_and_saveexec_b64 s[34:35], vcc
	s_cbranch_execz .LBB4_12329
; %bb.12326:                            ;   in Loop: Header=BB4_12085 Depth=3
	v_and_b32_e32 v2, 0xffff, v4
	v_and_b32_e32 v15, 0x7f, v2
	v_cmp_ne_u32_e32 vcc, s68, v15
	v_mov_b32_e32 v14, 0x7f800001
	s_and_saveexec_b64 s[36:37], vcc
	s_cbranch_execz .LBB4_12328
; %bb.12327:                            ;   in Loop: Header=BB4_12085 Depth=3
	v_and_b32_e32 v17, 7, v2
	v_ffbh_u32_e32 v14, v17
	v_min_u32_e32 v22, 32, v14
	v_subrev_u32_e32 v14, 28, v22
	v_lshrrev_b32_e32 v21, 3, v15
	v_cmp_gt_u32_e32 vcc, 8, v15
	v_lshlrev_b64 v[14:15], v14, v[2:3]
	v_sub_u32_e32 v2, 29, v22
	v_and_b32_e32 v14, 7, v14
	v_cndmask_b32_e32 v2, v21, v2, vcc
	v_cndmask_b32_e32 v14, v17, v14, vcc
	v_lshlrev_b32_e32 v4, 24, v4
	v_lshlrev_b32_e32 v14, 20, v14
	v_and_b32_e32 v4, 0x80000000, v4
	v_lshl_add_u32 v2, v2, 23, v5
	v_or3_b32 v14, v4, v2, v14
.LBB4_12328:                            ;   in Loop: Header=BB4_12085 Depth=3
	s_or_b64 exec, exec, s[36:37]
.LBB4_12329:                            ;   in Loop: Header=BB4_12085 Depth=3
	s_or_b64 exec, exec, s[34:35]
.LBB4_12330:                            ;   in Loop: Header=BB4_12085 Depth=3
	s_or_b64 exec, exec, s[28:29]
	v_mul_f32_e32 v14, s44, v14
	v_and_b32_e32 v2, 0x7f800000, v14
	v_cmp_ne_u64_e32 vcc, s[62:63], v[2:3]
                                        ; implicit-def: $vgpr28
	s_and_saveexec_b64 s[28:29], vcc
	s_xor_b64 s[34:35], exec, s[28:29]
	s_cbranch_execz .LBB4_12348
; %bb.12331:                            ;   in Loop: Header=BB4_12085 Depth=3
	v_and_b32_e32 v2, 0x7fffffff, v14
	v_cmp_gt_u64_e32 vcc, s[72:73], v[2:3]
	v_and_b32_sdwa v4, v14, s70 dst_sel:DWORD dst_unused:UNUSED_PAD src0_sel:BYTE_3 src1_sel:DWORD
                                        ; implicit-def: $vgpr28
	s_and_saveexec_b64 s[28:29], vcc
	s_xor_b64 s[36:37], exec, s[28:29]
	s_cbranch_execz .LBB4_12345
; %bb.12332:                            ;   in Loop: Header=BB4_12085 Depth=3
	v_cmp_ne_u32_e32 vcc, 0, v14
	v_mov_b32_e32 v28, 0
	s_and_saveexec_b64 s[38:39], vcc
	s_cbranch_execz .LBB4_12344
; %bb.12333:                            ;   in Loop: Header=BB4_12085 Depth=3
	v_bfe_u32 v17, v14, 23, 8
	v_and_b32_e32 v2, 0x7fffff, v14
	v_cmp_gt_u32_e64 s[28:29], s71, v17
	v_sub_u32_e32 v14, 0x79, v17
	v_cmp_eq_u32_e32 vcc, 0, v17
	v_cndmask_b32_e64 v14, 0, v14, s[28:29]
	v_mov_b32_e32 v21, 0x78
	v_cndmask_b32_e32 v21, v14, v21, vcc
	v_or_b32_e32 v15, 0x800000, v2
	v_add_u32_e32 v14, 20, v21
	v_cndmask_b32_e32 v2, v15, v2, vcc
	v_lshlrev_b64 v[14:15], v14, -1
	v_add_u32_e32 v22, 19, v21
	v_lshlrev_b64 v[24:25], v22, 1
	v_bfi_b32 v15, v15, 0, 0
	v_bfi_b32 v14, v14, 0, v2
	v_cmp_eq_u64_e64 s[28:29], v[14:15], v[24:25]
	v_lshrrev_b64 v[14:15], v21, v[2:3]
	v_mov_b32_e32 v54, v15
	v_mov_b32_e32 v53, v14
	s_and_saveexec_b64 s[48:49], s[28:29]
; %bb.12334:                            ;   in Loop: Header=BB4_12085 Depth=3
	v_bfe_u32 v2, v14, 20, 1
	v_add_co_u32_e64 v2, s[28:29], v14, v2
	v_add_co_u32_e64 v53, s[28:29], -1, v2
; %bb.12335:                            ;   in Loop: Header=BB4_12085 Depth=3
	s_or_b64 exec, exec, s[48:49]
	v_add_u32_e32 v2, 0xffffff81, v17
	v_mov_b32_e32 v15, 0xffffff82
	v_cndmask_b32_e32 v2, v2, v15, vcc
	v_lshrrev_b32_e32 v15, 23, v14
	v_add3_u32 v24, v21, v2, v15
	v_add_u32_e32 v21, 6, v24
	v_and_b32_e32 v2, 0xfffff, v53
	v_add_u32_e32 v2, v2, v14
	v_cmp_ne_u32_e32 vcc, 0, v21
                                        ; implicit-def: $vgpr14_vgpr15
                                        ; implicit-def: $vgpr17
	s_and_saveexec_b64 s[28:29], vcc
	s_xor_b64 s[28:29], exec, s[28:29]
; %bb.12336:                            ;   in Loop: Header=BB4_12085 Depth=3
	v_cmp_lt_u64_e32 vcc, s[74:75], v[2:3]
	v_add_u32_e32 v14, 7, v24
	v_cndmask_b32_e32 v17, v21, v14, vcc
	v_cndmask_b32_e64 v14, 0, 1, vcc
	v_lshrrev_b64 v[14:15], v14, v[2:3]
; %bb.12337:                            ;   in Loop: Header=BB4_12085 Depth=3
	s_andn2_saveexec_b64 s[28:29], s[28:29]
; %bb.12338:                            ;   in Loop: Header=BB4_12085 Depth=3
	v_mov_b32_e32 v15, v3
	v_mov_b32_e32 v14, v2
	v_bfe_u32 v17, v2, 23, 1
; %bb.12339:                            ;   in Loop: Header=BB4_12085 Depth=3
	s_or_b64 exec, exec, s[28:29]
	v_lshrrev_b64 v[14:15], 20, v[14:15]
	v_cmp_gt_i32_e32 vcc, 16, v17
	v_cndmask_b32_e32 v15, 0, v15, vcc
	v_cndmask_b32_e32 v14, 7, v14, vcc
	v_cmp_ne_u64_e32 vcc, 0, v[14:15]
	v_cmp_ne_u32_e64 s[28:29], 0, v17
	s_or_b64 s[28:29], s[28:29], vcc
                                        ; implicit-def: $vgpr28
	s_and_saveexec_b64 vcc, s[28:29]
	s_xor_b64 s[28:29], exec, vcc
; %bb.12340:                            ;   in Loop: Header=BB4_12085 Depth=3
	v_min_i32_e32 v2, 15, v17
	v_lshl_or_b32 v2, v2, 3, v4
	v_and_or_b32 v28, v14, 7, v2
                                        ; implicit-def: $vgpr4
; %bb.12341:                            ;   in Loop: Header=BB4_12085 Depth=3
	s_andn2_saveexec_b64 s[28:29], s[28:29]
; %bb.12342:                            ;   in Loop: Header=BB4_12085 Depth=3
	v_mov_b32_e32 v28, v4
; %bb.12343:                            ;   in Loop: Header=BB4_12085 Depth=3
	s_or_b64 exec, exec, s[28:29]
.LBB4_12344:                            ;   in Loop: Header=BB4_12085 Depth=3
	s_or_b64 exec, exec, s[38:39]
                                        ; implicit-def: $vgpr4
.LBB4_12345:                            ;   in Loop: Header=BB4_12085 Depth=3
	s_andn2_saveexec_b64 s[28:29], s[36:37]
; %bb.12346:                            ;   in Loop: Header=BB4_12085 Depth=3
	v_or_b32_e32 v28, 0x7e, v4
; %bb.12347:                            ;   in Loop: Header=BB4_12085 Depth=3
	s_or_b64 exec, exec, s[28:29]
                                        ; implicit-def: $vgpr14
.LBB4_12348:                            ;   in Loop: Header=BB4_12085 Depth=3
	s_andn2_saveexec_b64 s[28:29], s[34:35]
; %bb.12349:                            ;   in Loop: Header=BB4_12085 Depth=3
	v_or_b32_sdwa v28, v14, s68 dst_sel:DWORD dst_unused:UNUSED_PAD src0_sel:BYTE_3 src1_sel:DWORD
; %bb.12350:                            ;   in Loop: Header=BB4_12085 Depth=3
	s_or_b64 exec, exec, s[28:29]
	flat_load_ubyte v4, v[8:9] offset:640 glc slc
	v_mov_b32_e32 v14, 0
	s_waitcnt vmcnt(0) lgkmcnt(0)
	v_cmp_ne_u16_e32 vcc, 0, v4
	s_and_saveexec_b64 s[28:29], vcc
	s_cbranch_execz .LBB4_12356
; %bb.12351:                            ;   in Loop: Header=BB4_12085 Depth=3
	v_cmp_ne_u16_e32 vcc, s70, v4
	v_bfrev_b32_e32 v14, 1
	s_and_saveexec_b64 s[34:35], vcc
	s_cbranch_execz .LBB4_12355
; %bb.12352:                            ;   in Loop: Header=BB4_12085 Depth=3
	v_and_b32_e32 v2, 0xffff, v4
	v_and_b32_e32 v15, 0x7f, v2
	v_cmp_ne_u32_e32 vcc, s68, v15
	v_mov_b32_e32 v14, 0x7f800001
	s_and_saveexec_b64 s[36:37], vcc
	s_cbranch_execz .LBB4_12354
; %bb.12353:                            ;   in Loop: Header=BB4_12085 Depth=3
	v_and_b32_e32 v17, 7, v2
	v_ffbh_u32_e32 v14, v17
	v_min_u32_e32 v22, 32, v14
	v_subrev_u32_e32 v14, 28, v22
	v_lshrrev_b32_e32 v21, 3, v15
	v_cmp_gt_u32_e32 vcc, 8, v15
	v_lshlrev_b64 v[14:15], v14, v[2:3]
	v_sub_u32_e32 v2, 29, v22
	v_and_b32_e32 v14, 7, v14
	v_cndmask_b32_e32 v2, v21, v2, vcc
	v_cndmask_b32_e32 v14, v17, v14, vcc
	v_lshlrev_b32_e32 v4, 24, v4
	v_lshlrev_b32_e32 v14, 20, v14
	v_and_b32_e32 v4, 0x80000000, v4
	v_lshl_add_u32 v2, v2, 23, v5
	v_or3_b32 v14, v4, v2, v14
.LBB4_12354:                            ;   in Loop: Header=BB4_12085 Depth=3
	s_or_b64 exec, exec, s[36:37]
.LBB4_12355:                            ;   in Loop: Header=BB4_12085 Depth=3
	s_or_b64 exec, exec, s[34:35]
.LBB4_12356:                            ;   in Loop: Header=BB4_12085 Depth=3
	s_or_b64 exec, exec, s[28:29]
	v_mul_f32_e32 v14, s44, v14
	v_and_b32_e32 v2, 0x7f800000, v14
	v_cmp_ne_u64_e32 vcc, s[62:63], v[2:3]
                                        ; implicit-def: $vgpr27
	s_and_saveexec_b64 s[28:29], vcc
	s_xor_b64 s[34:35], exec, s[28:29]
	s_cbranch_execz .LBB4_12374
; %bb.12357:                            ;   in Loop: Header=BB4_12085 Depth=3
	v_and_b32_e32 v2, 0x7fffffff, v14
	v_cmp_gt_u64_e32 vcc, s[72:73], v[2:3]
	v_and_b32_sdwa v4, v14, s70 dst_sel:DWORD dst_unused:UNUSED_PAD src0_sel:BYTE_3 src1_sel:DWORD
                                        ; implicit-def: $vgpr27
	s_and_saveexec_b64 s[28:29], vcc
	s_xor_b64 s[36:37], exec, s[28:29]
	s_cbranch_execz .LBB4_12371
; %bb.12358:                            ;   in Loop: Header=BB4_12085 Depth=3
	v_cmp_ne_u32_e32 vcc, 0, v14
	v_mov_b32_e32 v27, 0
	s_and_saveexec_b64 s[38:39], vcc
	s_cbranch_execz .LBB4_12370
; %bb.12359:                            ;   in Loop: Header=BB4_12085 Depth=3
	v_bfe_u32 v17, v14, 23, 8
	v_and_b32_e32 v2, 0x7fffff, v14
	v_cmp_gt_u32_e64 s[28:29], s71, v17
	v_sub_u32_e32 v14, 0x79, v17
	v_cmp_eq_u32_e32 vcc, 0, v17
	v_cndmask_b32_e64 v14, 0, v14, s[28:29]
	v_mov_b32_e32 v21, 0x78
	v_cndmask_b32_e32 v21, v14, v21, vcc
	v_or_b32_e32 v15, 0x800000, v2
	v_add_u32_e32 v14, 20, v21
	v_cndmask_b32_e32 v2, v15, v2, vcc
	v_lshlrev_b64 v[14:15], v14, -1
	v_add_u32_e32 v22, 19, v21
	v_lshlrev_b64 v[24:25], v22, 1
	v_bfi_b32 v15, v15, 0, 0
	v_bfi_b32 v14, v14, 0, v2
	v_cmp_eq_u64_e64 s[28:29], v[14:15], v[24:25]
	v_lshrrev_b64 v[14:15], v21, v[2:3]
	v_mov_b32_e32 v54, v15
	v_mov_b32_e32 v53, v14
	s_and_saveexec_b64 s[48:49], s[28:29]
; %bb.12360:                            ;   in Loop: Header=BB4_12085 Depth=3
	v_bfe_u32 v2, v14, 20, 1
	v_add_co_u32_e64 v2, s[28:29], v14, v2
	v_add_co_u32_e64 v53, s[28:29], -1, v2
; %bb.12361:                            ;   in Loop: Header=BB4_12085 Depth=3
	s_or_b64 exec, exec, s[48:49]
	v_add_u32_e32 v2, 0xffffff81, v17
	v_mov_b32_e32 v15, 0xffffff82
	v_cndmask_b32_e32 v2, v2, v15, vcc
	v_lshrrev_b32_e32 v15, 23, v14
	v_add3_u32 v24, v21, v2, v15
	v_add_u32_e32 v21, 6, v24
	v_and_b32_e32 v2, 0xfffff, v53
	v_add_u32_e32 v2, v2, v14
	v_cmp_ne_u32_e32 vcc, 0, v21
                                        ; implicit-def: $vgpr14_vgpr15
                                        ; implicit-def: $vgpr17
	s_and_saveexec_b64 s[28:29], vcc
	s_xor_b64 s[28:29], exec, s[28:29]
; %bb.12362:                            ;   in Loop: Header=BB4_12085 Depth=3
	v_cmp_lt_u64_e32 vcc, s[74:75], v[2:3]
	v_add_u32_e32 v14, 7, v24
	v_cndmask_b32_e32 v17, v21, v14, vcc
	v_cndmask_b32_e64 v14, 0, 1, vcc
	v_lshrrev_b64 v[14:15], v14, v[2:3]
; %bb.12363:                            ;   in Loop: Header=BB4_12085 Depth=3
	s_andn2_saveexec_b64 s[28:29], s[28:29]
; %bb.12364:                            ;   in Loop: Header=BB4_12085 Depth=3
	v_mov_b32_e32 v15, v3
	v_mov_b32_e32 v14, v2
	v_bfe_u32 v17, v2, 23, 1
; %bb.12365:                            ;   in Loop: Header=BB4_12085 Depth=3
	s_or_b64 exec, exec, s[28:29]
	v_lshrrev_b64 v[14:15], 20, v[14:15]
	v_cmp_gt_i32_e32 vcc, 16, v17
	v_cndmask_b32_e32 v15, 0, v15, vcc
	v_cndmask_b32_e32 v14, 7, v14, vcc
	v_cmp_ne_u64_e32 vcc, 0, v[14:15]
	v_cmp_ne_u32_e64 s[28:29], 0, v17
	s_or_b64 s[28:29], s[28:29], vcc
                                        ; implicit-def: $vgpr27
	s_and_saveexec_b64 vcc, s[28:29]
	s_xor_b64 s[28:29], exec, vcc
; %bb.12366:                            ;   in Loop: Header=BB4_12085 Depth=3
	v_min_i32_e32 v2, 15, v17
	v_lshl_or_b32 v2, v2, 3, v4
	v_and_or_b32 v27, v14, 7, v2
                                        ; implicit-def: $vgpr4
; %bb.12367:                            ;   in Loop: Header=BB4_12085 Depth=3
	s_andn2_saveexec_b64 s[28:29], s[28:29]
; %bb.12368:                            ;   in Loop: Header=BB4_12085 Depth=3
	v_mov_b32_e32 v27, v4
; %bb.12369:                            ;   in Loop: Header=BB4_12085 Depth=3
	s_or_b64 exec, exec, s[28:29]
.LBB4_12370:                            ;   in Loop: Header=BB4_12085 Depth=3
	s_or_b64 exec, exec, s[38:39]
                                        ; implicit-def: $vgpr4
.LBB4_12371:                            ;   in Loop: Header=BB4_12085 Depth=3
	s_andn2_saveexec_b64 s[28:29], s[36:37]
; %bb.12372:                            ;   in Loop: Header=BB4_12085 Depth=3
	v_or_b32_e32 v27, 0x7e, v4
; %bb.12373:                            ;   in Loop: Header=BB4_12085 Depth=3
	s_or_b64 exec, exec, s[28:29]
                                        ; implicit-def: $vgpr14
.LBB4_12374:                            ;   in Loop: Header=BB4_12085 Depth=3
	s_andn2_saveexec_b64 s[28:29], s[34:35]
; %bb.12375:                            ;   in Loop: Header=BB4_12085 Depth=3
	v_or_b32_sdwa v27, v14, s68 dst_sel:DWORD dst_unused:UNUSED_PAD src0_sel:BYTE_3 src1_sel:DWORD
; %bb.12376:                            ;   in Loop: Header=BB4_12085 Depth=3
	s_or_b64 exec, exec, s[28:29]
	flat_load_ubyte v4, v[8:9] offset:704 glc slc
	v_mov_b32_e32 v14, 0
	s_waitcnt vmcnt(0) lgkmcnt(0)
	v_cmp_ne_u16_e32 vcc, 0, v4
	s_and_saveexec_b64 s[28:29], vcc
	s_cbranch_execz .LBB4_12382
; %bb.12377:                            ;   in Loop: Header=BB4_12085 Depth=3
	v_cmp_ne_u16_e32 vcc, s70, v4
	v_bfrev_b32_e32 v14, 1
	s_and_saveexec_b64 s[34:35], vcc
	s_cbranch_execz .LBB4_12381
; %bb.12378:                            ;   in Loop: Header=BB4_12085 Depth=3
	v_and_b32_e32 v2, 0xffff, v4
	v_and_b32_e32 v15, 0x7f, v2
	v_cmp_ne_u32_e32 vcc, s68, v15
	v_mov_b32_e32 v14, 0x7f800001
	s_and_saveexec_b64 s[36:37], vcc
	s_cbranch_execz .LBB4_12380
; %bb.12379:                            ;   in Loop: Header=BB4_12085 Depth=3
	v_and_b32_e32 v17, 7, v2
	v_ffbh_u32_e32 v14, v17
	v_min_u32_e32 v22, 32, v14
	v_subrev_u32_e32 v14, 28, v22
	v_lshrrev_b32_e32 v21, 3, v15
	v_cmp_gt_u32_e32 vcc, 8, v15
	v_lshlrev_b64 v[14:15], v14, v[2:3]
	v_sub_u32_e32 v2, 29, v22
	v_and_b32_e32 v14, 7, v14
	v_cndmask_b32_e32 v2, v21, v2, vcc
	v_cndmask_b32_e32 v14, v17, v14, vcc
	v_lshlrev_b32_e32 v4, 24, v4
	v_lshlrev_b32_e32 v14, 20, v14
	v_and_b32_e32 v4, 0x80000000, v4
	v_lshl_add_u32 v2, v2, 23, v5
	v_or3_b32 v14, v4, v2, v14
.LBB4_12380:                            ;   in Loop: Header=BB4_12085 Depth=3
	s_or_b64 exec, exec, s[36:37]
.LBB4_12381:                            ;   in Loop: Header=BB4_12085 Depth=3
	s_or_b64 exec, exec, s[34:35]
.LBB4_12382:                            ;   in Loop: Header=BB4_12085 Depth=3
	s_or_b64 exec, exec, s[28:29]
	v_mul_f32_e32 v14, s44, v14
	v_and_b32_e32 v2, 0x7f800000, v14
	v_cmp_ne_u64_e32 vcc, s[62:63], v[2:3]
                                        ; implicit-def: $vgpr26
	s_and_saveexec_b64 s[28:29], vcc
	s_xor_b64 s[34:35], exec, s[28:29]
	s_cbranch_execz .LBB4_12400
; %bb.12383:                            ;   in Loop: Header=BB4_12085 Depth=3
	v_and_b32_e32 v2, 0x7fffffff, v14
	v_cmp_gt_u64_e32 vcc, s[72:73], v[2:3]
	v_and_b32_sdwa v4, v14, s70 dst_sel:DWORD dst_unused:UNUSED_PAD src0_sel:BYTE_3 src1_sel:DWORD
                                        ; implicit-def: $vgpr26
	s_and_saveexec_b64 s[28:29], vcc
	s_xor_b64 s[36:37], exec, s[28:29]
	s_cbranch_execz .LBB4_12397
; %bb.12384:                            ;   in Loop: Header=BB4_12085 Depth=3
	v_cmp_ne_u32_e32 vcc, 0, v14
	v_mov_b32_e32 v26, 0
	s_and_saveexec_b64 s[38:39], vcc
	s_cbranch_execz .LBB4_12396
; %bb.12385:                            ;   in Loop: Header=BB4_12085 Depth=3
	v_bfe_u32 v17, v14, 23, 8
	v_and_b32_e32 v2, 0x7fffff, v14
	v_cmp_gt_u32_e64 s[28:29], s71, v17
	v_sub_u32_e32 v14, 0x79, v17
	v_cmp_eq_u32_e32 vcc, 0, v17
	v_cndmask_b32_e64 v14, 0, v14, s[28:29]
	v_mov_b32_e32 v21, 0x78
	v_cndmask_b32_e32 v21, v14, v21, vcc
	v_or_b32_e32 v15, 0x800000, v2
	v_add_u32_e32 v14, 20, v21
	v_cndmask_b32_e32 v2, v15, v2, vcc
	v_lshlrev_b64 v[14:15], v14, -1
	v_add_u32_e32 v22, 19, v21
	v_lshlrev_b64 v[24:25], v22, 1
	v_bfi_b32 v15, v15, 0, 0
	v_bfi_b32 v14, v14, 0, v2
	v_cmp_eq_u64_e64 s[28:29], v[14:15], v[24:25]
	v_lshrrev_b64 v[14:15], v21, v[2:3]
	v_mov_b32_e32 v54, v15
	v_mov_b32_e32 v53, v14
	s_and_saveexec_b64 s[48:49], s[28:29]
; %bb.12386:                            ;   in Loop: Header=BB4_12085 Depth=3
	v_bfe_u32 v2, v14, 20, 1
	v_add_co_u32_e64 v2, s[28:29], v14, v2
	v_add_co_u32_e64 v53, s[28:29], -1, v2
; %bb.12387:                            ;   in Loop: Header=BB4_12085 Depth=3
	s_or_b64 exec, exec, s[48:49]
	v_add_u32_e32 v2, 0xffffff81, v17
	v_mov_b32_e32 v15, 0xffffff82
	v_cndmask_b32_e32 v2, v2, v15, vcc
	v_lshrrev_b32_e32 v15, 23, v14
	v_add3_u32 v24, v21, v2, v15
	v_add_u32_e32 v21, 6, v24
	v_and_b32_e32 v2, 0xfffff, v53
	v_add_u32_e32 v2, v2, v14
	v_cmp_ne_u32_e32 vcc, 0, v21
                                        ; implicit-def: $vgpr14_vgpr15
                                        ; implicit-def: $vgpr17
	s_and_saveexec_b64 s[28:29], vcc
	s_xor_b64 s[28:29], exec, s[28:29]
; %bb.12388:                            ;   in Loop: Header=BB4_12085 Depth=3
	v_cmp_lt_u64_e32 vcc, s[74:75], v[2:3]
	v_add_u32_e32 v14, 7, v24
	v_cndmask_b32_e32 v17, v21, v14, vcc
	v_cndmask_b32_e64 v14, 0, 1, vcc
	v_lshrrev_b64 v[14:15], v14, v[2:3]
; %bb.12389:                            ;   in Loop: Header=BB4_12085 Depth=3
	s_andn2_saveexec_b64 s[28:29], s[28:29]
; %bb.12390:                            ;   in Loop: Header=BB4_12085 Depth=3
	v_mov_b32_e32 v15, v3
	v_mov_b32_e32 v14, v2
	v_bfe_u32 v17, v2, 23, 1
; %bb.12391:                            ;   in Loop: Header=BB4_12085 Depth=3
	s_or_b64 exec, exec, s[28:29]
	v_lshrrev_b64 v[14:15], 20, v[14:15]
	v_cmp_gt_i32_e32 vcc, 16, v17
	v_cndmask_b32_e32 v15, 0, v15, vcc
	v_cndmask_b32_e32 v14, 7, v14, vcc
	v_cmp_ne_u64_e32 vcc, 0, v[14:15]
	v_cmp_ne_u32_e64 s[28:29], 0, v17
	s_or_b64 s[28:29], s[28:29], vcc
                                        ; implicit-def: $vgpr26
	s_and_saveexec_b64 vcc, s[28:29]
	s_xor_b64 s[28:29], exec, vcc
; %bb.12392:                            ;   in Loop: Header=BB4_12085 Depth=3
	v_min_i32_e32 v2, 15, v17
	v_lshl_or_b32 v2, v2, 3, v4
	v_and_or_b32 v26, v14, 7, v2
                                        ; implicit-def: $vgpr4
; %bb.12393:                            ;   in Loop: Header=BB4_12085 Depth=3
	s_andn2_saveexec_b64 s[28:29], s[28:29]
; %bb.12394:                            ;   in Loop: Header=BB4_12085 Depth=3
	v_mov_b32_e32 v26, v4
; %bb.12395:                            ;   in Loop: Header=BB4_12085 Depth=3
	s_or_b64 exec, exec, s[28:29]
.LBB4_12396:                            ;   in Loop: Header=BB4_12085 Depth=3
	s_or_b64 exec, exec, s[38:39]
                                        ; implicit-def: $vgpr4
.LBB4_12397:                            ;   in Loop: Header=BB4_12085 Depth=3
	s_andn2_saveexec_b64 s[28:29], s[36:37]
; %bb.12398:                            ;   in Loop: Header=BB4_12085 Depth=3
	v_or_b32_e32 v26, 0x7e, v4
; %bb.12399:                            ;   in Loop: Header=BB4_12085 Depth=3
	s_or_b64 exec, exec, s[28:29]
                                        ; implicit-def: $vgpr14
.LBB4_12400:                            ;   in Loop: Header=BB4_12085 Depth=3
	s_andn2_saveexec_b64 s[28:29], s[34:35]
; %bb.12401:                            ;   in Loop: Header=BB4_12085 Depth=3
	v_or_b32_sdwa v26, v14, s68 dst_sel:DWORD dst_unused:UNUSED_PAD src0_sel:BYTE_3 src1_sel:DWORD
; %bb.12402:                            ;   in Loop: Header=BB4_12085 Depth=3
	s_or_b64 exec, exec, s[28:29]
	flat_load_ubyte v4, v[8:9] offset:768 glc slc
	v_mov_b32_e32 v14, 0
	s_waitcnt vmcnt(0) lgkmcnt(0)
	v_cmp_ne_u16_e32 vcc, 0, v4
	s_and_saveexec_b64 s[28:29], vcc
	s_cbranch_execz .LBB4_12408
; %bb.12403:                            ;   in Loop: Header=BB4_12085 Depth=3
	v_cmp_ne_u16_e32 vcc, s70, v4
	v_bfrev_b32_e32 v14, 1
	s_and_saveexec_b64 s[34:35], vcc
	s_cbranch_execz .LBB4_12407
; %bb.12404:                            ;   in Loop: Header=BB4_12085 Depth=3
	v_and_b32_e32 v2, 0xffff, v4
	v_and_b32_e32 v15, 0x7f, v2
	v_cmp_ne_u32_e32 vcc, s68, v15
	v_mov_b32_e32 v14, 0x7f800001
	s_and_saveexec_b64 s[36:37], vcc
	s_cbranch_execz .LBB4_12406
; %bb.12405:                            ;   in Loop: Header=BB4_12085 Depth=3
	v_and_b32_e32 v17, 7, v2
	v_ffbh_u32_e32 v14, v17
	v_min_u32_e32 v22, 32, v14
	v_subrev_u32_e32 v14, 28, v22
	v_lshrrev_b32_e32 v21, 3, v15
	v_cmp_gt_u32_e32 vcc, 8, v15
	v_lshlrev_b64 v[14:15], v14, v[2:3]
	v_sub_u32_e32 v2, 29, v22
	v_and_b32_e32 v14, 7, v14
	v_cndmask_b32_e32 v2, v21, v2, vcc
	v_cndmask_b32_e32 v14, v17, v14, vcc
	v_lshlrev_b32_e32 v4, 24, v4
	v_lshlrev_b32_e32 v14, 20, v14
	v_and_b32_e32 v4, 0x80000000, v4
	v_lshl_add_u32 v2, v2, 23, v5
	v_or3_b32 v14, v4, v2, v14
.LBB4_12406:                            ;   in Loop: Header=BB4_12085 Depth=3
	s_or_b64 exec, exec, s[36:37]
.LBB4_12407:                            ;   in Loop: Header=BB4_12085 Depth=3
	s_or_b64 exec, exec, s[34:35]
.LBB4_12408:                            ;   in Loop: Header=BB4_12085 Depth=3
	s_or_b64 exec, exec, s[28:29]
	v_mul_f32_e32 v14, s44, v14
	v_and_b32_e32 v2, 0x7f800000, v14
	v_cmp_ne_u64_e32 vcc, s[62:63], v[2:3]
                                        ; implicit-def: $vgpr25
	s_and_saveexec_b64 s[28:29], vcc
	s_xor_b64 s[34:35], exec, s[28:29]
	s_cbranch_execz .LBB4_12426
; %bb.12409:                            ;   in Loop: Header=BB4_12085 Depth=3
	v_and_b32_e32 v2, 0x7fffffff, v14
	v_cmp_gt_u64_e32 vcc, s[72:73], v[2:3]
	v_and_b32_sdwa v4, v14, s70 dst_sel:DWORD dst_unused:UNUSED_PAD src0_sel:BYTE_3 src1_sel:DWORD
                                        ; implicit-def: $vgpr25
	s_and_saveexec_b64 s[28:29], vcc
	s_xor_b64 s[36:37], exec, s[28:29]
	s_cbranch_execz .LBB4_12423
; %bb.12410:                            ;   in Loop: Header=BB4_12085 Depth=3
	v_cmp_ne_u32_e32 vcc, 0, v14
	v_mov_b32_e32 v25, 0
	s_and_saveexec_b64 s[38:39], vcc
	s_cbranch_execz .LBB4_12422
; %bb.12411:                            ;   in Loop: Header=BB4_12085 Depth=3
	v_bfe_u32 v17, v14, 23, 8
	v_and_b32_e32 v2, 0x7fffff, v14
	v_cmp_gt_u32_e64 s[28:29], s71, v17
	v_sub_u32_e32 v14, 0x79, v17
	v_cmp_eq_u32_e32 vcc, 0, v17
	v_cndmask_b32_e64 v14, 0, v14, s[28:29]
	v_mov_b32_e32 v21, 0x78
	v_cndmask_b32_e32 v21, v14, v21, vcc
	v_or_b32_e32 v15, 0x800000, v2
	v_add_u32_e32 v14, 20, v21
	v_cndmask_b32_e32 v2, v15, v2, vcc
	v_lshlrev_b64 v[14:15], v14, -1
	v_add_u32_e32 v22, 19, v21
	v_lshlrev_b64 v[24:25], v22, 1
	v_bfi_b32 v15, v15, 0, 0
	v_bfi_b32 v14, v14, 0, v2
	v_cmp_eq_u64_e64 s[28:29], v[14:15], v[24:25]
	v_lshrrev_b64 v[14:15], v21, v[2:3]
	v_mov_b32_e32 v54, v15
	v_mov_b32_e32 v53, v14
	s_and_saveexec_b64 s[48:49], s[28:29]
; %bb.12412:                            ;   in Loop: Header=BB4_12085 Depth=3
	v_bfe_u32 v2, v14, 20, 1
	v_add_co_u32_e64 v2, s[28:29], v14, v2
	v_add_co_u32_e64 v53, s[28:29], -1, v2
; %bb.12413:                            ;   in Loop: Header=BB4_12085 Depth=3
	s_or_b64 exec, exec, s[48:49]
	v_add_u32_e32 v2, 0xffffff81, v17
	v_mov_b32_e32 v15, 0xffffff82
	v_cndmask_b32_e32 v2, v2, v15, vcc
	v_lshrrev_b32_e32 v15, 23, v14
	v_add3_u32 v24, v21, v2, v15
	v_add_u32_e32 v21, 6, v24
	v_and_b32_e32 v2, 0xfffff, v53
	v_add_u32_e32 v2, v2, v14
	v_cmp_ne_u32_e32 vcc, 0, v21
                                        ; implicit-def: $vgpr14_vgpr15
                                        ; implicit-def: $vgpr17
	s_and_saveexec_b64 s[28:29], vcc
	s_xor_b64 s[28:29], exec, s[28:29]
; %bb.12414:                            ;   in Loop: Header=BB4_12085 Depth=3
	v_cmp_lt_u64_e32 vcc, s[74:75], v[2:3]
	v_add_u32_e32 v14, 7, v24
	v_cndmask_b32_e32 v17, v21, v14, vcc
	v_cndmask_b32_e64 v14, 0, 1, vcc
	v_lshrrev_b64 v[14:15], v14, v[2:3]
; %bb.12415:                            ;   in Loop: Header=BB4_12085 Depth=3
	s_andn2_saveexec_b64 s[28:29], s[28:29]
; %bb.12416:                            ;   in Loop: Header=BB4_12085 Depth=3
	v_mov_b32_e32 v15, v3
	v_mov_b32_e32 v14, v2
	v_bfe_u32 v17, v2, 23, 1
; %bb.12417:                            ;   in Loop: Header=BB4_12085 Depth=3
	s_or_b64 exec, exec, s[28:29]
	v_lshrrev_b64 v[14:15], 20, v[14:15]
	v_cmp_gt_i32_e32 vcc, 16, v17
	v_cndmask_b32_e32 v15, 0, v15, vcc
	v_cndmask_b32_e32 v14, 7, v14, vcc
	v_cmp_ne_u64_e32 vcc, 0, v[14:15]
	v_cmp_ne_u32_e64 s[28:29], 0, v17
	s_or_b64 s[28:29], s[28:29], vcc
                                        ; implicit-def: $vgpr25
	s_and_saveexec_b64 vcc, s[28:29]
	s_xor_b64 s[28:29], exec, vcc
; %bb.12418:                            ;   in Loop: Header=BB4_12085 Depth=3
	v_min_i32_e32 v2, 15, v17
	v_lshl_or_b32 v2, v2, 3, v4
	v_and_or_b32 v25, v14, 7, v2
                                        ; implicit-def: $vgpr4
; %bb.12419:                            ;   in Loop: Header=BB4_12085 Depth=3
	s_andn2_saveexec_b64 s[28:29], s[28:29]
; %bb.12420:                            ;   in Loop: Header=BB4_12085 Depth=3
	v_mov_b32_e32 v25, v4
; %bb.12421:                            ;   in Loop: Header=BB4_12085 Depth=3
	s_or_b64 exec, exec, s[28:29]
.LBB4_12422:                            ;   in Loop: Header=BB4_12085 Depth=3
	s_or_b64 exec, exec, s[38:39]
                                        ; implicit-def: $vgpr4
.LBB4_12423:                            ;   in Loop: Header=BB4_12085 Depth=3
	s_andn2_saveexec_b64 s[28:29], s[36:37]
; %bb.12424:                            ;   in Loop: Header=BB4_12085 Depth=3
	v_or_b32_e32 v25, 0x7e, v4
; %bb.12425:                            ;   in Loop: Header=BB4_12085 Depth=3
	s_or_b64 exec, exec, s[28:29]
                                        ; implicit-def: $vgpr14
.LBB4_12426:                            ;   in Loop: Header=BB4_12085 Depth=3
	s_andn2_saveexec_b64 s[28:29], s[34:35]
; %bb.12427:                            ;   in Loop: Header=BB4_12085 Depth=3
	v_or_b32_sdwa v25, v14, s68 dst_sel:DWORD dst_unused:UNUSED_PAD src0_sel:BYTE_3 src1_sel:DWORD
; %bb.12428:                            ;   in Loop: Header=BB4_12085 Depth=3
	s_or_b64 exec, exec, s[28:29]
	flat_load_ubyte v4, v[8:9] offset:832 glc slc
	v_mov_b32_e32 v14, 0
	s_waitcnt vmcnt(0) lgkmcnt(0)
	v_cmp_ne_u16_e32 vcc, 0, v4
	s_and_saveexec_b64 s[28:29], vcc
	s_cbranch_execz .LBB4_12434
; %bb.12429:                            ;   in Loop: Header=BB4_12085 Depth=3
	v_cmp_ne_u16_e32 vcc, s70, v4
	v_bfrev_b32_e32 v14, 1
	s_and_saveexec_b64 s[34:35], vcc
	s_cbranch_execz .LBB4_12433
; %bb.12430:                            ;   in Loop: Header=BB4_12085 Depth=3
	v_and_b32_e32 v2, 0xffff, v4
	v_and_b32_e32 v15, 0x7f, v2
	v_cmp_ne_u32_e32 vcc, s68, v15
	v_mov_b32_e32 v14, 0x7f800001
	s_and_saveexec_b64 s[36:37], vcc
	s_cbranch_execz .LBB4_12432
; %bb.12431:                            ;   in Loop: Header=BB4_12085 Depth=3
	v_and_b32_e32 v17, 7, v2
	v_ffbh_u32_e32 v14, v17
	v_min_u32_e32 v22, 32, v14
	v_subrev_u32_e32 v14, 28, v22
	v_lshrrev_b32_e32 v21, 3, v15
	v_cmp_gt_u32_e32 vcc, 8, v15
	v_lshlrev_b64 v[14:15], v14, v[2:3]
	v_sub_u32_e32 v2, 29, v22
	v_and_b32_e32 v14, 7, v14
	v_cndmask_b32_e32 v2, v21, v2, vcc
	v_cndmask_b32_e32 v14, v17, v14, vcc
	v_lshlrev_b32_e32 v4, 24, v4
	v_lshlrev_b32_e32 v14, 20, v14
	v_and_b32_e32 v4, 0x80000000, v4
	v_lshl_add_u32 v2, v2, 23, v5
	v_or3_b32 v14, v4, v2, v14
.LBB4_12432:                            ;   in Loop: Header=BB4_12085 Depth=3
	s_or_b64 exec, exec, s[36:37]
.LBB4_12433:                            ;   in Loop: Header=BB4_12085 Depth=3
	s_or_b64 exec, exec, s[34:35]
.LBB4_12434:                            ;   in Loop: Header=BB4_12085 Depth=3
	s_or_b64 exec, exec, s[28:29]
	v_mul_f32_e32 v14, s44, v14
	v_and_b32_e32 v2, 0x7f800000, v14
	v_cmp_ne_u64_e32 vcc, s[62:63], v[2:3]
                                        ; implicit-def: $vgpr24
	s_and_saveexec_b64 s[28:29], vcc
	s_xor_b64 s[34:35], exec, s[28:29]
	s_cbranch_execz .LBB4_12452
; %bb.12435:                            ;   in Loop: Header=BB4_12085 Depth=3
	v_and_b32_e32 v2, 0x7fffffff, v14
	v_cmp_gt_u64_e32 vcc, s[72:73], v[2:3]
	v_and_b32_sdwa v4, v14, s70 dst_sel:DWORD dst_unused:UNUSED_PAD src0_sel:BYTE_3 src1_sel:DWORD
                                        ; implicit-def: $vgpr24
	s_and_saveexec_b64 s[28:29], vcc
	s_xor_b64 s[36:37], exec, s[28:29]
	s_cbranch_execz .LBB4_12449
; %bb.12436:                            ;   in Loop: Header=BB4_12085 Depth=3
	v_cmp_ne_u32_e32 vcc, 0, v14
	v_mov_b32_e32 v24, 0
	s_and_saveexec_b64 s[38:39], vcc
	s_cbranch_execz .LBB4_12448
; %bb.12437:                            ;   in Loop: Header=BB4_12085 Depth=3
	v_bfe_u32 v17, v14, 23, 8
	v_and_b32_e32 v2, 0x7fffff, v14
	v_cmp_gt_u32_e64 s[28:29], s71, v17
	v_sub_u32_e32 v14, 0x79, v17
	v_cmp_eq_u32_e32 vcc, 0, v17
	v_cndmask_b32_e64 v14, 0, v14, s[28:29]
	v_mov_b32_e32 v21, 0x78
	v_cndmask_b32_e32 v21, v14, v21, vcc
	v_or_b32_e32 v15, 0x800000, v2
	v_add_u32_e32 v14, 20, v21
	v_cndmask_b32_e32 v2, v15, v2, vcc
	v_lshlrev_b64 v[14:15], v14, -1
	v_add_u32_e32 v22, 19, v21
	v_lshlrev_b64 v[49:50], v22, 1
	v_bfi_b32 v15, v15, 0, 0
	v_bfi_b32 v14, v14, 0, v2
	v_cmp_eq_u64_e64 s[28:29], v[14:15], v[49:50]
	v_lshrrev_b64 v[14:15], v21, v[2:3]
	v_mov_b32_e32 v54, v15
	v_mov_b32_e32 v53, v14
	s_and_saveexec_b64 s[48:49], s[28:29]
; %bb.12438:                            ;   in Loop: Header=BB4_12085 Depth=3
	v_bfe_u32 v2, v14, 20, 1
	v_add_co_u32_e64 v2, s[28:29], v14, v2
	v_add_co_u32_e64 v53, s[28:29], -1, v2
; %bb.12439:                            ;   in Loop: Header=BB4_12085 Depth=3
	s_or_b64 exec, exec, s[48:49]
	v_add_u32_e32 v2, 0xffffff81, v17
	v_mov_b32_e32 v15, 0xffffff82
	v_cndmask_b32_e32 v2, v2, v15, vcc
	v_lshrrev_b32_e32 v15, 23, v14
	v_add3_u32 v24, v21, v2, v15
	v_add_u32_e32 v21, 6, v24
	v_and_b32_e32 v2, 0xfffff, v53
	v_add_u32_e32 v2, v2, v14
	v_cmp_ne_u32_e32 vcc, 0, v21
                                        ; implicit-def: $vgpr14_vgpr15
                                        ; implicit-def: $vgpr17
	s_and_saveexec_b64 s[28:29], vcc
	s_xor_b64 s[28:29], exec, s[28:29]
; %bb.12440:                            ;   in Loop: Header=BB4_12085 Depth=3
	v_cmp_lt_u64_e32 vcc, s[74:75], v[2:3]
	v_add_u32_e32 v14, 7, v24
	v_cndmask_b32_e32 v17, v21, v14, vcc
	v_cndmask_b32_e64 v14, 0, 1, vcc
	v_lshrrev_b64 v[14:15], v14, v[2:3]
; %bb.12441:                            ;   in Loop: Header=BB4_12085 Depth=3
	s_andn2_saveexec_b64 s[28:29], s[28:29]
; %bb.12442:                            ;   in Loop: Header=BB4_12085 Depth=3
	v_mov_b32_e32 v15, v3
	v_mov_b32_e32 v14, v2
	v_bfe_u32 v17, v2, 23, 1
; %bb.12443:                            ;   in Loop: Header=BB4_12085 Depth=3
	s_or_b64 exec, exec, s[28:29]
	v_lshrrev_b64 v[14:15], 20, v[14:15]
	v_cmp_gt_i32_e32 vcc, 16, v17
	v_cndmask_b32_e32 v15, 0, v15, vcc
	v_cndmask_b32_e32 v14, 7, v14, vcc
	v_cmp_ne_u64_e32 vcc, 0, v[14:15]
	v_cmp_ne_u32_e64 s[28:29], 0, v17
	s_or_b64 s[28:29], s[28:29], vcc
                                        ; implicit-def: $vgpr24
	s_and_saveexec_b64 vcc, s[28:29]
	s_xor_b64 s[28:29], exec, vcc
; %bb.12444:                            ;   in Loop: Header=BB4_12085 Depth=3
	v_min_i32_e32 v2, 15, v17
	v_lshl_or_b32 v2, v2, 3, v4
	v_and_or_b32 v24, v14, 7, v2
                                        ; implicit-def: $vgpr4
; %bb.12445:                            ;   in Loop: Header=BB4_12085 Depth=3
	s_andn2_saveexec_b64 s[28:29], s[28:29]
; %bb.12446:                            ;   in Loop: Header=BB4_12085 Depth=3
	v_mov_b32_e32 v24, v4
; %bb.12447:                            ;   in Loop: Header=BB4_12085 Depth=3
	s_or_b64 exec, exec, s[28:29]
.LBB4_12448:                            ;   in Loop: Header=BB4_12085 Depth=3
	s_or_b64 exec, exec, s[38:39]
                                        ; implicit-def: $vgpr4
.LBB4_12449:                            ;   in Loop: Header=BB4_12085 Depth=3
	s_andn2_saveexec_b64 s[28:29], s[36:37]
; %bb.12450:                            ;   in Loop: Header=BB4_12085 Depth=3
	v_or_b32_e32 v24, 0x7e, v4
; %bb.12451:                            ;   in Loop: Header=BB4_12085 Depth=3
	s_or_b64 exec, exec, s[28:29]
                                        ; implicit-def: $vgpr14
.LBB4_12452:                            ;   in Loop: Header=BB4_12085 Depth=3
	s_andn2_saveexec_b64 s[28:29], s[34:35]
; %bb.12453:                            ;   in Loop: Header=BB4_12085 Depth=3
	v_or_b32_sdwa v24, v14, s68 dst_sel:DWORD dst_unused:UNUSED_PAD src0_sel:BYTE_3 src1_sel:DWORD
; %bb.12454:                            ;   in Loop: Header=BB4_12085 Depth=3
	s_or_b64 exec, exec, s[28:29]
	flat_load_ubyte v4, v[8:9] offset:896 glc slc
	v_mov_b32_e32 v14, 0
	s_waitcnt vmcnt(0) lgkmcnt(0)
	v_cmp_ne_u16_e32 vcc, 0, v4
	s_and_saveexec_b64 s[28:29], vcc
	s_cbranch_execz .LBB4_12460
; %bb.12455:                            ;   in Loop: Header=BB4_12085 Depth=3
	v_cmp_ne_u16_e32 vcc, s70, v4
	v_bfrev_b32_e32 v14, 1
	s_and_saveexec_b64 s[34:35], vcc
	s_cbranch_execz .LBB4_12459
; %bb.12456:                            ;   in Loop: Header=BB4_12085 Depth=3
	v_and_b32_e32 v2, 0xffff, v4
	v_and_b32_e32 v15, 0x7f, v2
	v_cmp_ne_u32_e32 vcc, s68, v15
	v_mov_b32_e32 v14, 0x7f800001
	s_and_saveexec_b64 s[36:37], vcc
	s_cbranch_execz .LBB4_12458
; %bb.12457:                            ;   in Loop: Header=BB4_12085 Depth=3
	v_and_b32_e32 v17, 7, v2
	v_ffbh_u32_e32 v14, v17
	v_min_u32_e32 v22, 32, v14
	v_subrev_u32_e32 v14, 28, v22
	v_lshrrev_b32_e32 v21, 3, v15
	v_cmp_gt_u32_e32 vcc, 8, v15
	v_lshlrev_b64 v[14:15], v14, v[2:3]
	v_sub_u32_e32 v2, 29, v22
	v_and_b32_e32 v14, 7, v14
	v_cndmask_b32_e32 v2, v21, v2, vcc
	v_cndmask_b32_e32 v14, v17, v14, vcc
	v_lshlrev_b32_e32 v4, 24, v4
	v_lshlrev_b32_e32 v14, 20, v14
	v_and_b32_e32 v4, 0x80000000, v4
	v_lshl_add_u32 v2, v2, 23, v5
	v_or3_b32 v14, v4, v2, v14
.LBB4_12458:                            ;   in Loop: Header=BB4_12085 Depth=3
	s_or_b64 exec, exec, s[36:37]
.LBB4_12459:                            ;   in Loop: Header=BB4_12085 Depth=3
	s_or_b64 exec, exec, s[34:35]
.LBB4_12460:                            ;   in Loop: Header=BB4_12085 Depth=3
	s_or_b64 exec, exec, s[28:29]
	v_mul_f32_e32 v14, s44, v14
	v_and_b32_e32 v2, 0x7f800000, v14
	v_cmp_ne_u64_e32 vcc, s[62:63], v[2:3]
                                        ; implicit-def: $vgpr21
	s_and_saveexec_b64 s[28:29], vcc
	s_xor_b64 s[34:35], exec, s[28:29]
	s_cbranch_execz .LBB4_12478
; %bb.12461:                            ;   in Loop: Header=BB4_12085 Depth=3
	v_and_b32_e32 v2, 0x7fffffff, v14
	v_cmp_gt_u64_e32 vcc, s[72:73], v[2:3]
	v_and_b32_sdwa v4, v14, s70 dst_sel:DWORD dst_unused:UNUSED_PAD src0_sel:BYTE_3 src1_sel:DWORD
                                        ; implicit-def: $vgpr21
	s_and_saveexec_b64 s[28:29], vcc
	s_xor_b64 s[36:37], exec, s[28:29]
	s_cbranch_execz .LBB4_12475
; %bb.12462:                            ;   in Loop: Header=BB4_12085 Depth=3
	v_cmp_ne_u32_e32 vcc, 0, v14
	v_mov_b32_e32 v21, 0
	s_and_saveexec_b64 s[38:39], vcc
	s_cbranch_execz .LBB4_12474
; %bb.12463:                            ;   in Loop: Header=BB4_12085 Depth=3
	v_bfe_u32 v17, v14, 23, 8
	v_and_b32_e32 v2, 0x7fffff, v14
	v_cmp_gt_u32_e64 s[28:29], s71, v17
	v_sub_u32_e32 v14, 0x79, v17
	v_cmp_eq_u32_e32 vcc, 0, v17
	v_cndmask_b32_e64 v14, 0, v14, s[28:29]
	v_mov_b32_e32 v21, 0x78
	v_cndmask_b32_e32 v21, v14, v21, vcc
	v_or_b32_e32 v15, 0x800000, v2
	v_add_u32_e32 v14, 20, v21
	v_cndmask_b32_e32 v2, v15, v2, vcc
	v_lshlrev_b64 v[14:15], v14, -1
	v_add_u32_e32 v22, 19, v21
	v_lshlrev_b64 v[49:50], v22, 1
	v_bfi_b32 v15, v15, 0, 0
	v_bfi_b32 v14, v14, 0, v2
	v_cmp_eq_u64_e64 s[28:29], v[14:15], v[49:50]
	v_lshrrev_b64 v[14:15], v21, v[2:3]
	v_mov_b32_e32 v54, v15
	v_mov_b32_e32 v53, v14
	s_and_saveexec_b64 s[48:49], s[28:29]
; %bb.12464:                            ;   in Loop: Header=BB4_12085 Depth=3
	v_bfe_u32 v2, v14, 20, 1
	v_add_co_u32_e64 v2, s[28:29], v14, v2
	v_add_co_u32_e64 v53, s[28:29], -1, v2
; %bb.12465:                            ;   in Loop: Header=BB4_12085 Depth=3
	s_or_b64 exec, exec, s[48:49]
	v_add_u32_e32 v2, 0xffffff81, v17
	v_mov_b32_e32 v15, 0xffffff82
	v_cndmask_b32_e32 v2, v2, v15, vcc
	v_lshrrev_b32_e32 v15, 23, v14
	v_add3_u32 v29, v21, v2, v15
	v_add_u32_e32 v21, 6, v29
	v_and_b32_e32 v2, 0xfffff, v53
	v_add_u32_e32 v2, v2, v14
	v_cmp_ne_u32_e32 vcc, 0, v21
                                        ; implicit-def: $vgpr14_vgpr15
                                        ; implicit-def: $vgpr17
	s_and_saveexec_b64 s[28:29], vcc
	s_xor_b64 s[28:29], exec, s[28:29]
; %bb.12466:                            ;   in Loop: Header=BB4_12085 Depth=3
	v_cmp_lt_u64_e32 vcc, s[74:75], v[2:3]
	v_add_u32_e32 v14, 7, v29
	v_cndmask_b32_e32 v17, v21, v14, vcc
	v_cndmask_b32_e64 v14, 0, 1, vcc
	v_lshrrev_b64 v[14:15], v14, v[2:3]
; %bb.12467:                            ;   in Loop: Header=BB4_12085 Depth=3
	s_andn2_saveexec_b64 s[28:29], s[28:29]
; %bb.12468:                            ;   in Loop: Header=BB4_12085 Depth=3
	v_mov_b32_e32 v15, v3
	v_mov_b32_e32 v14, v2
	v_bfe_u32 v17, v2, 23, 1
; %bb.12469:                            ;   in Loop: Header=BB4_12085 Depth=3
	s_or_b64 exec, exec, s[28:29]
	v_lshrrev_b64 v[14:15], 20, v[14:15]
	v_cmp_gt_i32_e32 vcc, 16, v17
	v_cndmask_b32_e32 v15, 0, v15, vcc
	v_cndmask_b32_e32 v14, 7, v14, vcc
	v_cmp_ne_u64_e32 vcc, 0, v[14:15]
	v_cmp_ne_u32_e64 s[28:29], 0, v17
	s_or_b64 s[28:29], s[28:29], vcc
                                        ; implicit-def: $vgpr21
	s_and_saveexec_b64 vcc, s[28:29]
	s_xor_b64 s[28:29], exec, vcc
; %bb.12470:                            ;   in Loop: Header=BB4_12085 Depth=3
	v_min_i32_e32 v2, 15, v17
	v_lshl_or_b32 v2, v2, 3, v4
	v_and_or_b32 v21, v14, 7, v2
                                        ; implicit-def: $vgpr4
; %bb.12471:                            ;   in Loop: Header=BB4_12085 Depth=3
	s_andn2_saveexec_b64 s[28:29], s[28:29]
; %bb.12472:                            ;   in Loop: Header=BB4_12085 Depth=3
	v_mov_b32_e32 v21, v4
; %bb.12473:                            ;   in Loop: Header=BB4_12085 Depth=3
	s_or_b64 exec, exec, s[28:29]
.LBB4_12474:                            ;   in Loop: Header=BB4_12085 Depth=3
	s_or_b64 exec, exec, s[38:39]
                                        ; implicit-def: $vgpr4
.LBB4_12475:                            ;   in Loop: Header=BB4_12085 Depth=3
	s_andn2_saveexec_b64 s[28:29], s[36:37]
; %bb.12476:                            ;   in Loop: Header=BB4_12085 Depth=3
	v_or_b32_e32 v21, 0x7e, v4
; %bb.12477:                            ;   in Loop: Header=BB4_12085 Depth=3
	s_or_b64 exec, exec, s[28:29]
                                        ; implicit-def: $vgpr14
.LBB4_12478:                            ;   in Loop: Header=BB4_12085 Depth=3
	s_andn2_saveexec_b64 s[28:29], s[34:35]
; %bb.12479:                            ;   in Loop: Header=BB4_12085 Depth=3
	v_or_b32_sdwa v21, v14, s68 dst_sel:DWORD dst_unused:UNUSED_PAD src0_sel:BYTE_3 src1_sel:DWORD
; %bb.12480:                            ;   in Loop: Header=BB4_12085 Depth=3
	s_or_b64 exec, exec, s[28:29]
	flat_load_ubyte v4, v[8:9] offset:960 glc slc
	v_mov_b32_e32 v14, 0
	s_waitcnt vmcnt(0) lgkmcnt(0)
	v_cmp_ne_u16_e32 vcc, 0, v4
	s_and_saveexec_b64 s[28:29], vcc
	s_cbranch_execz .LBB4_12486
; %bb.12481:                            ;   in Loop: Header=BB4_12085 Depth=3
	v_cmp_ne_u16_e32 vcc, s70, v4
	v_bfrev_b32_e32 v14, 1
	s_and_saveexec_b64 s[34:35], vcc
	s_cbranch_execz .LBB4_12485
; %bb.12482:                            ;   in Loop: Header=BB4_12085 Depth=3
	v_and_b32_e32 v2, 0xffff, v4
	v_and_b32_e32 v15, 0x7f, v2
	v_cmp_ne_u32_e32 vcc, s68, v15
	v_mov_b32_e32 v14, 0x7f800001
	s_and_saveexec_b64 s[36:37], vcc
	s_cbranch_execz .LBB4_12484
; %bb.12483:                            ;   in Loop: Header=BB4_12085 Depth=3
	v_and_b32_e32 v17, 7, v2
	v_ffbh_u32_e32 v14, v17
	v_min_u32_e32 v23, 32, v14
	v_subrev_u32_e32 v14, 28, v23
	v_lshrrev_b32_e32 v22, 3, v15
	v_cmp_gt_u32_e32 vcc, 8, v15
	v_lshlrev_b64 v[14:15], v14, v[2:3]
	v_sub_u32_e32 v2, 29, v23
	v_and_b32_e32 v14, 7, v14
	v_cndmask_b32_e32 v2, v22, v2, vcc
	v_cndmask_b32_e32 v14, v17, v14, vcc
	v_lshlrev_b32_e32 v4, 24, v4
	v_lshlrev_b32_e32 v14, 20, v14
	v_and_b32_e32 v4, 0x80000000, v4
	v_lshl_add_u32 v2, v2, 23, v5
	v_or3_b32 v14, v4, v2, v14
.LBB4_12484:                            ;   in Loop: Header=BB4_12085 Depth=3
	s_or_b64 exec, exec, s[36:37]
.LBB4_12485:                            ;   in Loop: Header=BB4_12085 Depth=3
	s_or_b64 exec, exec, s[34:35]
.LBB4_12486:                            ;   in Loop: Header=BB4_12085 Depth=3
	s_or_b64 exec, exec, s[28:29]
	v_mul_f32_e32 v14, s44, v14
	v_and_b32_e32 v2, 0x7f800000, v14
	v_cmp_ne_u64_e32 vcc, s[62:63], v[2:3]
                                        ; implicit-def: $vgpr4
	s_and_saveexec_b64 s[28:29], vcc
	s_xor_b64 s[34:35], exec, s[28:29]
	s_cbranch_execz .LBB4_12504
; %bb.12487:                            ;   in Loop: Header=BB4_12085 Depth=3
	v_and_b32_e32 v2, 0x7fffffff, v14
	v_cmp_gt_u64_e32 vcc, s[72:73], v[2:3]
	v_and_b32_sdwa v17, v14, s70 dst_sel:DWORD dst_unused:UNUSED_PAD src0_sel:BYTE_3 src1_sel:DWORD
                                        ; implicit-def: $vgpr4
	s_and_saveexec_b64 s[28:29], vcc
	s_xor_b64 s[36:37], exec, s[28:29]
	s_cbranch_execz .LBB4_12501
; %bb.12488:                            ;   in Loop: Header=BB4_12085 Depth=3
	v_cmp_ne_u32_e32 vcc, 0, v14
	v_mov_b32_e32 v4, 0
	s_and_saveexec_b64 s[38:39], vcc
	s_cbranch_execz .LBB4_12500
; %bb.12489:                            ;   in Loop: Header=BB4_12085 Depth=3
	v_bfe_u32 v4, v14, 23, 8
	v_and_b32_e32 v2, 0x7fffff, v14
	v_cmp_gt_u32_e64 s[28:29], s71, v4
	v_sub_u32_e32 v14, 0x79, v4
	v_cmp_eq_u32_e32 vcc, 0, v4
	v_cndmask_b32_e64 v14, 0, v14, s[28:29]
	v_mov_b32_e32 v22, 0x78
	v_cndmask_b32_e32 v29, v14, v22, vcc
	v_or_b32_e32 v15, 0x800000, v2
	v_add_u32_e32 v14, 20, v29
	v_cndmask_b32_e32 v2, v15, v2, vcc
	v_lshlrev_b64 v[14:15], v14, -1
	v_add_u32_e32 v22, 19, v29
	v_lshlrev_b64 v[49:50], v22, 1
	v_bfi_b32 v15, v15, 0, 0
	v_bfi_b32 v14, v14, 0, v2
	v_cmp_eq_u64_e64 s[28:29], v[14:15], v[49:50]
	v_lshrrev_b64 v[14:15], v29, v[2:3]
	v_mov_b32_e32 v54, v15
	v_mov_b32_e32 v53, v14
	s_and_saveexec_b64 s[48:49], s[28:29]
; %bb.12490:                            ;   in Loop: Header=BB4_12085 Depth=3
	v_bfe_u32 v2, v14, 20, 1
	v_add_co_u32_e64 v2, s[28:29], v14, v2
	v_add_co_u32_e64 v53, s[28:29], -1, v2
; %bb.12491:                            ;   in Loop: Header=BB4_12085 Depth=3
	s_or_b64 exec, exec, s[48:49]
	v_add_u32_e32 v2, 0xffffff81, v4
	v_mov_b32_e32 v4, 0xffffff82
	v_cndmask_b32_e32 v2, v2, v4, vcc
	v_lshrrev_b32_e32 v4, 23, v14
	v_add3_u32 v39, v29, v2, v4
	v_add_u32_e32 v4, 6, v39
	v_and_b32_e32 v2, 0xfffff, v53
	v_add_u32_e32 v2, v2, v14
	v_cmp_ne_u32_e32 vcc, 0, v4
                                        ; implicit-def: $vgpr14_vgpr15
                                        ; implicit-def: $vgpr29
	s_and_saveexec_b64 s[28:29], vcc
	s_xor_b64 s[28:29], exec, s[28:29]
; %bb.12492:                            ;   in Loop: Header=BB4_12085 Depth=3
	v_cmp_lt_u64_e32 vcc, s[74:75], v[2:3]
	v_add_u32_e32 v14, 7, v39
	v_cndmask_b32_e32 v29, v4, v14, vcc
	v_cndmask_b32_e64 v4, 0, 1, vcc
	v_lshrrev_b64 v[14:15], v4, v[2:3]
; %bb.12493:                            ;   in Loop: Header=BB4_12085 Depth=3
	s_andn2_saveexec_b64 s[28:29], s[28:29]
; %bb.12494:                            ;   in Loop: Header=BB4_12085 Depth=3
	v_mov_b32_e32 v15, v3
	v_mov_b32_e32 v14, v2
	v_bfe_u32 v29, v2, 23, 1
; %bb.12495:                            ;   in Loop: Header=BB4_12085 Depth=3
	s_or_b64 exec, exec, s[28:29]
	v_lshrrev_b64 v[14:15], 20, v[14:15]
	v_cmp_gt_i32_e32 vcc, 16, v29
	v_cndmask_b32_e32 v15, 0, v15, vcc
	v_cndmask_b32_e32 v14, 7, v14, vcc
	v_cmp_ne_u64_e32 vcc, 0, v[14:15]
	v_cmp_ne_u32_e64 s[28:29], 0, v29
	s_or_b64 s[28:29], s[28:29], vcc
                                        ; implicit-def: $vgpr4
	s_and_saveexec_b64 s[44:45], s[28:29]
	s_xor_b64 s[28:29], exec, s[44:45]
; %bb.12496:                            ;   in Loop: Header=BB4_12085 Depth=3
	v_min_i32_e32 v2, 15, v29
	v_lshl_or_b32 v2, v2, 3, v17
	v_and_or_b32 v4, v14, 7, v2
                                        ; implicit-def: $vgpr17
; %bb.12497:                            ;   in Loop: Header=BB4_12085 Depth=3
	s_andn2_saveexec_b64 s[28:29], s[28:29]
; %bb.12498:                            ;   in Loop: Header=BB4_12085 Depth=3
	v_mov_b32_e32 v4, v17
; %bb.12499:                            ;   in Loop: Header=BB4_12085 Depth=3
	s_or_b64 exec, exec, s[28:29]
.LBB4_12500:                            ;   in Loop: Header=BB4_12085 Depth=3
	s_or_b64 exec, exec, s[38:39]
                                        ; implicit-def: $vgpr17
.LBB4_12501:                            ;   in Loop: Header=BB4_12085 Depth=3
	s_andn2_saveexec_b64 s[28:29], s[36:37]
; %bb.12502:                            ;   in Loop: Header=BB4_12085 Depth=3
	v_or_b32_e32 v4, 0x7e, v17
; %bb.12503:                            ;   in Loop: Header=BB4_12085 Depth=3
	s_or_b64 exec, exec, s[28:29]
                                        ; implicit-def: $vgpr14
.LBB4_12504:                            ;   in Loop: Header=BB4_12085 Depth=3
	s_andn2_saveexec_b64 s[28:29], s[34:35]
; %bb.12505:                            ;   in Loop: Header=BB4_12085 Depth=3
	v_or_b32_sdwa v4, v14, s68 dst_sel:DWORD dst_unused:UNUSED_PAD src0_sel:BYTE_3 src1_sel:DWORD
; %bb.12506:                            ;   in Loop: Header=BB4_12085 Depth=3
	s_or_b64 exec, exec, s[28:29]
	flat_load_ubyte v14, v[10:11] glc slc
	flat_load_ubyte v46, v[10:11] offset:64 glc slc
	flat_load_ubyte v45, v[10:11] offset:128 glc slc
	flat_load_ubyte v44, v[10:11] offset:192 glc slc
	flat_load_ubyte v43, v[10:11] offset:256 glc slc
	flat_load_ubyte v42, v[10:11] offset:320 glc slc
	flat_load_ubyte v41, v[10:11] offset:384 glc slc
	flat_load_ubyte v40, v[10:11] offset:448 glc slc
	flat_load_ubyte v55, v[10:11] offset:512 glc slc
	flat_load_ubyte v52, v[10:11] offset:576 glc slc
	flat_load_ubyte v51, v[10:11] offset:640 glc slc
	flat_load_ubyte v50, v[10:11] offset:704 glc slc
	flat_load_ubyte v49, v[10:11] offset:768 glc slc
	flat_load_ubyte v39, v[10:11] offset:832 glc slc
	flat_load_ubyte v29, v[10:11] offset:896 glc slc
	flat_load_ubyte v17, v[10:11] offset:960 glc slc
	v_and_b32_e32 v2, 0xff, v20
	v_cmp_ne_u16_e32 vcc, 0, v2
	v_mov_b32_e32 v15, 0
	v_mov_b32_e32 v53, 0
	s_and_saveexec_b64 s[28:29], vcc
	s_cbranch_execz .LBB4_12512
; %bb.12507:                            ;   in Loop: Header=BB4_12085 Depth=3
	v_cmp_ne_u16_e32 vcc, s70, v2
	v_bfrev_b32_e32 v53, 1
	s_and_saveexec_b64 s[34:35], vcc
	s_cbranch_execz .LBB4_12511
; %bb.12508:                            ;   in Loop: Header=BB4_12085 Depth=3
	v_and_b32_e32 v54, 0x7f, v20
	v_cmp_ne_u32_e32 vcc, s68, v54
	v_mov_b32_e32 v53, 0x7f800001
	s_and_saveexec_b64 s[36:37], vcc
	s_cbranch_execz .LBB4_12510
; %bb.12509:                            ;   in Loop: Header=BB4_12085 Depth=3
	v_and_b32_e32 v22, 7, v2
	v_ffbh_u32_e32 v32, v22
	v_min_u32_e32 v32, 32, v32
	v_subrev_u32_e32 v33, 28, v32
	v_lshrrev_b32_e32 v23, 3, v54
	v_cmp_gt_u32_e32 vcc, 8, v54
	v_lshlrev_b64 v[53:54], v33, v[2:3]
	v_sub_u32_e32 v2, 29, v32
	v_and_b32_e32 v32, 7, v53
	v_cndmask_b32_e32 v2, v23, v2, vcc
	v_cndmask_b32_e32 v22, v22, v32, vcc
	v_lshlrev_b32_e32 v20, 24, v20
	v_lshlrev_b32_e32 v22, 20, v22
	v_and_b32_e32 v20, 0x80000000, v20
	v_lshl_add_u32 v2, v2, 23, v5
	v_or3_b32 v53, v20, v2, v22
.LBB4_12510:                            ;   in Loop: Header=BB4_12085 Depth=3
	s_or_b64 exec, exec, s[36:37]
.LBB4_12511:                            ;   in Loop: Header=BB4_12085 Depth=3
	s_or_b64 exec, exec, s[34:35]
.LBB4_12512:                            ;   in Loop: Header=BB4_12085 Depth=3
	s_or_b64 exec, exec, s[28:29]
	s_waitcnt vmcnt(0) lgkmcnt(0)
	v_and_b32_e32 v2, 0xff, v14
	v_cmp_ne_u16_e32 vcc, 0, v2
	s_and_saveexec_b64 s[28:29], vcc
	s_cbranch_execz .LBB4_12518
; %bb.12513:                            ;   in Loop: Header=BB4_12085 Depth=3
	v_cmp_ne_u16_e32 vcc, s70, v2
	v_bfrev_b32_e32 v15, 1
	s_and_saveexec_b64 s[34:35], vcc
	s_cbranch_execz .LBB4_12517
; %bb.12514:                            ;   in Loop: Header=BB4_12085 Depth=3
	v_and_b32_e32 v20, 0x7f, v14
	v_cmp_ne_u32_e32 vcc, s68, v20
	v_mov_b32_e32 v15, 0x7f800001
	s_and_saveexec_b64 s[36:37], vcc
	s_cbranch_execz .LBB4_12516
; %bb.12515:                            ;   in Loop: Header=BB4_12085 Depth=3
	v_and_b32_e32 v15, 7, v2
	v_lshrrev_b32_e32 v22, 3, v20
	v_cmp_gt_u32_e32 vcc, 8, v20
	v_ffbh_u32_e32 v20, v15
	v_min_u32_e32 v20, 32, v20
	v_subrev_u32_e32 v23, 28, v20
	v_lshlrev_b64 v[56:57], v23, v[2:3]
	v_sub_u32_e32 v2, 29, v20
	v_and_b32_e32 v20, 7, v56
	v_cndmask_b32_e32 v2, v22, v2, vcc
	v_cndmask_b32_e32 v15, v15, v20, vcc
	v_lshlrev_b32_e32 v14, 24, v14
	v_lshlrev_b32_e32 v15, 20, v15
	v_and_b32_e32 v14, 0x80000000, v14
	v_lshl_add_u32 v2, v2, 23, v5
	v_or3_b32 v15, v14, v2, v15
.LBB4_12516:                            ;   in Loop: Header=BB4_12085 Depth=3
	s_or_b64 exec, exec, s[36:37]
.LBB4_12517:                            ;   in Loop: Header=BB4_12085 Depth=3
	s_or_b64 exec, exec, s[34:35]
.LBB4_12518:                            ;   in Loop: Header=BB4_12085 Depth=3
	s_or_b64 exec, exec, s[28:29]
	v_add_f32_e32 v14, v53, v15
	v_and_b32_e32 v2, 0x7f800000, v14
	v_cmp_ne_u64_e32 vcc, s[62:63], v[2:3]
                                        ; implicit-def: $vgpr20
	s_and_saveexec_b64 s[28:29], vcc
	s_xor_b64 s[34:35], exec, s[28:29]
	s_cbranch_execz .LBB4_12536
; %bb.12519:                            ;   in Loop: Header=BB4_12085 Depth=3
	v_and_b32_e32 v2, 0x7fffffff, v14
	v_cmp_gt_u64_e32 vcc, s[72:73], v[2:3]
	v_and_b32_sdwa v47, v14, s70 dst_sel:DWORD dst_unused:UNUSED_PAD src0_sel:BYTE_3 src1_sel:DWORD
                                        ; implicit-def: $vgpr20
	s_and_saveexec_b64 s[28:29], vcc
	s_xor_b64 s[36:37], exec, s[28:29]
	s_cbranch_execz .LBB4_12533
; %bb.12520:                            ;   in Loop: Header=BB4_12085 Depth=3
	v_cmp_ne_u32_e32 vcc, 0, v14
	v_mov_b32_e32 v20, 0
	s_and_saveexec_b64 s[38:39], vcc
	s_cbranch_execz .LBB4_12532
; %bb.12521:                            ;   in Loop: Header=BB4_12085 Depth=3
	v_bfe_u32 v20, v14, 23, 8
	v_and_b32_e32 v2, 0x7fffff, v14
	v_cmp_gt_u32_e64 s[28:29], s71, v20
	v_sub_u32_e32 v14, 0x79, v20
	v_cmp_eq_u32_e32 vcc, 0, v20
	v_cndmask_b32_e64 v14, 0, v14, s[28:29]
	v_mov_b32_e32 v22, 0x78
	v_cndmask_b32_e32 v56, v14, v22, vcc
	v_or_b32_e32 v15, 0x800000, v2
	v_add_u32_e32 v14, 20, v56
	v_cndmask_b32_e32 v2, v15, v2, vcc
	v_lshlrev_b64 v[14:15], v14, -1
	v_add_u32_e32 v22, 19, v56
	v_lshlrev_b64 v[53:54], v22, 1
	v_bfi_b32 v15, v15, 0, 0
	v_bfi_b32 v14, v14, 0, v2
	v_cmp_eq_u64_e64 s[28:29], v[14:15], v[53:54]
	v_lshrrev_b64 v[14:15], v56, v[2:3]
	v_mov_b32_e32 v54, v15
	v_mov_b32_e32 v53, v14
	s_and_saveexec_b64 s[48:49], s[28:29]
; %bb.12522:                            ;   in Loop: Header=BB4_12085 Depth=3
	v_bfe_u32 v2, v14, 20, 1
	v_add_co_u32_e64 v2, s[28:29], v14, v2
	v_add_co_u32_e64 v53, s[28:29], -1, v2
; %bb.12523:                            ;   in Loop: Header=BB4_12085 Depth=3
	s_or_b64 exec, exec, s[48:49]
	v_add_u32_e32 v2, 0xffffff81, v20
	v_mov_b32_e32 v15, 0xffffff82
	v_cndmask_b32_e32 v2, v2, v15, vcc
	v_lshrrev_b32_e32 v15, 23, v14
	v_add3_u32 v54, v56, v2, v15
	v_add_u32_e32 v20, 6, v54
	v_and_b32_e32 v2, 0xfffff, v53
	v_add_u32_e32 v2, v2, v14
	v_cmp_ne_u32_e32 vcc, 0, v20
                                        ; implicit-def: $vgpr14_vgpr15
                                        ; implicit-def: $vgpr53
	s_and_saveexec_b64 s[28:29], vcc
	s_xor_b64 s[28:29], exec, s[28:29]
; %bb.12524:                            ;   in Loop: Header=BB4_12085 Depth=3
	v_cmp_lt_u64_e32 vcc, s[74:75], v[2:3]
	v_add_u32_e32 v14, 7, v54
	v_cndmask_b32_e32 v53, v20, v14, vcc
	v_cndmask_b32_e64 v14, 0, 1, vcc
	v_lshrrev_b64 v[14:15], v14, v[2:3]
; %bb.12525:                            ;   in Loop: Header=BB4_12085 Depth=3
	s_andn2_saveexec_b64 s[28:29], s[28:29]
; %bb.12526:                            ;   in Loop: Header=BB4_12085 Depth=3
	v_mov_b32_e32 v15, v3
	v_mov_b32_e32 v14, v2
	v_bfe_u32 v53, v2, 23, 1
; %bb.12527:                            ;   in Loop: Header=BB4_12085 Depth=3
	s_or_b64 exec, exec, s[28:29]
	v_lshrrev_b64 v[14:15], 20, v[14:15]
	v_cmp_gt_i32_e32 vcc, 16, v53
	v_cndmask_b32_e32 v15, 0, v15, vcc
	v_cndmask_b32_e32 v14, 7, v14, vcc
	v_cmp_ne_u64_e32 vcc, 0, v[14:15]
	v_cmp_ne_u32_e64 s[28:29], 0, v53
	s_or_b64 s[28:29], s[28:29], vcc
                                        ; implicit-def: $vgpr20
	s_and_saveexec_b64 s[44:45], s[28:29]
	s_xor_b64 s[28:29], exec, s[44:45]
; %bb.12528:                            ;   in Loop: Header=BB4_12085 Depth=3
	v_min_i32_e32 v2, 15, v53
	v_lshl_or_b32 v2, v2, 3, v47
	v_and_or_b32 v20, v14, 7, v2
                                        ; implicit-def: $vgpr47
; %bb.12529:                            ;   in Loop: Header=BB4_12085 Depth=3
	s_andn2_saveexec_b64 s[28:29], s[28:29]
; %bb.12530:                            ;   in Loop: Header=BB4_12085 Depth=3
	v_mov_b32_e32 v20, v47
; %bb.12531:                            ;   in Loop: Header=BB4_12085 Depth=3
	s_or_b64 exec, exec, s[28:29]
.LBB4_12532:                            ;   in Loop: Header=BB4_12085 Depth=3
	s_or_b64 exec, exec, s[38:39]
                                        ; implicit-def: $vgpr47
.LBB4_12533:                            ;   in Loop: Header=BB4_12085 Depth=3
	s_andn2_saveexec_b64 s[28:29], s[36:37]
; %bb.12534:                            ;   in Loop: Header=BB4_12085 Depth=3
	v_or_b32_e32 v20, 0x7e, v47
; %bb.12535:                            ;   in Loop: Header=BB4_12085 Depth=3
	s_or_b64 exec, exec, s[28:29]
                                        ; implicit-def: $vgpr14
.LBB4_12536:                            ;   in Loop: Header=BB4_12085 Depth=3
	s_andn2_saveexec_b64 s[28:29], s[34:35]
; %bb.12537:                            ;   in Loop: Header=BB4_12085 Depth=3
	v_or_b32_sdwa v20, v14, s68 dst_sel:DWORD dst_unused:UNUSED_PAD src0_sel:BYTE_3 src1_sel:DWORD
; %bb.12538:                            ;   in Loop: Header=BB4_12085 Depth=3
	s_or_b64 exec, exec, s[28:29]
	v_and_b32_e32 v2, 0xff, v30
	v_cmp_ne_u16_e32 vcc, 0, v2
	v_mov_b32_e32 v14, 0
	v_mov_b32_e32 v15, 0
	s_and_saveexec_b64 s[28:29], vcc
	s_cbranch_execz .LBB4_12544
; %bb.12539:                            ;   in Loop: Header=BB4_12085 Depth=3
	v_cmp_ne_u16_e32 vcc, s70, v2
	v_bfrev_b32_e32 v15, 1
	s_and_saveexec_b64 s[34:35], vcc
	s_cbranch_execz .LBB4_12543
; %bb.12540:                            ;   in Loop: Header=BB4_12085 Depth=3
	v_and_b32_e32 v53, 0x7f, v30
	v_cmp_ne_u32_e32 vcc, s68, v53
	v_mov_b32_e32 v15, 0x7f800001
	s_and_saveexec_b64 s[36:37], vcc
	s_cbranch_execz .LBB4_12542
; %bb.12541:                            ;   in Loop: Header=BB4_12085 Depth=3
	v_and_b32_e32 v15, 7, v2
	v_ffbh_u32_e32 v23, v15
	v_min_u32_e32 v23, 32, v23
	v_subrev_u32_e32 v32, 28, v23
	v_lshrrev_b32_e32 v22, 3, v53
	v_cmp_gt_u32_e32 vcc, 8, v53
	v_lshlrev_b64 v[53:54], v32, v[2:3]
	v_sub_u32_e32 v2, 29, v23
	v_and_b32_e32 v23, 7, v53
	v_cndmask_b32_e32 v2, v22, v2, vcc
	v_cndmask_b32_e32 v15, v15, v23, vcc
	v_lshlrev_b32_e32 v22, 24, v30
	v_lshlrev_b32_e32 v15, 20, v15
	v_and_b32_e32 v22, 0x80000000, v22
	v_lshl_add_u32 v2, v2, 23, v5
	v_or3_b32 v15, v22, v2, v15
.LBB4_12542:                            ;   in Loop: Header=BB4_12085 Depth=3
	s_or_b64 exec, exec, s[36:37]
.LBB4_12543:                            ;   in Loop: Header=BB4_12085 Depth=3
	s_or_b64 exec, exec, s[34:35]
.LBB4_12544:                            ;   in Loop: Header=BB4_12085 Depth=3
	s_or_b64 exec, exec, s[28:29]
	v_and_b32_e32 v2, 0xff, v46
	v_cmp_ne_u16_e32 vcc, 0, v2
	s_and_saveexec_b64 s[28:29], vcc
	s_cbranch_execz .LBB4_12550
; %bb.12545:                            ;   in Loop: Header=BB4_12085 Depth=3
	v_cmp_ne_u16_e32 vcc, s70, v2
	v_bfrev_b32_e32 v14, 1
	s_and_saveexec_b64 s[34:35], vcc
	s_cbranch_execz .LBB4_12549
; %bb.12546:                            ;   in Loop: Header=BB4_12085 Depth=3
	v_and_b32_e32 v30, 0x7f, v46
	v_cmp_ne_u32_e32 vcc, s68, v30
	v_mov_b32_e32 v14, 0x7f800001
	s_and_saveexec_b64 s[36:37], vcc
	s_cbranch_execz .LBB4_12548
; %bb.12547:                            ;   in Loop: Header=BB4_12085 Depth=3
	v_and_b32_e32 v14, 7, v2
	v_ffbh_u32_e32 v23, v14
	v_min_u32_e32 v23, 32, v23
	v_lshrrev_b32_e32 v22, 3, v30
	v_cmp_gt_u32_e32 vcc, 8, v30
	v_subrev_u32_e32 v30, 28, v23
	v_lshlrev_b64 v[53:54], v30, v[2:3]
	v_sub_u32_e32 v2, 29, v23
	v_and_b32_e32 v23, 7, v53
	v_cndmask_b32_e32 v2, v22, v2, vcc
	v_cndmask_b32_e32 v14, v14, v23, vcc
	v_lshlrev_b32_e32 v22, 24, v46
	v_lshlrev_b32_e32 v14, 20, v14
	v_and_b32_e32 v22, 0x80000000, v22
	v_lshl_add_u32 v2, v2, 23, v5
	v_or3_b32 v14, v22, v2, v14
.LBB4_12548:                            ;   in Loop: Header=BB4_12085 Depth=3
	s_or_b64 exec, exec, s[36:37]
.LBB4_12549:                            ;   in Loop: Header=BB4_12085 Depth=3
	s_or_b64 exec, exec, s[34:35]
.LBB4_12550:                            ;   in Loop: Header=BB4_12085 Depth=3
	s_or_b64 exec, exec, s[28:29]
	v_add_f32_e32 v14, v15, v14
	v_and_b32_e32 v2, 0x7f800000, v14
	v_cmp_ne_u64_e32 vcc, s[62:63], v[2:3]
                                        ; implicit-def: $vgpr30
	s_and_saveexec_b64 s[28:29], vcc
	s_xor_b64 s[34:35], exec, s[28:29]
	s_cbranch_execz .LBB4_12568
; %bb.12551:                            ;   in Loop: Header=BB4_12085 Depth=3
	v_and_b32_e32 v2, 0x7fffffff, v14
	v_cmp_gt_u64_e32 vcc, s[72:73], v[2:3]
	v_and_b32_sdwa v46, v14, s70 dst_sel:DWORD dst_unused:UNUSED_PAD src0_sel:BYTE_3 src1_sel:DWORD
                                        ; implicit-def: $vgpr30
	s_and_saveexec_b64 s[28:29], vcc
	s_xor_b64 s[36:37], exec, s[28:29]
	s_cbranch_execz .LBB4_12565
; %bb.12552:                            ;   in Loop: Header=BB4_12085 Depth=3
	v_cmp_ne_u32_e32 vcc, 0, v14
	v_mov_b32_e32 v30, 0
	s_and_saveexec_b64 s[38:39], vcc
	s_cbranch_execz .LBB4_12564
; %bb.12553:                            ;   in Loop: Header=BB4_12085 Depth=3
	v_bfe_u32 v30, v14, 23, 8
	v_and_b32_e32 v2, 0x7fffff, v14
	v_cmp_gt_u32_e64 s[28:29], s71, v30
	v_sub_u32_e32 v14, 0x79, v30
	v_cmp_eq_u32_e32 vcc, 0, v30
	v_cndmask_b32_e64 v14, 0, v14, s[28:29]
	v_mov_b32_e32 v22, 0x78
	v_cndmask_b32_e32 v47, v14, v22, vcc
	v_or_b32_e32 v15, 0x800000, v2
	v_add_u32_e32 v14, 20, v47
	v_cndmask_b32_e32 v2, v15, v2, vcc
	v_lshlrev_b64 v[14:15], v14, -1
	v_add_u32_e32 v22, 19, v47
	v_lshlrev_b64 v[53:54], v22, 1
	v_bfi_b32 v15, v15, 0, 0
	v_bfi_b32 v14, v14, 0, v2
	v_cmp_eq_u64_e64 s[28:29], v[14:15], v[53:54]
	v_lshrrev_b64 v[14:15], v47, v[2:3]
	v_mov_b32_e32 v54, v15
	v_mov_b32_e32 v53, v14
	s_and_saveexec_b64 s[48:49], s[28:29]
; %bb.12554:                            ;   in Loop: Header=BB4_12085 Depth=3
	v_bfe_u32 v2, v14, 20, 1
	v_add_co_u32_e64 v2, s[28:29], v14, v2
	v_add_co_u32_e64 v53, s[28:29], -1, v2
; %bb.12555:                            ;   in Loop: Header=BB4_12085 Depth=3
	s_or_b64 exec, exec, s[48:49]
	v_add_u32_e32 v2, 0xffffff81, v30
	v_mov_b32_e32 v15, 0xffffff82
	v_cndmask_b32_e32 v2, v2, v15, vcc
	v_lshrrev_b32_e32 v15, 23, v14
	v_add3_u32 v54, v47, v2, v15
	v_add_u32_e32 v30, 6, v54
	v_and_b32_e32 v2, 0xfffff, v53
	v_add_u32_e32 v2, v2, v14
	v_cmp_ne_u32_e32 vcc, 0, v30
                                        ; implicit-def: $vgpr14_vgpr15
                                        ; implicit-def: $vgpr53
	s_and_saveexec_b64 s[28:29], vcc
	s_xor_b64 s[28:29], exec, s[28:29]
; %bb.12556:                            ;   in Loop: Header=BB4_12085 Depth=3
	v_cmp_lt_u64_e32 vcc, s[74:75], v[2:3]
	v_add_u32_e32 v14, 7, v54
	v_cndmask_b32_e32 v53, v30, v14, vcc
	v_cndmask_b32_e64 v14, 0, 1, vcc
	v_lshrrev_b64 v[14:15], v14, v[2:3]
; %bb.12557:                            ;   in Loop: Header=BB4_12085 Depth=3
	s_andn2_saveexec_b64 s[28:29], s[28:29]
; %bb.12558:                            ;   in Loop: Header=BB4_12085 Depth=3
	v_mov_b32_e32 v15, v3
	v_mov_b32_e32 v14, v2
	v_bfe_u32 v53, v2, 23, 1
; %bb.12559:                            ;   in Loop: Header=BB4_12085 Depth=3
	s_or_b64 exec, exec, s[28:29]
	v_lshrrev_b64 v[14:15], 20, v[14:15]
	v_cmp_gt_i32_e32 vcc, 16, v53
	v_cndmask_b32_e32 v15, 0, v15, vcc
	v_cndmask_b32_e32 v14, 7, v14, vcc
	v_cmp_ne_u64_e32 vcc, 0, v[14:15]
	v_cmp_ne_u32_e64 s[28:29], 0, v53
	s_or_b64 s[28:29], s[28:29], vcc
                                        ; implicit-def: $vgpr30
	s_and_saveexec_b64 s[44:45], s[28:29]
	s_xor_b64 s[28:29], exec, s[44:45]
; %bb.12560:                            ;   in Loop: Header=BB4_12085 Depth=3
	v_min_i32_e32 v2, 15, v53
	v_lshl_or_b32 v2, v2, 3, v46
	v_and_or_b32 v30, v14, 7, v2
                                        ; implicit-def: $vgpr46
; %bb.12561:                            ;   in Loop: Header=BB4_12085 Depth=3
	s_andn2_saveexec_b64 s[28:29], s[28:29]
; %bb.12562:                            ;   in Loop: Header=BB4_12085 Depth=3
	v_mov_b32_e32 v30, v46
; %bb.12563:                            ;   in Loop: Header=BB4_12085 Depth=3
	s_or_b64 exec, exec, s[28:29]
.LBB4_12564:                            ;   in Loop: Header=BB4_12085 Depth=3
	s_or_b64 exec, exec, s[38:39]
                                        ; implicit-def: $vgpr46
.LBB4_12565:                            ;   in Loop: Header=BB4_12085 Depth=3
	s_andn2_saveexec_b64 s[28:29], s[36:37]
; %bb.12566:                            ;   in Loop: Header=BB4_12085 Depth=3
	v_or_b32_e32 v30, 0x7e, v46
; %bb.12567:                            ;   in Loop: Header=BB4_12085 Depth=3
	s_or_b64 exec, exec, s[28:29]
                                        ; implicit-def: $vgpr14
.LBB4_12568:                            ;   in Loop: Header=BB4_12085 Depth=3
	s_andn2_saveexec_b64 s[28:29], s[34:35]
; %bb.12569:                            ;   in Loop: Header=BB4_12085 Depth=3
	v_or_b32_sdwa v30, v14, s68 dst_sel:DWORD dst_unused:UNUSED_PAD src0_sel:BYTE_3 src1_sel:DWORD
; %bb.12570:                            ;   in Loop: Header=BB4_12085 Depth=3
	s_or_b64 exec, exec, s[28:29]
	v_and_b32_e32 v2, 0xff, v48
	v_cmp_ne_u16_e32 vcc, 0, v2
	v_mov_b32_e32 v14, 0
	v_mov_b32_e32 v15, 0
	s_and_saveexec_b64 s[28:29], vcc
	s_cbranch_execz .LBB4_12576
; %bb.12571:                            ;   in Loop: Header=BB4_12085 Depth=3
	v_cmp_ne_u16_e32 vcc, s70, v2
	v_bfrev_b32_e32 v15, 1
	s_and_saveexec_b64 s[34:35], vcc
	s_cbranch_execz .LBB4_12575
; %bb.12572:                            ;   in Loop: Header=BB4_12085 Depth=3
	v_and_b32_e32 v53, 0x7f, v48
	v_cmp_ne_u32_e32 vcc, s68, v53
	v_mov_b32_e32 v15, 0x7f800001
	s_and_saveexec_b64 s[36:37], vcc
	s_cbranch_execz .LBB4_12574
; %bb.12573:                            ;   in Loop: Header=BB4_12085 Depth=3
	v_and_b32_e32 v15, 7, v2
	v_ffbh_u32_e32 v23, v15
	v_min_u32_e32 v23, 32, v23
	v_subrev_u32_e32 v32, 28, v23
	v_lshrrev_b32_e32 v22, 3, v53
	v_cmp_gt_u32_e32 vcc, 8, v53
	v_lshlrev_b64 v[53:54], v32, v[2:3]
	v_sub_u32_e32 v2, 29, v23
	v_and_b32_e32 v23, 7, v53
	v_cndmask_b32_e32 v2, v22, v2, vcc
	v_cndmask_b32_e32 v15, v15, v23, vcc
	v_lshlrev_b32_e32 v22, 24, v48
	v_lshlrev_b32_e32 v15, 20, v15
	v_and_b32_e32 v22, 0x80000000, v22
	v_lshl_add_u32 v2, v2, 23, v5
	v_or3_b32 v15, v22, v2, v15
.LBB4_12574:                            ;   in Loop: Header=BB4_12085 Depth=3
	s_or_b64 exec, exec, s[36:37]
.LBB4_12575:                            ;   in Loop: Header=BB4_12085 Depth=3
	s_or_b64 exec, exec, s[34:35]
.LBB4_12576:                            ;   in Loop: Header=BB4_12085 Depth=3
	s_or_b64 exec, exec, s[28:29]
	v_and_b32_e32 v2, 0xff, v45
	v_cmp_ne_u16_e32 vcc, 0, v2
	s_and_saveexec_b64 s[28:29], vcc
	s_cbranch_execz .LBB4_12582
; %bb.12577:                            ;   in Loop: Header=BB4_12085 Depth=3
	v_cmp_ne_u16_e32 vcc, s70, v2
	v_bfrev_b32_e32 v14, 1
	s_and_saveexec_b64 s[34:35], vcc
	s_cbranch_execz .LBB4_12581
; %bb.12578:                            ;   in Loop: Header=BB4_12085 Depth=3
	v_and_b32_e32 v48, 0x7f, v45
	v_cmp_ne_u32_e32 vcc, s68, v48
	v_mov_b32_e32 v14, 0x7f800001
	s_and_saveexec_b64 s[36:37], vcc
	s_cbranch_execz .LBB4_12580
; %bb.12579:                            ;   in Loop: Header=BB4_12085 Depth=3
	v_and_b32_e32 v14, 7, v2
	v_ffbh_u32_e32 v23, v14
	v_min_u32_e32 v23, 32, v23
	v_subrev_u32_e32 v32, 28, v23
	v_lshlrev_b64 v[53:54], v32, v[2:3]
	v_lshrrev_b32_e32 v22, 3, v48
	v_cmp_gt_u32_e32 vcc, 8, v48
	v_sub_u32_e32 v2, 29, v23
	v_and_b32_e32 v23, 7, v53
	v_cndmask_b32_e32 v2, v22, v2, vcc
	v_cndmask_b32_e32 v14, v14, v23, vcc
	v_lshlrev_b32_e32 v22, 24, v45
	v_lshlrev_b32_e32 v14, 20, v14
	v_and_b32_e32 v22, 0x80000000, v22
	v_lshl_add_u32 v2, v2, 23, v5
	v_or3_b32 v14, v22, v2, v14
.LBB4_12580:                            ;   in Loop: Header=BB4_12085 Depth=3
	s_or_b64 exec, exec, s[36:37]
.LBB4_12581:                            ;   in Loop: Header=BB4_12085 Depth=3
	s_or_b64 exec, exec, s[34:35]
.LBB4_12582:                            ;   in Loop: Header=BB4_12085 Depth=3
	s_or_b64 exec, exec, s[28:29]
	v_add_f32_e32 v14, v15, v14
	v_and_b32_e32 v2, 0x7f800000, v14
	v_cmp_ne_u64_e32 vcc, s[62:63], v[2:3]
                                        ; implicit-def: $vgpr48
	s_and_saveexec_b64 s[28:29], vcc
	s_xor_b64 s[34:35], exec, s[28:29]
	s_cbranch_execz .LBB4_12600
; %bb.12583:                            ;   in Loop: Header=BB4_12085 Depth=3
	v_and_b32_e32 v2, 0x7fffffff, v14
	v_cmp_gt_u64_e32 vcc, s[72:73], v[2:3]
	v_and_b32_sdwa v45, v14, s70 dst_sel:DWORD dst_unused:UNUSED_PAD src0_sel:BYTE_3 src1_sel:DWORD
                                        ; implicit-def: $vgpr48
	s_and_saveexec_b64 s[28:29], vcc
	s_xor_b64 s[36:37], exec, s[28:29]
	s_cbranch_execz .LBB4_12597
; %bb.12584:                            ;   in Loop: Header=BB4_12085 Depth=3
	v_cmp_ne_u32_e32 vcc, 0, v14
	v_mov_b32_e32 v48, 0
	s_and_saveexec_b64 s[38:39], vcc
	s_cbranch_execz .LBB4_12596
; %bb.12585:                            ;   in Loop: Header=BB4_12085 Depth=3
	v_bfe_u32 v48, v14, 23, 8
	v_and_b32_e32 v2, 0x7fffff, v14
	v_cmp_gt_u32_e64 s[28:29], s71, v48
	v_sub_u32_e32 v14, 0x79, v48
	v_cmp_eq_u32_e32 vcc, 0, v48
	v_cndmask_b32_e64 v14, 0, v14, s[28:29]
	v_mov_b32_e32 v22, 0x78
	v_cndmask_b32_e32 v46, v14, v22, vcc
	v_or_b32_e32 v15, 0x800000, v2
	v_add_u32_e32 v14, 20, v46
	v_cndmask_b32_e32 v2, v15, v2, vcc
	v_lshlrev_b64 v[14:15], v14, -1
	v_add_u32_e32 v22, 19, v46
	v_lshlrev_b64 v[53:54], v22, 1
	v_bfi_b32 v15, v15, 0, 0
	v_bfi_b32 v14, v14, 0, v2
	v_cmp_eq_u64_e64 s[28:29], v[14:15], v[53:54]
	v_lshrrev_b64 v[14:15], v46, v[2:3]
	v_mov_b32_e32 v54, v15
	v_mov_b32_e32 v53, v14
	s_and_saveexec_b64 s[48:49], s[28:29]
; %bb.12586:                            ;   in Loop: Header=BB4_12085 Depth=3
	v_bfe_u32 v2, v14, 20, 1
	v_add_co_u32_e64 v2, s[28:29], v14, v2
	v_add_co_u32_e64 v53, s[28:29], -1, v2
; %bb.12587:                            ;   in Loop: Header=BB4_12085 Depth=3
	s_or_b64 exec, exec, s[48:49]
	v_add_u32_e32 v2, 0xffffff81, v48
	v_mov_b32_e32 v15, 0xffffff82
	v_cndmask_b32_e32 v2, v2, v15, vcc
	v_lshrrev_b32_e32 v15, 23, v14
	v_add3_u32 v54, v46, v2, v15
	v_add_u32_e32 v48, 6, v54
	v_and_b32_e32 v2, 0xfffff, v53
	v_add_u32_e32 v2, v2, v14
	v_cmp_ne_u32_e32 vcc, 0, v48
                                        ; implicit-def: $vgpr14_vgpr15
                                        ; implicit-def: $vgpr53
	s_and_saveexec_b64 s[28:29], vcc
	s_xor_b64 s[28:29], exec, s[28:29]
; %bb.12588:                            ;   in Loop: Header=BB4_12085 Depth=3
	v_cmp_lt_u64_e32 vcc, s[74:75], v[2:3]
	v_add_u32_e32 v14, 7, v54
	v_cndmask_b32_e32 v53, v48, v14, vcc
	v_cndmask_b32_e64 v14, 0, 1, vcc
	v_lshrrev_b64 v[14:15], v14, v[2:3]
; %bb.12589:                            ;   in Loop: Header=BB4_12085 Depth=3
	s_andn2_saveexec_b64 s[28:29], s[28:29]
; %bb.12590:                            ;   in Loop: Header=BB4_12085 Depth=3
	v_mov_b32_e32 v15, v3
	v_mov_b32_e32 v14, v2
	v_bfe_u32 v53, v2, 23, 1
; %bb.12591:                            ;   in Loop: Header=BB4_12085 Depth=3
	s_or_b64 exec, exec, s[28:29]
	v_lshrrev_b64 v[14:15], 20, v[14:15]
	v_cmp_gt_i32_e32 vcc, 16, v53
	v_cndmask_b32_e32 v15, 0, v15, vcc
	v_cndmask_b32_e32 v14, 7, v14, vcc
	v_cmp_ne_u64_e32 vcc, 0, v[14:15]
	v_cmp_ne_u32_e64 s[28:29], 0, v53
	s_or_b64 s[28:29], s[28:29], vcc
                                        ; implicit-def: $vgpr48
	s_and_saveexec_b64 s[44:45], s[28:29]
	s_xor_b64 s[28:29], exec, s[44:45]
; %bb.12592:                            ;   in Loop: Header=BB4_12085 Depth=3
	v_min_i32_e32 v2, 15, v53
	v_lshl_or_b32 v2, v2, 3, v45
	v_and_or_b32 v48, v14, 7, v2
                                        ; implicit-def: $vgpr45
; %bb.12593:                            ;   in Loop: Header=BB4_12085 Depth=3
	s_andn2_saveexec_b64 s[28:29], s[28:29]
; %bb.12594:                            ;   in Loop: Header=BB4_12085 Depth=3
	v_mov_b32_e32 v48, v45
; %bb.12595:                            ;   in Loop: Header=BB4_12085 Depth=3
	s_or_b64 exec, exec, s[28:29]
.LBB4_12596:                            ;   in Loop: Header=BB4_12085 Depth=3
	s_or_b64 exec, exec, s[38:39]
                                        ; implicit-def: $vgpr45
.LBB4_12597:                            ;   in Loop: Header=BB4_12085 Depth=3
	s_andn2_saveexec_b64 s[28:29], s[36:37]
; %bb.12598:                            ;   in Loop: Header=BB4_12085 Depth=3
	v_or_b32_e32 v48, 0x7e, v45
; %bb.12599:                            ;   in Loop: Header=BB4_12085 Depth=3
	s_or_b64 exec, exec, s[28:29]
                                        ; implicit-def: $vgpr14
.LBB4_12600:                            ;   in Loop: Header=BB4_12085 Depth=3
	s_andn2_saveexec_b64 s[28:29], s[34:35]
; %bb.12601:                            ;   in Loop: Header=BB4_12085 Depth=3
	v_or_b32_sdwa v48, v14, s68 dst_sel:DWORD dst_unused:UNUSED_PAD src0_sel:BYTE_3 src1_sel:DWORD
; %bb.12602:                            ;   in Loop: Header=BB4_12085 Depth=3
	s_or_b64 exec, exec, s[28:29]
	v_and_b32_e32 v2, 0xff, v38
	v_cmp_ne_u16_e32 vcc, 0, v2
	v_mov_b32_e32 v14, 0
	v_mov_b32_e32 v15, 0
	s_and_saveexec_b64 s[28:29], vcc
	s_cbranch_execz .LBB4_12608
; %bb.12603:                            ;   in Loop: Header=BB4_12085 Depth=3
	v_cmp_ne_u16_e32 vcc, s70, v2
	v_bfrev_b32_e32 v15, 1
	s_and_saveexec_b64 s[34:35], vcc
	s_cbranch_execz .LBB4_12607
; %bb.12604:                            ;   in Loop: Header=BB4_12085 Depth=3
	v_and_b32_e32 v53, 0x7f, v38
	v_cmp_ne_u32_e32 vcc, s68, v53
	v_mov_b32_e32 v15, 0x7f800001
	s_and_saveexec_b64 s[36:37], vcc
	s_cbranch_execz .LBB4_12606
; %bb.12605:                            ;   in Loop: Header=BB4_12085 Depth=3
	v_and_b32_e32 v15, 7, v2
	v_ffbh_u32_e32 v23, v15
	v_min_u32_e32 v23, 32, v23
	v_subrev_u32_e32 v32, 28, v23
	v_lshrrev_b32_e32 v22, 3, v53
	v_cmp_gt_u32_e32 vcc, 8, v53
	v_lshlrev_b64 v[53:54], v32, v[2:3]
	v_sub_u32_e32 v2, 29, v23
	v_and_b32_e32 v23, 7, v53
	v_cndmask_b32_e32 v2, v22, v2, vcc
	v_cndmask_b32_e32 v15, v15, v23, vcc
	v_lshlrev_b32_e32 v22, 24, v38
	v_lshlrev_b32_e32 v15, 20, v15
	v_and_b32_e32 v22, 0x80000000, v22
	v_lshl_add_u32 v2, v2, 23, v5
	v_or3_b32 v15, v22, v2, v15
.LBB4_12606:                            ;   in Loop: Header=BB4_12085 Depth=3
	s_or_b64 exec, exec, s[36:37]
.LBB4_12607:                            ;   in Loop: Header=BB4_12085 Depth=3
	s_or_b64 exec, exec, s[34:35]
.LBB4_12608:                            ;   in Loop: Header=BB4_12085 Depth=3
	s_or_b64 exec, exec, s[28:29]
	v_and_b32_e32 v2, 0xff, v44
	v_cmp_ne_u16_e32 vcc, 0, v2
	s_and_saveexec_b64 s[28:29], vcc
	s_cbranch_execz .LBB4_12614
; %bb.12609:                            ;   in Loop: Header=BB4_12085 Depth=3
	v_cmp_ne_u16_e32 vcc, s70, v2
	v_bfrev_b32_e32 v14, 1
	s_and_saveexec_b64 s[34:35], vcc
	s_cbranch_execz .LBB4_12613
; %bb.12610:                            ;   in Loop: Header=BB4_12085 Depth=3
	v_and_b32_e32 v38, 0x7f, v44
	v_cmp_ne_u32_e32 vcc, s68, v38
	v_mov_b32_e32 v14, 0x7f800001
	s_and_saveexec_b64 s[36:37], vcc
	s_cbranch_execz .LBB4_12612
; %bb.12611:                            ;   in Loop: Header=BB4_12085 Depth=3
	v_and_b32_e32 v14, 7, v2
	v_ffbh_u32_e32 v23, v14
	v_min_u32_e32 v23, 32, v23
	v_subrev_u32_e32 v32, 28, v23
	v_lshlrev_b64 v[53:54], v32, v[2:3]
	v_lshrrev_b32_e32 v22, 3, v38
	v_cmp_gt_u32_e32 vcc, 8, v38
	v_sub_u32_e32 v2, 29, v23
	v_and_b32_e32 v23, 7, v53
	v_cndmask_b32_e32 v2, v22, v2, vcc
	v_cndmask_b32_e32 v14, v14, v23, vcc
	v_lshlrev_b32_e32 v22, 24, v44
	v_lshlrev_b32_e32 v14, 20, v14
	v_and_b32_e32 v22, 0x80000000, v22
	v_lshl_add_u32 v2, v2, 23, v5
	v_or3_b32 v14, v22, v2, v14
.LBB4_12612:                            ;   in Loop: Header=BB4_12085 Depth=3
	s_or_b64 exec, exec, s[36:37]
.LBB4_12613:                            ;   in Loop: Header=BB4_12085 Depth=3
	s_or_b64 exec, exec, s[34:35]
.LBB4_12614:                            ;   in Loop: Header=BB4_12085 Depth=3
	s_or_b64 exec, exec, s[28:29]
	v_add_f32_e32 v14, v15, v14
	v_and_b32_e32 v2, 0x7f800000, v14
	v_cmp_ne_u64_e32 vcc, s[62:63], v[2:3]
                                        ; implicit-def: $vgpr38
	s_and_saveexec_b64 s[28:29], vcc
	s_xor_b64 s[34:35], exec, s[28:29]
	s_cbranch_execz .LBB4_12632
; %bb.12615:                            ;   in Loop: Header=BB4_12085 Depth=3
	v_and_b32_e32 v2, 0x7fffffff, v14
	v_cmp_gt_u64_e32 vcc, s[72:73], v[2:3]
	v_and_b32_sdwa v44, v14, s70 dst_sel:DWORD dst_unused:UNUSED_PAD src0_sel:BYTE_3 src1_sel:DWORD
                                        ; implicit-def: $vgpr38
	s_and_saveexec_b64 s[28:29], vcc
	s_xor_b64 s[36:37], exec, s[28:29]
	s_cbranch_execz .LBB4_12629
; %bb.12616:                            ;   in Loop: Header=BB4_12085 Depth=3
	v_cmp_ne_u32_e32 vcc, 0, v14
	v_mov_b32_e32 v38, 0
	s_and_saveexec_b64 s[38:39], vcc
	s_cbranch_execz .LBB4_12628
; %bb.12617:                            ;   in Loop: Header=BB4_12085 Depth=3
	v_bfe_u32 v38, v14, 23, 8
	v_and_b32_e32 v2, 0x7fffff, v14
	v_cmp_gt_u32_e64 s[28:29], s71, v38
	v_sub_u32_e32 v14, 0x79, v38
	v_cmp_eq_u32_e32 vcc, 0, v38
	v_cndmask_b32_e64 v14, 0, v14, s[28:29]
	v_mov_b32_e32 v22, 0x78
	v_cndmask_b32_e32 v45, v14, v22, vcc
	v_or_b32_e32 v15, 0x800000, v2
	v_add_u32_e32 v14, 20, v45
	v_cndmask_b32_e32 v2, v15, v2, vcc
	v_lshlrev_b64 v[14:15], v14, -1
	v_add_u32_e32 v22, 19, v45
	v_lshlrev_b64 v[53:54], v22, 1
	v_bfi_b32 v15, v15, 0, 0
	v_bfi_b32 v14, v14, 0, v2
	v_cmp_eq_u64_e64 s[28:29], v[14:15], v[53:54]
	v_lshrrev_b64 v[14:15], v45, v[2:3]
	v_mov_b32_e32 v54, v15
	v_mov_b32_e32 v53, v14
	s_and_saveexec_b64 s[48:49], s[28:29]
; %bb.12618:                            ;   in Loop: Header=BB4_12085 Depth=3
	v_bfe_u32 v2, v14, 20, 1
	v_add_co_u32_e64 v2, s[28:29], v14, v2
	v_add_co_u32_e64 v53, s[28:29], -1, v2
; %bb.12619:                            ;   in Loop: Header=BB4_12085 Depth=3
	s_or_b64 exec, exec, s[48:49]
	v_add_u32_e32 v2, 0xffffff81, v38
	v_mov_b32_e32 v15, 0xffffff82
	v_cndmask_b32_e32 v2, v2, v15, vcc
	v_lshrrev_b32_e32 v15, 23, v14
	v_add3_u32 v54, v45, v2, v15
	v_add_u32_e32 v38, 6, v54
	v_and_b32_e32 v2, 0xfffff, v53
	v_add_u32_e32 v2, v2, v14
	v_cmp_ne_u32_e32 vcc, 0, v38
                                        ; implicit-def: $vgpr14_vgpr15
                                        ; implicit-def: $vgpr53
	s_and_saveexec_b64 s[28:29], vcc
	s_xor_b64 s[28:29], exec, s[28:29]
; %bb.12620:                            ;   in Loop: Header=BB4_12085 Depth=3
	v_cmp_lt_u64_e32 vcc, s[74:75], v[2:3]
	v_add_u32_e32 v14, 7, v54
	v_cndmask_b32_e32 v53, v38, v14, vcc
	v_cndmask_b32_e64 v14, 0, 1, vcc
	v_lshrrev_b64 v[14:15], v14, v[2:3]
; %bb.12621:                            ;   in Loop: Header=BB4_12085 Depth=3
	s_andn2_saveexec_b64 s[28:29], s[28:29]
; %bb.12622:                            ;   in Loop: Header=BB4_12085 Depth=3
	v_mov_b32_e32 v15, v3
	v_mov_b32_e32 v14, v2
	v_bfe_u32 v53, v2, 23, 1
; %bb.12623:                            ;   in Loop: Header=BB4_12085 Depth=3
	s_or_b64 exec, exec, s[28:29]
	v_lshrrev_b64 v[14:15], 20, v[14:15]
	v_cmp_gt_i32_e32 vcc, 16, v53
	v_cndmask_b32_e32 v15, 0, v15, vcc
	v_cndmask_b32_e32 v14, 7, v14, vcc
	v_cmp_ne_u64_e32 vcc, 0, v[14:15]
	v_cmp_ne_u32_e64 s[28:29], 0, v53
	s_or_b64 s[28:29], s[28:29], vcc
                                        ; implicit-def: $vgpr38
	s_and_saveexec_b64 s[44:45], s[28:29]
	s_xor_b64 s[28:29], exec, s[44:45]
; %bb.12624:                            ;   in Loop: Header=BB4_12085 Depth=3
	v_min_i32_e32 v2, 15, v53
	v_lshl_or_b32 v2, v2, 3, v44
	v_and_or_b32 v38, v14, 7, v2
                                        ; implicit-def: $vgpr44
; %bb.12625:                            ;   in Loop: Header=BB4_12085 Depth=3
	s_andn2_saveexec_b64 s[28:29], s[28:29]
; %bb.12626:                            ;   in Loop: Header=BB4_12085 Depth=3
	v_mov_b32_e32 v38, v44
; %bb.12627:                            ;   in Loop: Header=BB4_12085 Depth=3
	s_or_b64 exec, exec, s[28:29]
.LBB4_12628:                            ;   in Loop: Header=BB4_12085 Depth=3
	s_or_b64 exec, exec, s[38:39]
                                        ; implicit-def: $vgpr44
.LBB4_12629:                            ;   in Loop: Header=BB4_12085 Depth=3
	s_andn2_saveexec_b64 s[28:29], s[36:37]
; %bb.12630:                            ;   in Loop: Header=BB4_12085 Depth=3
	v_or_b32_e32 v38, 0x7e, v44
; %bb.12631:                            ;   in Loop: Header=BB4_12085 Depth=3
	s_or_b64 exec, exec, s[28:29]
                                        ; implicit-def: $vgpr14
.LBB4_12632:                            ;   in Loop: Header=BB4_12085 Depth=3
	s_andn2_saveexec_b64 s[28:29], s[34:35]
; %bb.12633:                            ;   in Loop: Header=BB4_12085 Depth=3
	v_or_b32_sdwa v38, v14, s68 dst_sel:DWORD dst_unused:UNUSED_PAD src0_sel:BYTE_3 src1_sel:DWORD
; %bb.12634:                            ;   in Loop: Header=BB4_12085 Depth=3
	s_or_b64 exec, exec, s[28:29]
	v_and_b32_e32 v2, 0xff, v37
	v_cmp_ne_u16_e32 vcc, 0, v2
	v_mov_b32_e32 v14, 0
	v_mov_b32_e32 v15, 0
	s_and_saveexec_b64 s[28:29], vcc
	s_cbranch_execz .LBB4_12640
; %bb.12635:                            ;   in Loop: Header=BB4_12085 Depth=3
	v_cmp_ne_u16_e32 vcc, s70, v2
	v_bfrev_b32_e32 v15, 1
	s_and_saveexec_b64 s[34:35], vcc
	s_cbranch_execz .LBB4_12639
; %bb.12636:                            ;   in Loop: Header=BB4_12085 Depth=3
	v_and_b32_e32 v53, 0x7f, v37
	v_cmp_ne_u32_e32 vcc, s68, v53
	v_mov_b32_e32 v15, 0x7f800001
	s_and_saveexec_b64 s[36:37], vcc
	s_cbranch_execz .LBB4_12638
; %bb.12637:                            ;   in Loop: Header=BB4_12085 Depth=3
	v_and_b32_e32 v15, 7, v2
	v_ffbh_u32_e32 v23, v15
	v_min_u32_e32 v23, 32, v23
	v_subrev_u32_e32 v32, 28, v23
	v_lshrrev_b32_e32 v22, 3, v53
	v_cmp_gt_u32_e32 vcc, 8, v53
	v_lshlrev_b64 v[53:54], v32, v[2:3]
	v_sub_u32_e32 v2, 29, v23
	v_and_b32_e32 v23, 7, v53
	v_cndmask_b32_e32 v2, v22, v2, vcc
	v_cndmask_b32_e32 v15, v15, v23, vcc
	v_lshlrev_b32_e32 v22, 24, v37
	v_lshlrev_b32_e32 v15, 20, v15
	v_and_b32_e32 v22, 0x80000000, v22
	v_lshl_add_u32 v2, v2, 23, v5
	v_or3_b32 v15, v22, v2, v15
.LBB4_12638:                            ;   in Loop: Header=BB4_12085 Depth=3
	s_or_b64 exec, exec, s[36:37]
.LBB4_12639:                            ;   in Loop: Header=BB4_12085 Depth=3
	s_or_b64 exec, exec, s[34:35]
.LBB4_12640:                            ;   in Loop: Header=BB4_12085 Depth=3
	s_or_b64 exec, exec, s[28:29]
	v_and_b32_e32 v2, 0xff, v43
	v_cmp_ne_u16_e32 vcc, 0, v2
	s_and_saveexec_b64 s[28:29], vcc
	s_cbranch_execz .LBB4_12646
; %bb.12641:                            ;   in Loop: Header=BB4_12085 Depth=3
	v_cmp_ne_u16_e32 vcc, s70, v2
	v_bfrev_b32_e32 v14, 1
	s_and_saveexec_b64 s[34:35], vcc
	s_cbranch_execz .LBB4_12645
; %bb.12642:                            ;   in Loop: Header=BB4_12085 Depth=3
	v_and_b32_e32 v37, 0x7f, v43
	v_cmp_ne_u32_e32 vcc, s68, v37
	v_mov_b32_e32 v14, 0x7f800001
	s_and_saveexec_b64 s[36:37], vcc
	s_cbranch_execz .LBB4_12644
; %bb.12643:                            ;   in Loop: Header=BB4_12085 Depth=3
	v_and_b32_e32 v14, 7, v2
	v_ffbh_u32_e32 v23, v14
	v_min_u32_e32 v23, 32, v23
	v_subrev_u32_e32 v32, 28, v23
	v_lshlrev_b64 v[53:54], v32, v[2:3]
	v_lshrrev_b32_e32 v22, 3, v37
	v_cmp_gt_u32_e32 vcc, 8, v37
	v_sub_u32_e32 v2, 29, v23
	v_and_b32_e32 v23, 7, v53
	v_cndmask_b32_e32 v2, v22, v2, vcc
	v_cndmask_b32_e32 v14, v14, v23, vcc
	v_lshlrev_b32_e32 v22, 24, v43
	v_lshlrev_b32_e32 v14, 20, v14
	v_and_b32_e32 v22, 0x80000000, v22
	v_lshl_add_u32 v2, v2, 23, v5
	v_or3_b32 v14, v22, v2, v14
.LBB4_12644:                            ;   in Loop: Header=BB4_12085 Depth=3
	s_or_b64 exec, exec, s[36:37]
.LBB4_12645:                            ;   in Loop: Header=BB4_12085 Depth=3
	s_or_b64 exec, exec, s[34:35]
.LBB4_12646:                            ;   in Loop: Header=BB4_12085 Depth=3
	s_or_b64 exec, exec, s[28:29]
	v_add_f32_e32 v14, v15, v14
	v_and_b32_e32 v2, 0x7f800000, v14
	v_cmp_ne_u64_e32 vcc, s[62:63], v[2:3]
                                        ; implicit-def: $vgpr37
	s_and_saveexec_b64 s[28:29], vcc
	s_xor_b64 s[34:35], exec, s[28:29]
	s_cbranch_execz .LBB4_12664
; %bb.12647:                            ;   in Loop: Header=BB4_12085 Depth=3
	v_and_b32_e32 v2, 0x7fffffff, v14
	v_cmp_gt_u64_e32 vcc, s[72:73], v[2:3]
	v_and_b32_sdwa v43, v14, s70 dst_sel:DWORD dst_unused:UNUSED_PAD src0_sel:BYTE_3 src1_sel:DWORD
                                        ; implicit-def: $vgpr37
	s_and_saveexec_b64 s[28:29], vcc
	s_xor_b64 s[36:37], exec, s[28:29]
	s_cbranch_execz .LBB4_12661
; %bb.12648:                            ;   in Loop: Header=BB4_12085 Depth=3
	v_cmp_ne_u32_e32 vcc, 0, v14
	v_mov_b32_e32 v37, 0
	s_and_saveexec_b64 s[38:39], vcc
	s_cbranch_execz .LBB4_12660
; %bb.12649:                            ;   in Loop: Header=BB4_12085 Depth=3
	v_bfe_u32 v37, v14, 23, 8
	v_and_b32_e32 v2, 0x7fffff, v14
	v_cmp_gt_u32_e64 s[28:29], s71, v37
	v_sub_u32_e32 v14, 0x79, v37
	v_cmp_eq_u32_e32 vcc, 0, v37
	v_cndmask_b32_e64 v14, 0, v14, s[28:29]
	v_mov_b32_e32 v22, 0x78
	v_cndmask_b32_e32 v44, v14, v22, vcc
	v_or_b32_e32 v15, 0x800000, v2
	v_add_u32_e32 v14, 20, v44
	v_cndmask_b32_e32 v2, v15, v2, vcc
	v_lshlrev_b64 v[14:15], v14, -1
	v_add_u32_e32 v22, 19, v44
	v_lshlrev_b64 v[53:54], v22, 1
	v_bfi_b32 v15, v15, 0, 0
	v_bfi_b32 v14, v14, 0, v2
	v_cmp_eq_u64_e64 s[28:29], v[14:15], v[53:54]
	v_lshrrev_b64 v[14:15], v44, v[2:3]
	v_mov_b32_e32 v54, v15
	v_mov_b32_e32 v53, v14
	s_and_saveexec_b64 s[48:49], s[28:29]
; %bb.12650:                            ;   in Loop: Header=BB4_12085 Depth=3
	v_bfe_u32 v2, v14, 20, 1
	v_add_co_u32_e64 v2, s[28:29], v14, v2
	v_add_co_u32_e64 v53, s[28:29], -1, v2
; %bb.12651:                            ;   in Loop: Header=BB4_12085 Depth=3
	s_or_b64 exec, exec, s[48:49]
	v_add_u32_e32 v2, 0xffffff81, v37
	v_mov_b32_e32 v15, 0xffffff82
	v_cndmask_b32_e32 v2, v2, v15, vcc
	v_lshrrev_b32_e32 v15, 23, v14
	v_add3_u32 v54, v44, v2, v15
	v_add_u32_e32 v37, 6, v54
	v_and_b32_e32 v2, 0xfffff, v53
	v_add_u32_e32 v2, v2, v14
	v_cmp_ne_u32_e32 vcc, 0, v37
                                        ; implicit-def: $vgpr14_vgpr15
                                        ; implicit-def: $vgpr53
	s_and_saveexec_b64 s[28:29], vcc
	s_xor_b64 s[28:29], exec, s[28:29]
; %bb.12652:                            ;   in Loop: Header=BB4_12085 Depth=3
	v_cmp_lt_u64_e32 vcc, s[74:75], v[2:3]
	v_add_u32_e32 v14, 7, v54
	v_cndmask_b32_e32 v53, v37, v14, vcc
	v_cndmask_b32_e64 v14, 0, 1, vcc
	v_lshrrev_b64 v[14:15], v14, v[2:3]
; %bb.12653:                            ;   in Loop: Header=BB4_12085 Depth=3
	s_andn2_saveexec_b64 s[28:29], s[28:29]
; %bb.12654:                            ;   in Loop: Header=BB4_12085 Depth=3
	v_mov_b32_e32 v15, v3
	v_mov_b32_e32 v14, v2
	v_bfe_u32 v53, v2, 23, 1
; %bb.12655:                            ;   in Loop: Header=BB4_12085 Depth=3
	s_or_b64 exec, exec, s[28:29]
	v_lshrrev_b64 v[14:15], 20, v[14:15]
	v_cmp_gt_i32_e32 vcc, 16, v53
	v_cndmask_b32_e32 v15, 0, v15, vcc
	v_cndmask_b32_e32 v14, 7, v14, vcc
	v_cmp_ne_u64_e32 vcc, 0, v[14:15]
	v_cmp_ne_u32_e64 s[28:29], 0, v53
	s_or_b64 s[28:29], s[28:29], vcc
                                        ; implicit-def: $vgpr37
	s_and_saveexec_b64 s[44:45], s[28:29]
	s_xor_b64 s[28:29], exec, s[44:45]
; %bb.12656:                            ;   in Loop: Header=BB4_12085 Depth=3
	v_min_i32_e32 v2, 15, v53
	v_lshl_or_b32 v2, v2, 3, v43
	v_and_or_b32 v37, v14, 7, v2
                                        ; implicit-def: $vgpr43
; %bb.12657:                            ;   in Loop: Header=BB4_12085 Depth=3
	s_andn2_saveexec_b64 s[28:29], s[28:29]
; %bb.12658:                            ;   in Loop: Header=BB4_12085 Depth=3
	v_mov_b32_e32 v37, v43
; %bb.12659:                            ;   in Loop: Header=BB4_12085 Depth=3
	s_or_b64 exec, exec, s[28:29]
.LBB4_12660:                            ;   in Loop: Header=BB4_12085 Depth=3
	s_or_b64 exec, exec, s[38:39]
                                        ; implicit-def: $vgpr43
.LBB4_12661:                            ;   in Loop: Header=BB4_12085 Depth=3
	s_andn2_saveexec_b64 s[28:29], s[36:37]
; %bb.12662:                            ;   in Loop: Header=BB4_12085 Depth=3
	v_or_b32_e32 v37, 0x7e, v43
; %bb.12663:                            ;   in Loop: Header=BB4_12085 Depth=3
	s_or_b64 exec, exec, s[28:29]
                                        ; implicit-def: $vgpr14
.LBB4_12664:                            ;   in Loop: Header=BB4_12085 Depth=3
	s_andn2_saveexec_b64 s[28:29], s[34:35]
; %bb.12665:                            ;   in Loop: Header=BB4_12085 Depth=3
	v_or_b32_sdwa v37, v14, s68 dst_sel:DWORD dst_unused:UNUSED_PAD src0_sel:BYTE_3 src1_sel:DWORD
; %bb.12666:                            ;   in Loop: Header=BB4_12085 Depth=3
	s_or_b64 exec, exec, s[28:29]
	v_and_b32_e32 v2, 0xff, v36
	v_cmp_ne_u16_e32 vcc, 0, v2
	v_mov_b32_e32 v14, 0
	v_mov_b32_e32 v15, 0
	s_and_saveexec_b64 s[28:29], vcc
	s_cbranch_execz .LBB4_12672
; %bb.12667:                            ;   in Loop: Header=BB4_12085 Depth=3
	v_cmp_ne_u16_e32 vcc, s70, v2
	v_bfrev_b32_e32 v15, 1
	s_and_saveexec_b64 s[34:35], vcc
	s_cbranch_execz .LBB4_12671
; %bb.12668:                            ;   in Loop: Header=BB4_12085 Depth=3
	v_and_b32_e32 v53, 0x7f, v36
	v_cmp_ne_u32_e32 vcc, s68, v53
	v_mov_b32_e32 v15, 0x7f800001
	s_and_saveexec_b64 s[36:37], vcc
	s_cbranch_execz .LBB4_12670
; %bb.12669:                            ;   in Loop: Header=BB4_12085 Depth=3
	v_and_b32_e32 v15, 7, v2
	v_ffbh_u32_e32 v23, v15
	v_min_u32_e32 v23, 32, v23
	v_subrev_u32_e32 v32, 28, v23
	v_lshrrev_b32_e32 v22, 3, v53
	v_cmp_gt_u32_e32 vcc, 8, v53
	v_lshlrev_b64 v[53:54], v32, v[2:3]
	v_sub_u32_e32 v2, 29, v23
	v_and_b32_e32 v23, 7, v53
	v_cndmask_b32_e32 v2, v22, v2, vcc
	v_cndmask_b32_e32 v15, v15, v23, vcc
	v_lshlrev_b32_e32 v22, 24, v36
	v_lshlrev_b32_e32 v15, 20, v15
	v_and_b32_e32 v22, 0x80000000, v22
	v_lshl_add_u32 v2, v2, 23, v5
	v_or3_b32 v15, v22, v2, v15
.LBB4_12670:                            ;   in Loop: Header=BB4_12085 Depth=3
	s_or_b64 exec, exec, s[36:37]
.LBB4_12671:                            ;   in Loop: Header=BB4_12085 Depth=3
	s_or_b64 exec, exec, s[34:35]
.LBB4_12672:                            ;   in Loop: Header=BB4_12085 Depth=3
	s_or_b64 exec, exec, s[28:29]
	v_and_b32_e32 v2, 0xff, v42
	v_cmp_ne_u16_e32 vcc, 0, v2
	s_and_saveexec_b64 s[28:29], vcc
	s_cbranch_execz .LBB4_12678
; %bb.12673:                            ;   in Loop: Header=BB4_12085 Depth=3
	v_cmp_ne_u16_e32 vcc, s70, v2
	v_bfrev_b32_e32 v14, 1
	s_and_saveexec_b64 s[34:35], vcc
	s_cbranch_execz .LBB4_12677
; %bb.12674:                            ;   in Loop: Header=BB4_12085 Depth=3
	v_and_b32_e32 v36, 0x7f, v42
	v_cmp_ne_u32_e32 vcc, s68, v36
	v_mov_b32_e32 v14, 0x7f800001
	s_and_saveexec_b64 s[36:37], vcc
	s_cbranch_execz .LBB4_12676
; %bb.12675:                            ;   in Loop: Header=BB4_12085 Depth=3
	v_and_b32_e32 v14, 7, v2
	v_ffbh_u32_e32 v23, v14
	v_min_u32_e32 v23, 32, v23
	v_subrev_u32_e32 v32, 28, v23
	v_lshlrev_b64 v[53:54], v32, v[2:3]
	v_lshrrev_b32_e32 v22, 3, v36
	v_cmp_gt_u32_e32 vcc, 8, v36
	v_sub_u32_e32 v2, 29, v23
	v_and_b32_e32 v23, 7, v53
	v_cndmask_b32_e32 v2, v22, v2, vcc
	v_cndmask_b32_e32 v14, v14, v23, vcc
	v_lshlrev_b32_e32 v22, 24, v42
	v_lshlrev_b32_e32 v14, 20, v14
	v_and_b32_e32 v22, 0x80000000, v22
	v_lshl_add_u32 v2, v2, 23, v5
	v_or3_b32 v14, v22, v2, v14
.LBB4_12676:                            ;   in Loop: Header=BB4_12085 Depth=3
	s_or_b64 exec, exec, s[36:37]
.LBB4_12677:                            ;   in Loop: Header=BB4_12085 Depth=3
	s_or_b64 exec, exec, s[34:35]
.LBB4_12678:                            ;   in Loop: Header=BB4_12085 Depth=3
	s_or_b64 exec, exec, s[28:29]
	v_add_f32_e32 v14, v15, v14
	v_and_b32_e32 v2, 0x7f800000, v14
	v_cmp_ne_u64_e32 vcc, s[62:63], v[2:3]
                                        ; implicit-def: $vgpr36
	s_and_saveexec_b64 s[28:29], vcc
	s_xor_b64 s[34:35], exec, s[28:29]
	s_cbranch_execz .LBB4_12696
; %bb.12679:                            ;   in Loop: Header=BB4_12085 Depth=3
	v_and_b32_e32 v2, 0x7fffffff, v14
	v_cmp_gt_u64_e32 vcc, s[72:73], v[2:3]
	v_and_b32_sdwa v42, v14, s70 dst_sel:DWORD dst_unused:UNUSED_PAD src0_sel:BYTE_3 src1_sel:DWORD
                                        ; implicit-def: $vgpr36
	s_and_saveexec_b64 s[28:29], vcc
	s_xor_b64 s[36:37], exec, s[28:29]
	s_cbranch_execz .LBB4_12693
; %bb.12680:                            ;   in Loop: Header=BB4_12085 Depth=3
	v_cmp_ne_u32_e32 vcc, 0, v14
	v_mov_b32_e32 v36, 0
	s_and_saveexec_b64 s[38:39], vcc
	s_cbranch_execz .LBB4_12692
; %bb.12681:                            ;   in Loop: Header=BB4_12085 Depth=3
	v_bfe_u32 v36, v14, 23, 8
	v_and_b32_e32 v2, 0x7fffff, v14
	v_cmp_gt_u32_e64 s[28:29], s71, v36
	v_sub_u32_e32 v14, 0x79, v36
	v_cmp_eq_u32_e32 vcc, 0, v36
	v_cndmask_b32_e64 v14, 0, v14, s[28:29]
	v_mov_b32_e32 v22, 0x78
	v_cndmask_b32_e32 v43, v14, v22, vcc
	v_or_b32_e32 v15, 0x800000, v2
	v_add_u32_e32 v14, 20, v43
	v_cndmask_b32_e32 v2, v15, v2, vcc
	v_lshlrev_b64 v[14:15], v14, -1
	v_add_u32_e32 v22, 19, v43
	v_lshlrev_b64 v[53:54], v22, 1
	v_bfi_b32 v15, v15, 0, 0
	v_bfi_b32 v14, v14, 0, v2
	v_cmp_eq_u64_e64 s[28:29], v[14:15], v[53:54]
	v_lshrrev_b64 v[14:15], v43, v[2:3]
	v_mov_b32_e32 v54, v15
	v_mov_b32_e32 v53, v14
	s_and_saveexec_b64 s[48:49], s[28:29]
; %bb.12682:                            ;   in Loop: Header=BB4_12085 Depth=3
	v_bfe_u32 v2, v14, 20, 1
	v_add_co_u32_e64 v2, s[28:29], v14, v2
	v_add_co_u32_e64 v53, s[28:29], -1, v2
; %bb.12683:                            ;   in Loop: Header=BB4_12085 Depth=3
	s_or_b64 exec, exec, s[48:49]
	v_add_u32_e32 v2, 0xffffff81, v36
	v_mov_b32_e32 v15, 0xffffff82
	v_cndmask_b32_e32 v2, v2, v15, vcc
	v_lshrrev_b32_e32 v15, 23, v14
	v_add3_u32 v54, v43, v2, v15
	v_add_u32_e32 v36, 6, v54
	v_and_b32_e32 v2, 0xfffff, v53
	v_add_u32_e32 v2, v2, v14
	v_cmp_ne_u32_e32 vcc, 0, v36
                                        ; implicit-def: $vgpr14_vgpr15
                                        ; implicit-def: $vgpr53
	s_and_saveexec_b64 s[28:29], vcc
	s_xor_b64 s[28:29], exec, s[28:29]
; %bb.12684:                            ;   in Loop: Header=BB4_12085 Depth=3
	v_cmp_lt_u64_e32 vcc, s[74:75], v[2:3]
	v_add_u32_e32 v14, 7, v54
	v_cndmask_b32_e32 v53, v36, v14, vcc
	v_cndmask_b32_e64 v14, 0, 1, vcc
	v_lshrrev_b64 v[14:15], v14, v[2:3]
; %bb.12685:                            ;   in Loop: Header=BB4_12085 Depth=3
	s_andn2_saveexec_b64 s[28:29], s[28:29]
; %bb.12686:                            ;   in Loop: Header=BB4_12085 Depth=3
	v_mov_b32_e32 v15, v3
	v_mov_b32_e32 v14, v2
	v_bfe_u32 v53, v2, 23, 1
; %bb.12687:                            ;   in Loop: Header=BB4_12085 Depth=3
	s_or_b64 exec, exec, s[28:29]
	v_lshrrev_b64 v[14:15], 20, v[14:15]
	v_cmp_gt_i32_e32 vcc, 16, v53
	v_cndmask_b32_e32 v15, 0, v15, vcc
	v_cndmask_b32_e32 v14, 7, v14, vcc
	v_cmp_ne_u64_e32 vcc, 0, v[14:15]
	v_cmp_ne_u32_e64 s[28:29], 0, v53
	s_or_b64 s[28:29], s[28:29], vcc
                                        ; implicit-def: $vgpr36
	s_and_saveexec_b64 s[44:45], s[28:29]
	s_xor_b64 s[28:29], exec, s[44:45]
; %bb.12688:                            ;   in Loop: Header=BB4_12085 Depth=3
	v_min_i32_e32 v2, 15, v53
	v_lshl_or_b32 v2, v2, 3, v42
	v_and_or_b32 v36, v14, 7, v2
                                        ; implicit-def: $vgpr42
; %bb.12689:                            ;   in Loop: Header=BB4_12085 Depth=3
	s_andn2_saveexec_b64 s[28:29], s[28:29]
; %bb.12690:                            ;   in Loop: Header=BB4_12085 Depth=3
	v_mov_b32_e32 v36, v42
; %bb.12691:                            ;   in Loop: Header=BB4_12085 Depth=3
	s_or_b64 exec, exec, s[28:29]
.LBB4_12692:                            ;   in Loop: Header=BB4_12085 Depth=3
	s_or_b64 exec, exec, s[38:39]
                                        ; implicit-def: $vgpr42
.LBB4_12693:                            ;   in Loop: Header=BB4_12085 Depth=3
	s_andn2_saveexec_b64 s[28:29], s[36:37]
; %bb.12694:                            ;   in Loop: Header=BB4_12085 Depth=3
	v_or_b32_e32 v36, 0x7e, v42
; %bb.12695:                            ;   in Loop: Header=BB4_12085 Depth=3
	s_or_b64 exec, exec, s[28:29]
                                        ; implicit-def: $vgpr14
.LBB4_12696:                            ;   in Loop: Header=BB4_12085 Depth=3
	s_andn2_saveexec_b64 s[28:29], s[34:35]
; %bb.12697:                            ;   in Loop: Header=BB4_12085 Depth=3
	v_or_b32_sdwa v36, v14, s68 dst_sel:DWORD dst_unused:UNUSED_PAD src0_sel:BYTE_3 src1_sel:DWORD
; %bb.12698:                            ;   in Loop: Header=BB4_12085 Depth=3
	s_or_b64 exec, exec, s[28:29]
	v_and_b32_e32 v2, 0xff, v35
	v_cmp_ne_u16_e32 vcc, 0, v2
	v_mov_b32_e32 v14, 0
	v_mov_b32_e32 v15, 0
	s_and_saveexec_b64 s[28:29], vcc
	s_cbranch_execz .LBB4_12704
; %bb.12699:                            ;   in Loop: Header=BB4_12085 Depth=3
	v_cmp_ne_u16_e32 vcc, s70, v2
	v_bfrev_b32_e32 v15, 1
	s_and_saveexec_b64 s[34:35], vcc
	s_cbranch_execz .LBB4_12703
; %bb.12700:                            ;   in Loop: Header=BB4_12085 Depth=3
	v_and_b32_e32 v53, 0x7f, v35
	v_cmp_ne_u32_e32 vcc, s68, v53
	v_mov_b32_e32 v15, 0x7f800001
	s_and_saveexec_b64 s[36:37], vcc
	s_cbranch_execz .LBB4_12702
; %bb.12701:                            ;   in Loop: Header=BB4_12085 Depth=3
	v_and_b32_e32 v15, 7, v2
	v_ffbh_u32_e32 v23, v15
	v_min_u32_e32 v23, 32, v23
	v_subrev_u32_e32 v32, 28, v23
	v_lshrrev_b32_e32 v22, 3, v53
	v_cmp_gt_u32_e32 vcc, 8, v53
	v_lshlrev_b64 v[53:54], v32, v[2:3]
	v_sub_u32_e32 v2, 29, v23
	v_and_b32_e32 v23, 7, v53
	v_cndmask_b32_e32 v2, v22, v2, vcc
	v_cndmask_b32_e32 v15, v15, v23, vcc
	v_lshlrev_b32_e32 v22, 24, v35
	v_lshlrev_b32_e32 v15, 20, v15
	v_and_b32_e32 v22, 0x80000000, v22
	v_lshl_add_u32 v2, v2, 23, v5
	v_or3_b32 v15, v22, v2, v15
.LBB4_12702:                            ;   in Loop: Header=BB4_12085 Depth=3
	s_or_b64 exec, exec, s[36:37]
.LBB4_12703:                            ;   in Loop: Header=BB4_12085 Depth=3
	s_or_b64 exec, exec, s[34:35]
.LBB4_12704:                            ;   in Loop: Header=BB4_12085 Depth=3
	s_or_b64 exec, exec, s[28:29]
	v_and_b32_e32 v2, 0xff, v41
	v_cmp_ne_u16_e32 vcc, 0, v2
	s_and_saveexec_b64 s[28:29], vcc
	s_cbranch_execz .LBB4_12710
; %bb.12705:                            ;   in Loop: Header=BB4_12085 Depth=3
	v_cmp_ne_u16_e32 vcc, s70, v2
	v_bfrev_b32_e32 v14, 1
	s_and_saveexec_b64 s[34:35], vcc
	s_cbranch_execz .LBB4_12709
; %bb.12706:                            ;   in Loop: Header=BB4_12085 Depth=3
	v_and_b32_e32 v35, 0x7f, v41
	v_cmp_ne_u32_e32 vcc, s68, v35
	v_mov_b32_e32 v14, 0x7f800001
	s_and_saveexec_b64 s[36:37], vcc
	s_cbranch_execz .LBB4_12708
; %bb.12707:                            ;   in Loop: Header=BB4_12085 Depth=3
	v_and_b32_e32 v14, 7, v2
	v_ffbh_u32_e32 v23, v14
	v_min_u32_e32 v23, 32, v23
	v_subrev_u32_e32 v32, 28, v23
	v_lshlrev_b64 v[53:54], v32, v[2:3]
	v_lshrrev_b32_e32 v22, 3, v35
	v_cmp_gt_u32_e32 vcc, 8, v35
	v_sub_u32_e32 v2, 29, v23
	v_and_b32_e32 v23, 7, v53
	v_cndmask_b32_e32 v2, v22, v2, vcc
	v_cndmask_b32_e32 v14, v14, v23, vcc
	v_lshlrev_b32_e32 v22, 24, v41
	v_lshlrev_b32_e32 v14, 20, v14
	v_and_b32_e32 v22, 0x80000000, v22
	v_lshl_add_u32 v2, v2, 23, v5
	v_or3_b32 v14, v22, v2, v14
.LBB4_12708:                            ;   in Loop: Header=BB4_12085 Depth=3
	s_or_b64 exec, exec, s[36:37]
.LBB4_12709:                            ;   in Loop: Header=BB4_12085 Depth=3
	s_or_b64 exec, exec, s[34:35]
.LBB4_12710:                            ;   in Loop: Header=BB4_12085 Depth=3
	s_or_b64 exec, exec, s[28:29]
	v_add_f32_e32 v14, v15, v14
	v_and_b32_e32 v2, 0x7f800000, v14
	v_cmp_ne_u64_e32 vcc, s[62:63], v[2:3]
                                        ; implicit-def: $vgpr35
	s_and_saveexec_b64 s[28:29], vcc
	s_xor_b64 s[34:35], exec, s[28:29]
	s_cbranch_execz .LBB4_12728
; %bb.12711:                            ;   in Loop: Header=BB4_12085 Depth=3
	v_and_b32_e32 v2, 0x7fffffff, v14
	v_cmp_gt_u64_e32 vcc, s[72:73], v[2:3]
	v_and_b32_sdwa v41, v14, s70 dst_sel:DWORD dst_unused:UNUSED_PAD src0_sel:BYTE_3 src1_sel:DWORD
                                        ; implicit-def: $vgpr35
	s_and_saveexec_b64 s[28:29], vcc
	s_xor_b64 s[36:37], exec, s[28:29]
	s_cbranch_execz .LBB4_12725
; %bb.12712:                            ;   in Loop: Header=BB4_12085 Depth=3
	v_cmp_ne_u32_e32 vcc, 0, v14
	v_mov_b32_e32 v35, 0
	s_and_saveexec_b64 s[38:39], vcc
	s_cbranch_execz .LBB4_12724
; %bb.12713:                            ;   in Loop: Header=BB4_12085 Depth=3
	v_bfe_u32 v35, v14, 23, 8
	v_and_b32_e32 v2, 0x7fffff, v14
	v_cmp_gt_u32_e64 s[28:29], s71, v35
	v_sub_u32_e32 v14, 0x79, v35
	v_cmp_eq_u32_e32 vcc, 0, v35
	v_cndmask_b32_e64 v14, 0, v14, s[28:29]
	v_mov_b32_e32 v22, 0x78
	v_cndmask_b32_e32 v42, v14, v22, vcc
	v_or_b32_e32 v15, 0x800000, v2
	v_add_u32_e32 v14, 20, v42
	v_cndmask_b32_e32 v2, v15, v2, vcc
	v_lshlrev_b64 v[14:15], v14, -1
	v_add_u32_e32 v22, 19, v42
	v_lshlrev_b64 v[53:54], v22, 1
	v_bfi_b32 v15, v15, 0, 0
	v_bfi_b32 v14, v14, 0, v2
	v_cmp_eq_u64_e64 s[28:29], v[14:15], v[53:54]
	v_lshrrev_b64 v[14:15], v42, v[2:3]
	v_mov_b32_e32 v54, v15
	v_mov_b32_e32 v53, v14
	s_and_saveexec_b64 s[48:49], s[28:29]
; %bb.12714:                            ;   in Loop: Header=BB4_12085 Depth=3
	v_bfe_u32 v2, v14, 20, 1
	v_add_co_u32_e64 v2, s[28:29], v14, v2
	v_add_co_u32_e64 v53, s[28:29], -1, v2
; %bb.12715:                            ;   in Loop: Header=BB4_12085 Depth=3
	s_or_b64 exec, exec, s[48:49]
	v_add_u32_e32 v2, 0xffffff81, v35
	v_mov_b32_e32 v15, 0xffffff82
	v_cndmask_b32_e32 v2, v2, v15, vcc
	v_lshrrev_b32_e32 v15, 23, v14
	v_add3_u32 v54, v42, v2, v15
	v_add_u32_e32 v35, 6, v54
	v_and_b32_e32 v2, 0xfffff, v53
	v_add_u32_e32 v2, v2, v14
	v_cmp_ne_u32_e32 vcc, 0, v35
                                        ; implicit-def: $vgpr14_vgpr15
                                        ; implicit-def: $vgpr53
	s_and_saveexec_b64 s[28:29], vcc
	s_xor_b64 s[28:29], exec, s[28:29]
; %bb.12716:                            ;   in Loop: Header=BB4_12085 Depth=3
	v_cmp_lt_u64_e32 vcc, s[74:75], v[2:3]
	v_add_u32_e32 v14, 7, v54
	v_cndmask_b32_e32 v53, v35, v14, vcc
	v_cndmask_b32_e64 v14, 0, 1, vcc
	v_lshrrev_b64 v[14:15], v14, v[2:3]
; %bb.12717:                            ;   in Loop: Header=BB4_12085 Depth=3
	s_andn2_saveexec_b64 s[28:29], s[28:29]
; %bb.12718:                            ;   in Loop: Header=BB4_12085 Depth=3
	v_mov_b32_e32 v15, v3
	v_mov_b32_e32 v14, v2
	v_bfe_u32 v53, v2, 23, 1
; %bb.12719:                            ;   in Loop: Header=BB4_12085 Depth=3
	s_or_b64 exec, exec, s[28:29]
	v_lshrrev_b64 v[14:15], 20, v[14:15]
	v_cmp_gt_i32_e32 vcc, 16, v53
	v_cndmask_b32_e32 v15, 0, v15, vcc
	v_cndmask_b32_e32 v14, 7, v14, vcc
	v_cmp_ne_u64_e32 vcc, 0, v[14:15]
	v_cmp_ne_u32_e64 s[28:29], 0, v53
	s_or_b64 s[28:29], s[28:29], vcc
                                        ; implicit-def: $vgpr35
	s_and_saveexec_b64 s[44:45], s[28:29]
	s_xor_b64 s[28:29], exec, s[44:45]
; %bb.12720:                            ;   in Loop: Header=BB4_12085 Depth=3
	v_min_i32_e32 v2, 15, v53
	v_lshl_or_b32 v2, v2, 3, v41
	v_and_or_b32 v35, v14, 7, v2
                                        ; implicit-def: $vgpr41
; %bb.12721:                            ;   in Loop: Header=BB4_12085 Depth=3
	s_andn2_saveexec_b64 s[28:29], s[28:29]
; %bb.12722:                            ;   in Loop: Header=BB4_12085 Depth=3
	v_mov_b32_e32 v35, v41
; %bb.12723:                            ;   in Loop: Header=BB4_12085 Depth=3
	s_or_b64 exec, exec, s[28:29]
.LBB4_12724:                            ;   in Loop: Header=BB4_12085 Depth=3
	s_or_b64 exec, exec, s[38:39]
                                        ; implicit-def: $vgpr41
.LBB4_12725:                            ;   in Loop: Header=BB4_12085 Depth=3
	s_andn2_saveexec_b64 s[28:29], s[36:37]
; %bb.12726:                            ;   in Loop: Header=BB4_12085 Depth=3
	v_or_b32_e32 v35, 0x7e, v41
; %bb.12727:                            ;   in Loop: Header=BB4_12085 Depth=3
	s_or_b64 exec, exec, s[28:29]
                                        ; implicit-def: $vgpr14
.LBB4_12728:                            ;   in Loop: Header=BB4_12085 Depth=3
	s_andn2_saveexec_b64 s[28:29], s[34:35]
; %bb.12729:                            ;   in Loop: Header=BB4_12085 Depth=3
	v_or_b32_sdwa v35, v14, s68 dst_sel:DWORD dst_unused:UNUSED_PAD src0_sel:BYTE_3 src1_sel:DWORD
; %bb.12730:                            ;   in Loop: Header=BB4_12085 Depth=3
	s_or_b64 exec, exec, s[28:29]
	v_and_b32_e32 v2, 0xff, v34
	v_cmp_ne_u16_e32 vcc, 0, v2
	v_mov_b32_e32 v14, 0
	v_mov_b32_e32 v15, 0
	s_and_saveexec_b64 s[28:29], vcc
	s_cbranch_execz .LBB4_12736
; %bb.12731:                            ;   in Loop: Header=BB4_12085 Depth=3
	v_cmp_ne_u16_e32 vcc, s70, v2
	v_bfrev_b32_e32 v15, 1
	s_and_saveexec_b64 s[34:35], vcc
	s_cbranch_execz .LBB4_12735
; %bb.12732:                            ;   in Loop: Header=BB4_12085 Depth=3
	v_and_b32_e32 v53, 0x7f, v34
	v_cmp_ne_u32_e32 vcc, s68, v53
	v_mov_b32_e32 v15, 0x7f800001
	s_and_saveexec_b64 s[36:37], vcc
	s_cbranch_execz .LBB4_12734
; %bb.12733:                            ;   in Loop: Header=BB4_12085 Depth=3
	v_and_b32_e32 v15, 7, v2
	v_ffbh_u32_e32 v23, v15
	v_min_u32_e32 v23, 32, v23
	v_subrev_u32_e32 v32, 28, v23
	v_lshrrev_b32_e32 v22, 3, v53
	v_cmp_gt_u32_e32 vcc, 8, v53
	v_lshlrev_b64 v[53:54], v32, v[2:3]
	v_sub_u32_e32 v2, 29, v23
	v_and_b32_e32 v23, 7, v53
	v_cndmask_b32_e32 v2, v22, v2, vcc
	v_cndmask_b32_e32 v15, v15, v23, vcc
	v_lshlrev_b32_e32 v22, 24, v34
	v_lshlrev_b32_e32 v15, 20, v15
	v_and_b32_e32 v22, 0x80000000, v22
	v_lshl_add_u32 v2, v2, 23, v5
	v_or3_b32 v15, v22, v2, v15
.LBB4_12734:                            ;   in Loop: Header=BB4_12085 Depth=3
	s_or_b64 exec, exec, s[36:37]
.LBB4_12735:                            ;   in Loop: Header=BB4_12085 Depth=3
	s_or_b64 exec, exec, s[34:35]
.LBB4_12736:                            ;   in Loop: Header=BB4_12085 Depth=3
	s_or_b64 exec, exec, s[28:29]
	v_and_b32_e32 v2, 0xff, v40
	v_cmp_ne_u16_e32 vcc, 0, v2
	s_and_saveexec_b64 s[28:29], vcc
	s_cbranch_execz .LBB4_12742
; %bb.12737:                            ;   in Loop: Header=BB4_12085 Depth=3
	v_cmp_ne_u16_e32 vcc, s70, v2
	v_bfrev_b32_e32 v14, 1
	s_and_saveexec_b64 s[34:35], vcc
	s_cbranch_execz .LBB4_12741
; %bb.12738:                            ;   in Loop: Header=BB4_12085 Depth=3
	v_and_b32_e32 v34, 0x7f, v40
	v_cmp_ne_u32_e32 vcc, s68, v34
	v_mov_b32_e32 v14, 0x7f800001
	s_and_saveexec_b64 s[36:37], vcc
	s_cbranch_execz .LBB4_12740
; %bb.12739:                            ;   in Loop: Header=BB4_12085 Depth=3
	v_and_b32_e32 v14, 7, v2
	v_ffbh_u32_e32 v23, v14
	v_min_u32_e32 v23, 32, v23
	v_subrev_u32_e32 v32, 28, v23
	v_lshlrev_b64 v[53:54], v32, v[2:3]
	v_lshrrev_b32_e32 v22, 3, v34
	v_cmp_gt_u32_e32 vcc, 8, v34
	v_sub_u32_e32 v2, 29, v23
	v_and_b32_e32 v23, 7, v53
	v_cndmask_b32_e32 v2, v22, v2, vcc
	v_cndmask_b32_e32 v14, v14, v23, vcc
	v_lshlrev_b32_e32 v22, 24, v40
	v_lshlrev_b32_e32 v14, 20, v14
	v_and_b32_e32 v22, 0x80000000, v22
	v_lshl_add_u32 v2, v2, 23, v5
	v_or3_b32 v14, v22, v2, v14
.LBB4_12740:                            ;   in Loop: Header=BB4_12085 Depth=3
	s_or_b64 exec, exec, s[36:37]
.LBB4_12741:                            ;   in Loop: Header=BB4_12085 Depth=3
	s_or_b64 exec, exec, s[34:35]
.LBB4_12742:                            ;   in Loop: Header=BB4_12085 Depth=3
	s_or_b64 exec, exec, s[28:29]
	v_add_f32_e32 v14, v15, v14
	v_and_b32_e32 v2, 0x7f800000, v14
	v_cmp_ne_u64_e32 vcc, s[62:63], v[2:3]
                                        ; implicit-def: $vgpr34
	s_and_saveexec_b64 s[28:29], vcc
	s_xor_b64 s[34:35], exec, s[28:29]
	s_cbranch_execz .LBB4_12760
; %bb.12743:                            ;   in Loop: Header=BB4_12085 Depth=3
	v_and_b32_e32 v2, 0x7fffffff, v14
	v_cmp_gt_u64_e32 vcc, s[72:73], v[2:3]
	v_and_b32_sdwa v40, v14, s70 dst_sel:DWORD dst_unused:UNUSED_PAD src0_sel:BYTE_3 src1_sel:DWORD
                                        ; implicit-def: $vgpr34
	s_and_saveexec_b64 s[28:29], vcc
	s_xor_b64 s[36:37], exec, s[28:29]
	s_cbranch_execz .LBB4_12757
; %bb.12744:                            ;   in Loop: Header=BB4_12085 Depth=3
	v_cmp_ne_u32_e32 vcc, 0, v14
	v_mov_b32_e32 v34, 0
	s_and_saveexec_b64 s[38:39], vcc
	s_cbranch_execz .LBB4_12756
; %bb.12745:                            ;   in Loop: Header=BB4_12085 Depth=3
	v_bfe_u32 v34, v14, 23, 8
	v_and_b32_e32 v2, 0x7fffff, v14
	v_cmp_gt_u32_e64 s[28:29], s71, v34
	v_sub_u32_e32 v14, 0x79, v34
	v_cmp_eq_u32_e32 vcc, 0, v34
	v_cndmask_b32_e64 v14, 0, v14, s[28:29]
	v_mov_b32_e32 v22, 0x78
	v_cndmask_b32_e32 v41, v14, v22, vcc
	v_or_b32_e32 v15, 0x800000, v2
	v_add_u32_e32 v14, 20, v41
	v_cndmask_b32_e32 v2, v15, v2, vcc
	v_lshlrev_b64 v[14:15], v14, -1
	v_add_u32_e32 v22, 19, v41
	v_lshlrev_b64 v[53:54], v22, 1
	v_bfi_b32 v15, v15, 0, 0
	v_bfi_b32 v14, v14, 0, v2
	v_cmp_eq_u64_e64 s[28:29], v[14:15], v[53:54]
	v_lshrrev_b64 v[14:15], v41, v[2:3]
	v_mov_b32_e32 v54, v15
	v_mov_b32_e32 v53, v14
	s_and_saveexec_b64 s[48:49], s[28:29]
; %bb.12746:                            ;   in Loop: Header=BB4_12085 Depth=3
	v_bfe_u32 v2, v14, 20, 1
	v_add_co_u32_e64 v2, s[28:29], v14, v2
	v_add_co_u32_e64 v53, s[28:29], -1, v2
; %bb.12747:                            ;   in Loop: Header=BB4_12085 Depth=3
	s_or_b64 exec, exec, s[48:49]
	v_add_u32_e32 v2, 0xffffff81, v34
	v_mov_b32_e32 v15, 0xffffff82
	v_cndmask_b32_e32 v2, v2, v15, vcc
	v_lshrrev_b32_e32 v15, 23, v14
	v_add3_u32 v54, v41, v2, v15
	v_add_u32_e32 v34, 6, v54
	v_and_b32_e32 v2, 0xfffff, v53
	v_add_u32_e32 v2, v2, v14
	v_cmp_ne_u32_e32 vcc, 0, v34
                                        ; implicit-def: $vgpr14_vgpr15
                                        ; implicit-def: $vgpr53
	s_and_saveexec_b64 s[28:29], vcc
	s_xor_b64 s[28:29], exec, s[28:29]
; %bb.12748:                            ;   in Loop: Header=BB4_12085 Depth=3
	v_cmp_lt_u64_e32 vcc, s[74:75], v[2:3]
	v_add_u32_e32 v14, 7, v54
	v_cndmask_b32_e32 v53, v34, v14, vcc
	v_cndmask_b32_e64 v14, 0, 1, vcc
	v_lshrrev_b64 v[14:15], v14, v[2:3]
; %bb.12749:                            ;   in Loop: Header=BB4_12085 Depth=3
	s_andn2_saveexec_b64 s[28:29], s[28:29]
; %bb.12750:                            ;   in Loop: Header=BB4_12085 Depth=3
	v_mov_b32_e32 v15, v3
	v_mov_b32_e32 v14, v2
	v_bfe_u32 v53, v2, 23, 1
; %bb.12751:                            ;   in Loop: Header=BB4_12085 Depth=3
	s_or_b64 exec, exec, s[28:29]
	v_lshrrev_b64 v[14:15], 20, v[14:15]
	v_cmp_gt_i32_e32 vcc, 16, v53
	v_cndmask_b32_e32 v15, 0, v15, vcc
	v_cndmask_b32_e32 v14, 7, v14, vcc
	v_cmp_ne_u64_e32 vcc, 0, v[14:15]
	v_cmp_ne_u32_e64 s[28:29], 0, v53
	s_or_b64 s[28:29], s[28:29], vcc
                                        ; implicit-def: $vgpr34
	s_and_saveexec_b64 s[44:45], s[28:29]
	s_xor_b64 s[28:29], exec, s[44:45]
; %bb.12752:                            ;   in Loop: Header=BB4_12085 Depth=3
	v_min_i32_e32 v2, 15, v53
	v_lshl_or_b32 v2, v2, 3, v40
	v_and_or_b32 v34, v14, 7, v2
                                        ; implicit-def: $vgpr40
; %bb.12753:                            ;   in Loop: Header=BB4_12085 Depth=3
	s_andn2_saveexec_b64 s[28:29], s[28:29]
; %bb.12754:                            ;   in Loop: Header=BB4_12085 Depth=3
	v_mov_b32_e32 v34, v40
; %bb.12755:                            ;   in Loop: Header=BB4_12085 Depth=3
	s_or_b64 exec, exec, s[28:29]
.LBB4_12756:                            ;   in Loop: Header=BB4_12085 Depth=3
	s_or_b64 exec, exec, s[38:39]
                                        ; implicit-def: $vgpr40
.LBB4_12757:                            ;   in Loop: Header=BB4_12085 Depth=3
	s_andn2_saveexec_b64 s[28:29], s[36:37]
; %bb.12758:                            ;   in Loop: Header=BB4_12085 Depth=3
	v_or_b32_e32 v34, 0x7e, v40
; %bb.12759:                            ;   in Loop: Header=BB4_12085 Depth=3
	s_or_b64 exec, exec, s[28:29]
                                        ; implicit-def: $vgpr14
.LBB4_12760:                            ;   in Loop: Header=BB4_12085 Depth=3
	s_andn2_saveexec_b64 s[28:29], s[34:35]
; %bb.12761:                            ;   in Loop: Header=BB4_12085 Depth=3
	v_or_b32_sdwa v34, v14, s68 dst_sel:DWORD dst_unused:UNUSED_PAD src0_sel:BYTE_3 src1_sel:DWORD
; %bb.12762:                            ;   in Loop: Header=BB4_12085 Depth=3
	s_or_b64 exec, exec, s[28:29]
	v_and_b32_e32 v2, 0xff, v31
	v_cmp_ne_u16_e32 vcc, 0, v2
	v_mov_b32_e32 v14, 0
	v_mov_b32_e32 v15, 0
	s_and_saveexec_b64 s[28:29], vcc
	s_cbranch_execz .LBB4_12768
; %bb.12763:                            ;   in Loop: Header=BB4_12085 Depth=3
	v_cmp_ne_u16_e32 vcc, s70, v2
	v_bfrev_b32_e32 v15, 1
	s_and_saveexec_b64 s[34:35], vcc
	s_cbranch_execz .LBB4_12767
; %bb.12764:                            ;   in Loop: Header=BB4_12085 Depth=3
	v_and_b32_e32 v53, 0x7f, v31
	v_cmp_ne_u32_e32 vcc, s68, v53
	v_mov_b32_e32 v15, 0x7f800001
	s_and_saveexec_b64 s[36:37], vcc
	s_cbranch_execz .LBB4_12766
; %bb.12765:                            ;   in Loop: Header=BB4_12085 Depth=3
	v_and_b32_e32 v15, 7, v2
	v_ffbh_u32_e32 v23, v15
	v_min_u32_e32 v23, 32, v23
	v_subrev_u32_e32 v32, 28, v23
	v_lshrrev_b32_e32 v22, 3, v53
	v_cmp_gt_u32_e32 vcc, 8, v53
	v_lshlrev_b64 v[53:54], v32, v[2:3]
	v_sub_u32_e32 v2, 29, v23
	v_and_b32_e32 v23, 7, v53
	v_cndmask_b32_e32 v2, v22, v2, vcc
	v_cndmask_b32_e32 v15, v15, v23, vcc
	v_lshlrev_b32_e32 v22, 24, v31
	v_lshlrev_b32_e32 v15, 20, v15
	v_and_b32_e32 v22, 0x80000000, v22
	v_lshl_add_u32 v2, v2, 23, v5
	v_or3_b32 v15, v22, v2, v15
.LBB4_12766:                            ;   in Loop: Header=BB4_12085 Depth=3
	s_or_b64 exec, exec, s[36:37]
.LBB4_12767:                            ;   in Loop: Header=BB4_12085 Depth=3
	s_or_b64 exec, exec, s[34:35]
.LBB4_12768:                            ;   in Loop: Header=BB4_12085 Depth=3
	s_or_b64 exec, exec, s[28:29]
	v_and_b32_e32 v2, 0xff, v55
	v_cmp_ne_u16_e32 vcc, 0, v2
	s_and_saveexec_b64 s[28:29], vcc
	s_cbranch_execz .LBB4_12774
; %bb.12769:                            ;   in Loop: Header=BB4_12085 Depth=3
	v_cmp_ne_u16_e32 vcc, s70, v2
	v_bfrev_b32_e32 v14, 1
	s_and_saveexec_b64 s[34:35], vcc
	s_cbranch_execz .LBB4_12773
; %bb.12770:                            ;   in Loop: Header=BB4_12085 Depth=3
	v_and_b32_e32 v31, 0x7f, v55
	v_cmp_ne_u32_e32 vcc, s68, v31
	v_mov_b32_e32 v14, 0x7f800001
	s_and_saveexec_b64 s[36:37], vcc
	s_cbranch_execz .LBB4_12772
; %bb.12771:                            ;   in Loop: Header=BB4_12085 Depth=3
	v_and_b32_e32 v14, 7, v2
	v_ffbh_u32_e32 v23, v14
	v_min_u32_e32 v23, 32, v23
	v_lshrrev_b32_e32 v22, 3, v31
	v_cmp_gt_u32_e32 vcc, 8, v31
	v_subrev_u32_e32 v31, 28, v23
	v_lshlrev_b64 v[53:54], v31, v[2:3]
	v_sub_u32_e32 v2, 29, v23
	v_and_b32_e32 v23, 7, v53
	v_cndmask_b32_e32 v2, v22, v2, vcc
	v_cndmask_b32_e32 v14, v14, v23, vcc
	v_lshlrev_b32_e32 v22, 24, v55
	v_lshlrev_b32_e32 v14, 20, v14
	v_and_b32_e32 v22, 0x80000000, v22
	v_lshl_add_u32 v2, v2, 23, v5
	v_or3_b32 v14, v22, v2, v14
.LBB4_12772:                            ;   in Loop: Header=BB4_12085 Depth=3
	s_or_b64 exec, exec, s[36:37]
.LBB4_12773:                            ;   in Loop: Header=BB4_12085 Depth=3
	s_or_b64 exec, exec, s[34:35]
.LBB4_12774:                            ;   in Loop: Header=BB4_12085 Depth=3
	s_or_b64 exec, exec, s[28:29]
	v_add_f32_e32 v14, v15, v14
	v_and_b32_e32 v2, 0x7f800000, v14
	v_cmp_ne_u64_e32 vcc, s[62:63], v[2:3]
                                        ; implicit-def: $vgpr31
	s_and_saveexec_b64 s[28:29], vcc
	s_xor_b64 s[34:35], exec, s[28:29]
	s_cbranch_execz .LBB4_12792
; %bb.12775:                            ;   in Loop: Header=BB4_12085 Depth=3
	v_and_b32_e32 v2, 0x7fffffff, v14
	v_cmp_gt_u64_e32 vcc, s[72:73], v[2:3]
	v_and_b32_sdwa v55, v14, s70 dst_sel:DWORD dst_unused:UNUSED_PAD src0_sel:BYTE_3 src1_sel:DWORD
                                        ; implicit-def: $vgpr31
	s_and_saveexec_b64 s[28:29], vcc
	s_xor_b64 s[36:37], exec, s[28:29]
	s_cbranch_execz .LBB4_12789
; %bb.12776:                            ;   in Loop: Header=BB4_12085 Depth=3
	v_cmp_ne_u32_e32 vcc, 0, v14
	v_mov_b32_e32 v31, 0
	s_and_saveexec_b64 s[38:39], vcc
	s_cbranch_execz .LBB4_12788
; %bb.12777:                            ;   in Loop: Header=BB4_12085 Depth=3
	v_bfe_u32 v31, v14, 23, 8
	v_and_b32_e32 v2, 0x7fffff, v14
	v_cmp_gt_u32_e64 s[28:29], s71, v31
	v_sub_u32_e32 v14, 0x79, v31
	v_cmp_eq_u32_e32 vcc, 0, v31
	v_cndmask_b32_e64 v14, 0, v14, s[28:29]
	v_mov_b32_e32 v22, 0x78
	v_cndmask_b32_e32 v40, v14, v22, vcc
	v_or_b32_e32 v15, 0x800000, v2
	v_add_u32_e32 v14, 20, v40
	v_cndmask_b32_e32 v2, v15, v2, vcc
	v_lshlrev_b64 v[14:15], v14, -1
	v_add_u32_e32 v22, 19, v40
	v_lshlrev_b64 v[53:54], v22, 1
	v_bfi_b32 v15, v15, 0, 0
	v_bfi_b32 v14, v14, 0, v2
	v_cmp_eq_u64_e64 s[28:29], v[14:15], v[53:54]
	v_lshrrev_b64 v[14:15], v40, v[2:3]
	v_mov_b32_e32 v54, v15
	v_mov_b32_e32 v53, v14
	s_and_saveexec_b64 s[48:49], s[28:29]
; %bb.12778:                            ;   in Loop: Header=BB4_12085 Depth=3
	v_bfe_u32 v2, v14, 20, 1
	v_add_co_u32_e64 v2, s[28:29], v14, v2
	v_add_co_u32_e64 v53, s[28:29], -1, v2
; %bb.12779:                            ;   in Loop: Header=BB4_12085 Depth=3
	s_or_b64 exec, exec, s[48:49]
	v_add_u32_e32 v2, 0xffffff81, v31
	v_mov_b32_e32 v15, 0xffffff82
	v_cndmask_b32_e32 v2, v2, v15, vcc
	v_lshrrev_b32_e32 v15, 23, v14
	v_add3_u32 v54, v40, v2, v15
	v_add_u32_e32 v31, 6, v54
	v_and_b32_e32 v2, 0xfffff, v53
	v_add_u32_e32 v2, v2, v14
	v_cmp_ne_u32_e32 vcc, 0, v31
                                        ; implicit-def: $vgpr14_vgpr15
                                        ; implicit-def: $vgpr53
	s_and_saveexec_b64 s[28:29], vcc
	s_xor_b64 s[28:29], exec, s[28:29]
; %bb.12780:                            ;   in Loop: Header=BB4_12085 Depth=3
	v_cmp_lt_u64_e32 vcc, s[74:75], v[2:3]
	v_add_u32_e32 v14, 7, v54
	v_cndmask_b32_e32 v53, v31, v14, vcc
	v_cndmask_b32_e64 v14, 0, 1, vcc
	v_lshrrev_b64 v[14:15], v14, v[2:3]
; %bb.12781:                            ;   in Loop: Header=BB4_12085 Depth=3
	s_andn2_saveexec_b64 s[28:29], s[28:29]
; %bb.12782:                            ;   in Loop: Header=BB4_12085 Depth=3
	v_mov_b32_e32 v15, v3
	v_mov_b32_e32 v14, v2
	v_bfe_u32 v53, v2, 23, 1
; %bb.12783:                            ;   in Loop: Header=BB4_12085 Depth=3
	s_or_b64 exec, exec, s[28:29]
	v_lshrrev_b64 v[14:15], 20, v[14:15]
	v_cmp_gt_i32_e32 vcc, 16, v53
	v_cndmask_b32_e32 v15, 0, v15, vcc
	v_cndmask_b32_e32 v14, 7, v14, vcc
	v_cmp_ne_u64_e32 vcc, 0, v[14:15]
	v_cmp_ne_u32_e64 s[28:29], 0, v53
	s_or_b64 s[28:29], s[28:29], vcc
                                        ; implicit-def: $vgpr31
	s_and_saveexec_b64 s[44:45], s[28:29]
	s_xor_b64 s[28:29], exec, s[44:45]
; %bb.12784:                            ;   in Loop: Header=BB4_12085 Depth=3
	v_min_i32_e32 v2, 15, v53
	v_lshl_or_b32 v2, v2, 3, v55
	v_and_or_b32 v31, v14, 7, v2
                                        ; implicit-def: $vgpr55
; %bb.12785:                            ;   in Loop: Header=BB4_12085 Depth=3
	s_andn2_saveexec_b64 s[28:29], s[28:29]
; %bb.12786:                            ;   in Loop: Header=BB4_12085 Depth=3
	v_mov_b32_e32 v31, v55
; %bb.12787:                            ;   in Loop: Header=BB4_12085 Depth=3
	s_or_b64 exec, exec, s[28:29]
.LBB4_12788:                            ;   in Loop: Header=BB4_12085 Depth=3
	s_or_b64 exec, exec, s[38:39]
                                        ; implicit-def: $vgpr55
.LBB4_12789:                            ;   in Loop: Header=BB4_12085 Depth=3
	s_andn2_saveexec_b64 s[28:29], s[36:37]
; %bb.12790:                            ;   in Loop: Header=BB4_12085 Depth=3
	v_or_b32_e32 v31, 0x7e, v55
; %bb.12791:                            ;   in Loop: Header=BB4_12085 Depth=3
	s_or_b64 exec, exec, s[28:29]
                                        ; implicit-def: $vgpr14
.LBB4_12792:                            ;   in Loop: Header=BB4_12085 Depth=3
	s_andn2_saveexec_b64 s[28:29], s[34:35]
; %bb.12793:                            ;   in Loop: Header=BB4_12085 Depth=3
	v_or_b32_sdwa v31, v14, s68 dst_sel:DWORD dst_unused:UNUSED_PAD src0_sel:BYTE_3 src1_sel:DWORD
; %bb.12794:                            ;   in Loop: Header=BB4_12085 Depth=3
	s_or_b64 exec, exec, s[28:29]
	v_and_b32_e32 v2, 0xff, v28
	v_cmp_ne_u16_e32 vcc, 0, v2
	v_mov_b32_e32 v14, 0
	v_mov_b32_e32 v15, 0
	s_and_saveexec_b64 s[28:29], vcc
	s_cbranch_execz .LBB4_12800
; %bb.12795:                            ;   in Loop: Header=BB4_12085 Depth=3
	v_cmp_ne_u16_e32 vcc, s70, v2
	v_bfrev_b32_e32 v15, 1
	s_and_saveexec_b64 s[34:35], vcc
	s_cbranch_execz .LBB4_12799
; %bb.12796:                            ;   in Loop: Header=BB4_12085 Depth=3
	v_and_b32_e32 v53, 0x7f, v28
	v_cmp_ne_u32_e32 vcc, s68, v53
	v_mov_b32_e32 v15, 0x7f800001
	s_and_saveexec_b64 s[36:37], vcc
	s_cbranch_execz .LBB4_12798
; %bb.12797:                            ;   in Loop: Header=BB4_12085 Depth=3
	v_and_b32_e32 v15, 7, v2
	v_ffbh_u32_e32 v23, v15
	v_min_u32_e32 v23, 32, v23
	v_subrev_u32_e32 v32, 28, v23
	v_lshrrev_b32_e32 v22, 3, v53
	v_cmp_gt_u32_e32 vcc, 8, v53
	v_lshlrev_b64 v[53:54], v32, v[2:3]
	v_sub_u32_e32 v2, 29, v23
	v_and_b32_e32 v23, 7, v53
	v_cndmask_b32_e32 v2, v22, v2, vcc
	v_cndmask_b32_e32 v15, v15, v23, vcc
	v_lshlrev_b32_e32 v22, 24, v28
	v_lshlrev_b32_e32 v15, 20, v15
	v_and_b32_e32 v22, 0x80000000, v22
	v_lshl_add_u32 v2, v2, 23, v5
	v_or3_b32 v15, v22, v2, v15
.LBB4_12798:                            ;   in Loop: Header=BB4_12085 Depth=3
	s_or_b64 exec, exec, s[36:37]
.LBB4_12799:                            ;   in Loop: Header=BB4_12085 Depth=3
	s_or_b64 exec, exec, s[34:35]
.LBB4_12800:                            ;   in Loop: Header=BB4_12085 Depth=3
	s_or_b64 exec, exec, s[28:29]
	v_and_b32_e32 v2, 0xff, v52
	v_cmp_ne_u16_e32 vcc, 0, v2
	s_and_saveexec_b64 s[28:29], vcc
	s_cbranch_execz .LBB4_12806
; %bb.12801:                            ;   in Loop: Header=BB4_12085 Depth=3
	v_cmp_ne_u16_e32 vcc, s70, v2
	v_bfrev_b32_e32 v14, 1
	s_and_saveexec_b64 s[34:35], vcc
	s_cbranch_execz .LBB4_12805
; %bb.12802:                            ;   in Loop: Header=BB4_12085 Depth=3
	v_and_b32_e32 v28, 0x7f, v52
	v_cmp_ne_u32_e32 vcc, s68, v28
	v_mov_b32_e32 v14, 0x7f800001
	s_and_saveexec_b64 s[36:37], vcc
	s_cbranch_execz .LBB4_12804
; %bb.12803:                            ;   in Loop: Header=BB4_12085 Depth=3
	v_and_b32_e32 v14, 7, v2
	v_ffbh_u32_e32 v23, v14
	v_min_u32_e32 v23, 32, v23
	v_lshrrev_b32_e32 v22, 3, v28
	v_cmp_gt_u32_e32 vcc, 8, v28
	v_subrev_u32_e32 v28, 28, v23
	v_lshlrev_b64 v[53:54], v28, v[2:3]
	v_sub_u32_e32 v2, 29, v23
	v_and_b32_e32 v23, 7, v53
	v_cndmask_b32_e32 v2, v22, v2, vcc
	v_cndmask_b32_e32 v14, v14, v23, vcc
	v_lshlrev_b32_e32 v22, 24, v52
	v_lshlrev_b32_e32 v14, 20, v14
	v_and_b32_e32 v22, 0x80000000, v22
	v_lshl_add_u32 v2, v2, 23, v5
	v_or3_b32 v14, v22, v2, v14
.LBB4_12804:                            ;   in Loop: Header=BB4_12085 Depth=3
	s_or_b64 exec, exec, s[36:37]
.LBB4_12805:                            ;   in Loop: Header=BB4_12085 Depth=3
	s_or_b64 exec, exec, s[34:35]
.LBB4_12806:                            ;   in Loop: Header=BB4_12085 Depth=3
	s_or_b64 exec, exec, s[28:29]
	v_add_f32_e32 v14, v15, v14
	v_and_b32_e32 v2, 0x7f800000, v14
	v_cmp_ne_u64_e32 vcc, s[62:63], v[2:3]
                                        ; implicit-def: $vgpr28
	s_and_saveexec_b64 s[28:29], vcc
	s_xor_b64 s[34:35], exec, s[28:29]
	s_cbranch_execz .LBB4_12824
; %bb.12807:                            ;   in Loop: Header=BB4_12085 Depth=3
	v_and_b32_e32 v2, 0x7fffffff, v14
	v_cmp_gt_u64_e32 vcc, s[72:73], v[2:3]
	v_and_b32_sdwa v52, v14, s70 dst_sel:DWORD dst_unused:UNUSED_PAD src0_sel:BYTE_3 src1_sel:DWORD
                                        ; implicit-def: $vgpr28
	s_and_saveexec_b64 s[28:29], vcc
	s_xor_b64 s[36:37], exec, s[28:29]
	s_cbranch_execz .LBB4_12821
; %bb.12808:                            ;   in Loop: Header=BB4_12085 Depth=3
	v_cmp_ne_u32_e32 vcc, 0, v14
	v_mov_b32_e32 v28, 0
	s_and_saveexec_b64 s[38:39], vcc
	s_cbranch_execz .LBB4_12820
; %bb.12809:                            ;   in Loop: Header=BB4_12085 Depth=3
	v_bfe_u32 v28, v14, 23, 8
	v_and_b32_e32 v2, 0x7fffff, v14
	v_cmp_gt_u32_e64 s[28:29], s71, v28
	v_sub_u32_e32 v14, 0x79, v28
	v_cmp_eq_u32_e32 vcc, 0, v28
	v_cndmask_b32_e64 v14, 0, v14, s[28:29]
	v_mov_b32_e32 v22, 0x78
	v_cndmask_b32_e32 v55, v14, v22, vcc
	v_or_b32_e32 v15, 0x800000, v2
	v_add_u32_e32 v14, 20, v55
	v_cndmask_b32_e32 v2, v15, v2, vcc
	v_lshlrev_b64 v[14:15], v14, -1
	v_add_u32_e32 v22, 19, v55
	v_lshlrev_b64 v[53:54], v22, 1
	v_bfi_b32 v15, v15, 0, 0
	v_bfi_b32 v14, v14, 0, v2
	v_cmp_eq_u64_e64 s[28:29], v[14:15], v[53:54]
	v_lshrrev_b64 v[14:15], v55, v[2:3]
	v_mov_b32_e32 v54, v15
	v_mov_b32_e32 v53, v14
	s_and_saveexec_b64 s[48:49], s[28:29]
; %bb.12810:                            ;   in Loop: Header=BB4_12085 Depth=3
	v_bfe_u32 v2, v14, 20, 1
	v_add_co_u32_e64 v2, s[28:29], v14, v2
	v_add_co_u32_e64 v53, s[28:29], -1, v2
; %bb.12811:                            ;   in Loop: Header=BB4_12085 Depth=3
	s_or_b64 exec, exec, s[48:49]
	v_add_u32_e32 v2, 0xffffff81, v28
	v_mov_b32_e32 v15, 0xffffff82
	v_cndmask_b32_e32 v2, v2, v15, vcc
	v_lshrrev_b32_e32 v15, 23, v14
	v_add3_u32 v54, v55, v2, v15
	v_add_u32_e32 v28, 6, v54
	v_and_b32_e32 v2, 0xfffff, v53
	v_add_u32_e32 v2, v2, v14
	v_cmp_ne_u32_e32 vcc, 0, v28
                                        ; implicit-def: $vgpr14_vgpr15
                                        ; implicit-def: $vgpr53
	s_and_saveexec_b64 s[28:29], vcc
	s_xor_b64 s[28:29], exec, s[28:29]
; %bb.12812:                            ;   in Loop: Header=BB4_12085 Depth=3
	v_cmp_lt_u64_e32 vcc, s[74:75], v[2:3]
	v_add_u32_e32 v14, 7, v54
	v_cndmask_b32_e32 v53, v28, v14, vcc
	v_cndmask_b32_e64 v14, 0, 1, vcc
	v_lshrrev_b64 v[14:15], v14, v[2:3]
; %bb.12813:                            ;   in Loop: Header=BB4_12085 Depth=3
	s_andn2_saveexec_b64 s[28:29], s[28:29]
; %bb.12814:                            ;   in Loop: Header=BB4_12085 Depth=3
	v_mov_b32_e32 v15, v3
	v_mov_b32_e32 v14, v2
	v_bfe_u32 v53, v2, 23, 1
; %bb.12815:                            ;   in Loop: Header=BB4_12085 Depth=3
	s_or_b64 exec, exec, s[28:29]
	v_lshrrev_b64 v[14:15], 20, v[14:15]
	v_cmp_gt_i32_e32 vcc, 16, v53
	v_cndmask_b32_e32 v15, 0, v15, vcc
	v_cndmask_b32_e32 v14, 7, v14, vcc
	v_cmp_ne_u64_e32 vcc, 0, v[14:15]
	v_cmp_ne_u32_e64 s[28:29], 0, v53
	s_or_b64 s[28:29], s[28:29], vcc
                                        ; implicit-def: $vgpr28
	s_and_saveexec_b64 s[44:45], s[28:29]
	s_xor_b64 s[28:29], exec, s[44:45]
; %bb.12816:                            ;   in Loop: Header=BB4_12085 Depth=3
	v_min_i32_e32 v2, 15, v53
	v_lshl_or_b32 v2, v2, 3, v52
	v_and_or_b32 v28, v14, 7, v2
                                        ; implicit-def: $vgpr52
; %bb.12817:                            ;   in Loop: Header=BB4_12085 Depth=3
	s_andn2_saveexec_b64 s[28:29], s[28:29]
; %bb.12818:                            ;   in Loop: Header=BB4_12085 Depth=3
	v_mov_b32_e32 v28, v52
; %bb.12819:                            ;   in Loop: Header=BB4_12085 Depth=3
	s_or_b64 exec, exec, s[28:29]
.LBB4_12820:                            ;   in Loop: Header=BB4_12085 Depth=3
	s_or_b64 exec, exec, s[38:39]
                                        ; implicit-def: $vgpr52
.LBB4_12821:                            ;   in Loop: Header=BB4_12085 Depth=3
	s_andn2_saveexec_b64 s[28:29], s[36:37]
; %bb.12822:                            ;   in Loop: Header=BB4_12085 Depth=3
	v_or_b32_e32 v28, 0x7e, v52
; %bb.12823:                            ;   in Loop: Header=BB4_12085 Depth=3
	s_or_b64 exec, exec, s[28:29]
                                        ; implicit-def: $vgpr14
.LBB4_12824:                            ;   in Loop: Header=BB4_12085 Depth=3
	s_andn2_saveexec_b64 s[28:29], s[34:35]
; %bb.12825:                            ;   in Loop: Header=BB4_12085 Depth=3
	v_or_b32_sdwa v28, v14, s68 dst_sel:DWORD dst_unused:UNUSED_PAD src0_sel:BYTE_3 src1_sel:DWORD
; %bb.12826:                            ;   in Loop: Header=BB4_12085 Depth=3
	s_or_b64 exec, exec, s[28:29]
	v_and_b32_e32 v2, 0xff, v27
	v_cmp_ne_u16_e32 vcc, 0, v2
	v_mov_b32_e32 v14, 0
	v_mov_b32_e32 v15, 0
	s_and_saveexec_b64 s[28:29], vcc
	s_cbranch_execz .LBB4_12832
; %bb.12827:                            ;   in Loop: Header=BB4_12085 Depth=3
	v_cmp_ne_u16_e32 vcc, s70, v2
	v_bfrev_b32_e32 v15, 1
	s_and_saveexec_b64 s[34:35], vcc
	s_cbranch_execz .LBB4_12831
; %bb.12828:                            ;   in Loop: Header=BB4_12085 Depth=3
	v_and_b32_e32 v52, 0x7f, v27
	v_cmp_ne_u32_e32 vcc, s68, v52
	v_mov_b32_e32 v15, 0x7f800001
	s_and_saveexec_b64 s[36:37], vcc
	s_cbranch_execz .LBB4_12830
; %bb.12829:                            ;   in Loop: Header=BB4_12085 Depth=3
	v_and_b32_e32 v15, 7, v2
	v_ffbh_u32_e32 v23, v15
	v_min_u32_e32 v23, 32, v23
	v_subrev_u32_e32 v32, 28, v23
	v_lshrrev_b32_e32 v22, 3, v52
	v_cmp_gt_u32_e32 vcc, 8, v52
	v_lshlrev_b64 v[52:53], v32, v[2:3]
	v_sub_u32_e32 v2, 29, v23
	v_and_b32_e32 v23, 7, v52
	v_cndmask_b32_e32 v2, v22, v2, vcc
	v_cndmask_b32_e32 v15, v15, v23, vcc
	v_lshlrev_b32_e32 v22, 24, v27
	v_lshlrev_b32_e32 v15, 20, v15
	v_and_b32_e32 v22, 0x80000000, v22
	v_lshl_add_u32 v2, v2, 23, v5
	v_or3_b32 v15, v22, v2, v15
.LBB4_12830:                            ;   in Loop: Header=BB4_12085 Depth=3
	s_or_b64 exec, exec, s[36:37]
.LBB4_12831:                            ;   in Loop: Header=BB4_12085 Depth=3
	s_or_b64 exec, exec, s[34:35]
.LBB4_12832:                            ;   in Loop: Header=BB4_12085 Depth=3
	s_or_b64 exec, exec, s[28:29]
	v_and_b32_e32 v2, 0xff, v51
	v_cmp_ne_u16_e32 vcc, 0, v2
	s_and_saveexec_b64 s[28:29], vcc
	s_cbranch_execz .LBB4_12838
; %bb.12833:                            ;   in Loop: Header=BB4_12085 Depth=3
	v_cmp_ne_u16_e32 vcc, s70, v2
	v_bfrev_b32_e32 v14, 1
	s_and_saveexec_b64 s[34:35], vcc
	s_cbranch_execz .LBB4_12837
; %bb.12834:                            ;   in Loop: Header=BB4_12085 Depth=3
	v_and_b32_e32 v27, 0x7f, v51
	v_cmp_ne_u32_e32 vcc, s68, v27
	v_mov_b32_e32 v14, 0x7f800001
	s_and_saveexec_b64 s[36:37], vcc
	s_cbranch_execz .LBB4_12836
; %bb.12835:                            ;   in Loop: Header=BB4_12085 Depth=3
	v_and_b32_e32 v14, 7, v2
	v_ffbh_u32_e32 v23, v14
	v_min_u32_e32 v23, 32, v23
	v_lshrrev_b32_e32 v22, 3, v27
	v_cmp_gt_u32_e32 vcc, 8, v27
	v_subrev_u32_e32 v27, 28, v23
	v_lshlrev_b64 v[52:53], v27, v[2:3]
	v_sub_u32_e32 v2, 29, v23
	v_and_b32_e32 v23, 7, v52
	v_cndmask_b32_e32 v2, v22, v2, vcc
	v_cndmask_b32_e32 v14, v14, v23, vcc
	v_lshlrev_b32_e32 v22, 24, v51
	v_lshlrev_b32_e32 v14, 20, v14
	v_and_b32_e32 v22, 0x80000000, v22
	v_lshl_add_u32 v2, v2, 23, v5
	v_or3_b32 v14, v22, v2, v14
.LBB4_12836:                            ;   in Loop: Header=BB4_12085 Depth=3
	s_or_b64 exec, exec, s[36:37]
.LBB4_12837:                            ;   in Loop: Header=BB4_12085 Depth=3
	s_or_b64 exec, exec, s[34:35]
.LBB4_12838:                            ;   in Loop: Header=BB4_12085 Depth=3
	s_or_b64 exec, exec, s[28:29]
	v_add_f32_e32 v14, v15, v14
	v_and_b32_e32 v2, 0x7f800000, v14
	v_cmp_ne_u64_e32 vcc, s[62:63], v[2:3]
                                        ; implicit-def: $vgpr27
	s_and_saveexec_b64 s[28:29], vcc
	s_xor_b64 s[34:35], exec, s[28:29]
	s_cbranch_execz .LBB4_12856
; %bb.12839:                            ;   in Loop: Header=BB4_12085 Depth=3
	v_and_b32_e32 v2, 0x7fffffff, v14
	v_cmp_gt_u64_e32 vcc, s[72:73], v[2:3]
	v_and_b32_sdwa v51, v14, s70 dst_sel:DWORD dst_unused:UNUSED_PAD src0_sel:BYTE_3 src1_sel:DWORD
                                        ; implicit-def: $vgpr27
	s_and_saveexec_b64 s[28:29], vcc
	s_xor_b64 s[36:37], exec, s[28:29]
	s_cbranch_execz .LBB4_12853
; %bb.12840:                            ;   in Loop: Header=BB4_12085 Depth=3
	v_cmp_ne_u32_e32 vcc, 0, v14
	v_mov_b32_e32 v27, 0
	s_and_saveexec_b64 s[38:39], vcc
	s_cbranch_execz .LBB4_12852
; %bb.12841:                            ;   in Loop: Header=BB4_12085 Depth=3
	v_bfe_u32 v27, v14, 23, 8
	v_and_b32_e32 v2, 0x7fffff, v14
	v_cmp_gt_u32_e64 s[28:29], s71, v27
	v_sub_u32_e32 v14, 0x79, v27
	v_cmp_eq_u32_e32 vcc, 0, v27
	v_cndmask_b32_e64 v14, 0, v14, s[28:29]
	v_mov_b32_e32 v22, 0x78
	v_cndmask_b32_e32 v52, v14, v22, vcc
	v_or_b32_e32 v15, 0x800000, v2
	v_add_u32_e32 v14, 20, v52
	v_cndmask_b32_e32 v2, v15, v2, vcc
	v_lshlrev_b64 v[14:15], v14, -1
	v_add_u32_e32 v22, 19, v52
	v_lshlrev_b64 v[53:54], v22, 1
	v_bfi_b32 v15, v15, 0, 0
	v_bfi_b32 v14, v14, 0, v2
	v_cmp_eq_u64_e64 s[28:29], v[14:15], v[53:54]
	v_lshrrev_b64 v[14:15], v52, v[2:3]
	v_mov_b32_e32 v54, v15
	v_mov_b32_e32 v53, v14
	s_and_saveexec_b64 s[48:49], s[28:29]
; %bb.12842:                            ;   in Loop: Header=BB4_12085 Depth=3
	v_bfe_u32 v2, v14, 20, 1
	v_add_co_u32_e64 v2, s[28:29], v14, v2
	v_add_co_u32_e64 v53, s[28:29], -1, v2
; %bb.12843:                            ;   in Loop: Header=BB4_12085 Depth=3
	s_or_b64 exec, exec, s[48:49]
	v_add_u32_e32 v2, 0xffffff81, v27
	v_mov_b32_e32 v15, 0xffffff82
	v_cndmask_b32_e32 v2, v2, v15, vcc
	v_lshrrev_b32_e32 v15, 23, v14
	v_add3_u32 v54, v52, v2, v15
	v_add_u32_e32 v27, 6, v54
	v_and_b32_e32 v2, 0xfffff, v53
	v_add_u32_e32 v2, v2, v14
	v_cmp_ne_u32_e32 vcc, 0, v27
                                        ; implicit-def: $vgpr14_vgpr15
                                        ; implicit-def: $vgpr52
	s_and_saveexec_b64 s[28:29], vcc
	s_xor_b64 s[28:29], exec, s[28:29]
; %bb.12844:                            ;   in Loop: Header=BB4_12085 Depth=3
	v_cmp_lt_u64_e32 vcc, s[74:75], v[2:3]
	v_add_u32_e32 v14, 7, v54
	v_cndmask_b32_e32 v52, v27, v14, vcc
	v_cndmask_b32_e64 v14, 0, 1, vcc
	v_lshrrev_b64 v[14:15], v14, v[2:3]
; %bb.12845:                            ;   in Loop: Header=BB4_12085 Depth=3
	s_andn2_saveexec_b64 s[28:29], s[28:29]
; %bb.12846:                            ;   in Loop: Header=BB4_12085 Depth=3
	v_mov_b32_e32 v15, v3
	v_mov_b32_e32 v14, v2
	v_bfe_u32 v52, v2, 23, 1
; %bb.12847:                            ;   in Loop: Header=BB4_12085 Depth=3
	s_or_b64 exec, exec, s[28:29]
	v_lshrrev_b64 v[14:15], 20, v[14:15]
	v_cmp_gt_i32_e32 vcc, 16, v52
	v_cndmask_b32_e32 v15, 0, v15, vcc
	v_cndmask_b32_e32 v14, 7, v14, vcc
	v_cmp_ne_u64_e32 vcc, 0, v[14:15]
	v_cmp_ne_u32_e64 s[28:29], 0, v52
	s_or_b64 s[28:29], s[28:29], vcc
                                        ; implicit-def: $vgpr27
	s_and_saveexec_b64 s[44:45], s[28:29]
	s_xor_b64 s[28:29], exec, s[44:45]
; %bb.12848:                            ;   in Loop: Header=BB4_12085 Depth=3
	v_min_i32_e32 v2, 15, v52
	v_lshl_or_b32 v2, v2, 3, v51
	v_and_or_b32 v27, v14, 7, v2
                                        ; implicit-def: $vgpr51
; %bb.12849:                            ;   in Loop: Header=BB4_12085 Depth=3
	s_andn2_saveexec_b64 s[28:29], s[28:29]
; %bb.12850:                            ;   in Loop: Header=BB4_12085 Depth=3
	v_mov_b32_e32 v27, v51
; %bb.12851:                            ;   in Loop: Header=BB4_12085 Depth=3
	s_or_b64 exec, exec, s[28:29]
.LBB4_12852:                            ;   in Loop: Header=BB4_12085 Depth=3
	s_or_b64 exec, exec, s[38:39]
                                        ; implicit-def: $vgpr51
.LBB4_12853:                            ;   in Loop: Header=BB4_12085 Depth=3
	s_andn2_saveexec_b64 s[28:29], s[36:37]
; %bb.12854:                            ;   in Loop: Header=BB4_12085 Depth=3
	v_or_b32_e32 v27, 0x7e, v51
; %bb.12855:                            ;   in Loop: Header=BB4_12085 Depth=3
	s_or_b64 exec, exec, s[28:29]
                                        ; implicit-def: $vgpr14
.LBB4_12856:                            ;   in Loop: Header=BB4_12085 Depth=3
	s_andn2_saveexec_b64 s[28:29], s[34:35]
; %bb.12857:                            ;   in Loop: Header=BB4_12085 Depth=3
	v_or_b32_sdwa v27, v14, s68 dst_sel:DWORD dst_unused:UNUSED_PAD src0_sel:BYTE_3 src1_sel:DWORD
; %bb.12858:                            ;   in Loop: Header=BB4_12085 Depth=3
	s_or_b64 exec, exec, s[28:29]
	v_and_b32_e32 v2, 0xff, v26
	v_cmp_ne_u16_e32 vcc, 0, v2
	v_mov_b32_e32 v14, 0
	v_mov_b32_e32 v15, 0
	s_and_saveexec_b64 s[28:29], vcc
	s_cbranch_execz .LBB4_12864
; %bb.12859:                            ;   in Loop: Header=BB4_12085 Depth=3
	v_cmp_ne_u16_e32 vcc, s70, v2
	v_bfrev_b32_e32 v15, 1
	s_and_saveexec_b64 s[34:35], vcc
	s_cbranch_execz .LBB4_12863
; %bb.12860:                            ;   in Loop: Header=BB4_12085 Depth=3
	v_and_b32_e32 v51, 0x7f, v26
	v_cmp_ne_u32_e32 vcc, s68, v51
	v_mov_b32_e32 v15, 0x7f800001
	s_and_saveexec_b64 s[36:37], vcc
	s_cbranch_execz .LBB4_12862
; %bb.12861:                            ;   in Loop: Header=BB4_12085 Depth=3
	v_and_b32_e32 v15, 7, v2
	v_ffbh_u32_e32 v23, v15
	v_min_u32_e32 v23, 32, v23
	v_subrev_u32_e32 v32, 28, v23
	v_lshrrev_b32_e32 v22, 3, v51
	v_cmp_gt_u32_e32 vcc, 8, v51
	v_lshlrev_b64 v[51:52], v32, v[2:3]
	v_sub_u32_e32 v2, 29, v23
	v_and_b32_e32 v23, 7, v51
	v_cndmask_b32_e32 v2, v22, v2, vcc
	v_cndmask_b32_e32 v15, v15, v23, vcc
	v_lshlrev_b32_e32 v22, 24, v26
	v_lshlrev_b32_e32 v15, 20, v15
	v_and_b32_e32 v22, 0x80000000, v22
	v_lshl_add_u32 v2, v2, 23, v5
	v_or3_b32 v15, v22, v2, v15
.LBB4_12862:                            ;   in Loop: Header=BB4_12085 Depth=3
	s_or_b64 exec, exec, s[36:37]
.LBB4_12863:                            ;   in Loop: Header=BB4_12085 Depth=3
	s_or_b64 exec, exec, s[34:35]
.LBB4_12864:                            ;   in Loop: Header=BB4_12085 Depth=3
	s_or_b64 exec, exec, s[28:29]
	v_and_b32_e32 v2, 0xff, v50
	v_cmp_ne_u16_e32 vcc, 0, v2
	s_and_saveexec_b64 s[28:29], vcc
	s_cbranch_execz .LBB4_12870
; %bb.12865:                            ;   in Loop: Header=BB4_12085 Depth=3
	v_cmp_ne_u16_e32 vcc, s70, v2
	v_bfrev_b32_e32 v14, 1
	s_and_saveexec_b64 s[34:35], vcc
	s_cbranch_execz .LBB4_12869
; %bb.12866:                            ;   in Loop: Header=BB4_12085 Depth=3
	v_and_b32_e32 v26, 0x7f, v50
	v_cmp_ne_u32_e32 vcc, s68, v26
	v_mov_b32_e32 v14, 0x7f800001
	s_and_saveexec_b64 s[36:37], vcc
	s_cbranch_execz .LBB4_12868
; %bb.12867:                            ;   in Loop: Header=BB4_12085 Depth=3
	v_and_b32_e32 v14, 7, v2
	v_ffbh_u32_e32 v23, v14
	v_min_u32_e32 v23, 32, v23
	v_lshrrev_b32_e32 v22, 3, v26
	v_cmp_gt_u32_e32 vcc, 8, v26
	v_subrev_u32_e32 v26, 28, v23
	v_lshlrev_b64 v[51:52], v26, v[2:3]
	v_sub_u32_e32 v2, 29, v23
	v_and_b32_e32 v23, 7, v51
	v_cndmask_b32_e32 v2, v22, v2, vcc
	v_cndmask_b32_e32 v14, v14, v23, vcc
	v_lshlrev_b32_e32 v22, 24, v50
	v_lshlrev_b32_e32 v14, 20, v14
	v_and_b32_e32 v22, 0x80000000, v22
	v_lshl_add_u32 v2, v2, 23, v5
	v_or3_b32 v14, v22, v2, v14
.LBB4_12868:                            ;   in Loop: Header=BB4_12085 Depth=3
	s_or_b64 exec, exec, s[36:37]
.LBB4_12869:                            ;   in Loop: Header=BB4_12085 Depth=3
	s_or_b64 exec, exec, s[34:35]
.LBB4_12870:                            ;   in Loop: Header=BB4_12085 Depth=3
	s_or_b64 exec, exec, s[28:29]
	v_add_f32_e32 v14, v15, v14
	v_and_b32_e32 v2, 0x7f800000, v14
	v_cmp_ne_u64_e32 vcc, s[62:63], v[2:3]
                                        ; implicit-def: $vgpr26
	s_and_saveexec_b64 s[28:29], vcc
	s_xor_b64 s[34:35], exec, s[28:29]
	s_cbranch_execz .LBB4_12888
; %bb.12871:                            ;   in Loop: Header=BB4_12085 Depth=3
	v_and_b32_e32 v2, 0x7fffffff, v14
	v_cmp_gt_u64_e32 vcc, s[72:73], v[2:3]
	v_and_b32_sdwa v50, v14, s70 dst_sel:DWORD dst_unused:UNUSED_PAD src0_sel:BYTE_3 src1_sel:DWORD
                                        ; implicit-def: $vgpr26
	s_and_saveexec_b64 s[28:29], vcc
	s_xor_b64 s[36:37], exec, s[28:29]
	s_cbranch_execz .LBB4_12885
; %bb.12872:                            ;   in Loop: Header=BB4_12085 Depth=3
	v_cmp_ne_u32_e32 vcc, 0, v14
	v_mov_b32_e32 v26, 0
	s_and_saveexec_b64 s[38:39], vcc
	s_cbranch_execz .LBB4_12884
; %bb.12873:                            ;   in Loop: Header=BB4_12085 Depth=3
	v_bfe_u32 v26, v14, 23, 8
	v_and_b32_e32 v2, 0x7fffff, v14
	v_cmp_gt_u32_e64 s[28:29], s71, v26
	v_sub_u32_e32 v14, 0x79, v26
	v_cmp_eq_u32_e32 vcc, 0, v26
	v_cndmask_b32_e64 v14, 0, v14, s[28:29]
	v_mov_b32_e32 v22, 0x78
	v_cndmask_b32_e32 v51, v14, v22, vcc
	v_or_b32_e32 v15, 0x800000, v2
	v_add_u32_e32 v14, 20, v51
	v_cndmask_b32_e32 v2, v15, v2, vcc
	v_lshlrev_b64 v[14:15], v14, -1
	v_add_u32_e32 v22, 19, v51
	v_lshlrev_b64 v[52:53], v22, 1
	v_bfi_b32 v15, v15, 0, 0
	v_bfi_b32 v14, v14, 0, v2
	v_cmp_eq_u64_e64 s[28:29], v[14:15], v[52:53]
	v_lshrrev_b64 v[14:15], v51, v[2:3]
	v_mov_b32_e32 v54, v15
	v_mov_b32_e32 v53, v14
	s_and_saveexec_b64 s[48:49], s[28:29]
; %bb.12874:                            ;   in Loop: Header=BB4_12085 Depth=3
	v_bfe_u32 v2, v14, 20, 1
	v_add_co_u32_e64 v2, s[28:29], v14, v2
	v_add_co_u32_e64 v53, s[28:29], -1, v2
; %bb.12875:                            ;   in Loop: Header=BB4_12085 Depth=3
	s_or_b64 exec, exec, s[48:49]
	v_add_u32_e32 v2, 0xffffff81, v26
	v_mov_b32_e32 v15, 0xffffff82
	v_cndmask_b32_e32 v2, v2, v15, vcc
	v_lshrrev_b32_e32 v15, 23, v14
	v_add3_u32 v52, v51, v2, v15
	v_add_u32_e32 v26, 6, v52
	v_and_b32_e32 v2, 0xfffff, v53
	v_add_u32_e32 v2, v2, v14
	v_cmp_ne_u32_e32 vcc, 0, v26
                                        ; implicit-def: $vgpr14_vgpr15
                                        ; implicit-def: $vgpr51
	s_and_saveexec_b64 s[28:29], vcc
	s_xor_b64 s[28:29], exec, s[28:29]
; %bb.12876:                            ;   in Loop: Header=BB4_12085 Depth=3
	v_cmp_lt_u64_e32 vcc, s[74:75], v[2:3]
	v_add_u32_e32 v14, 7, v52
	v_cndmask_b32_e32 v51, v26, v14, vcc
	v_cndmask_b32_e64 v14, 0, 1, vcc
	v_lshrrev_b64 v[14:15], v14, v[2:3]
; %bb.12877:                            ;   in Loop: Header=BB4_12085 Depth=3
	s_andn2_saveexec_b64 s[28:29], s[28:29]
; %bb.12878:                            ;   in Loop: Header=BB4_12085 Depth=3
	v_mov_b32_e32 v15, v3
	v_mov_b32_e32 v14, v2
	v_bfe_u32 v51, v2, 23, 1
; %bb.12879:                            ;   in Loop: Header=BB4_12085 Depth=3
	s_or_b64 exec, exec, s[28:29]
	v_lshrrev_b64 v[14:15], 20, v[14:15]
	v_cmp_gt_i32_e32 vcc, 16, v51
	v_cndmask_b32_e32 v15, 0, v15, vcc
	v_cndmask_b32_e32 v14, 7, v14, vcc
	v_cmp_ne_u64_e32 vcc, 0, v[14:15]
	v_cmp_ne_u32_e64 s[28:29], 0, v51
	s_or_b64 s[28:29], s[28:29], vcc
                                        ; implicit-def: $vgpr26
	s_and_saveexec_b64 s[44:45], s[28:29]
	s_xor_b64 s[28:29], exec, s[44:45]
; %bb.12880:                            ;   in Loop: Header=BB4_12085 Depth=3
	v_min_i32_e32 v2, 15, v51
	v_lshl_or_b32 v2, v2, 3, v50
	v_and_or_b32 v26, v14, 7, v2
                                        ; implicit-def: $vgpr50
; %bb.12881:                            ;   in Loop: Header=BB4_12085 Depth=3
	s_andn2_saveexec_b64 s[28:29], s[28:29]
; %bb.12882:                            ;   in Loop: Header=BB4_12085 Depth=3
	v_mov_b32_e32 v26, v50
; %bb.12883:                            ;   in Loop: Header=BB4_12085 Depth=3
	s_or_b64 exec, exec, s[28:29]
.LBB4_12884:                            ;   in Loop: Header=BB4_12085 Depth=3
	s_or_b64 exec, exec, s[38:39]
                                        ; implicit-def: $vgpr50
.LBB4_12885:                            ;   in Loop: Header=BB4_12085 Depth=3
	s_andn2_saveexec_b64 s[28:29], s[36:37]
; %bb.12886:                            ;   in Loop: Header=BB4_12085 Depth=3
	v_or_b32_e32 v26, 0x7e, v50
; %bb.12887:                            ;   in Loop: Header=BB4_12085 Depth=3
	s_or_b64 exec, exec, s[28:29]
                                        ; implicit-def: $vgpr14
.LBB4_12888:                            ;   in Loop: Header=BB4_12085 Depth=3
	s_andn2_saveexec_b64 s[28:29], s[34:35]
; %bb.12889:                            ;   in Loop: Header=BB4_12085 Depth=3
	v_or_b32_sdwa v26, v14, s68 dst_sel:DWORD dst_unused:UNUSED_PAD src0_sel:BYTE_3 src1_sel:DWORD
; %bb.12890:                            ;   in Loop: Header=BB4_12085 Depth=3
	s_or_b64 exec, exec, s[28:29]
	v_and_b32_e32 v2, 0xff, v25
	v_cmp_ne_u16_e32 vcc, 0, v2
	v_mov_b32_e32 v14, 0
	v_mov_b32_e32 v15, 0
	s_and_saveexec_b64 s[28:29], vcc
	s_cbranch_execz .LBB4_12896
; %bb.12891:                            ;   in Loop: Header=BB4_12085 Depth=3
	v_cmp_ne_u16_e32 vcc, s70, v2
	v_bfrev_b32_e32 v15, 1
	s_and_saveexec_b64 s[34:35], vcc
	s_cbranch_execz .LBB4_12895
; %bb.12892:                            ;   in Loop: Header=BB4_12085 Depth=3
	v_and_b32_e32 v50, 0x7f, v25
	v_cmp_ne_u32_e32 vcc, s68, v50
	v_mov_b32_e32 v15, 0x7f800001
	s_and_saveexec_b64 s[36:37], vcc
	s_cbranch_execz .LBB4_12894
; %bb.12893:                            ;   in Loop: Header=BB4_12085 Depth=3
	v_and_b32_e32 v15, 7, v2
	v_ffbh_u32_e32 v23, v15
	v_min_u32_e32 v23, 32, v23
	v_subrev_u32_e32 v32, 28, v23
	v_lshrrev_b32_e32 v22, 3, v50
	v_cmp_gt_u32_e32 vcc, 8, v50
	v_lshlrev_b64 v[50:51], v32, v[2:3]
	v_sub_u32_e32 v2, 29, v23
	v_and_b32_e32 v23, 7, v50
	v_cndmask_b32_e32 v2, v22, v2, vcc
	v_cndmask_b32_e32 v15, v15, v23, vcc
	v_lshlrev_b32_e32 v22, 24, v25
	v_lshlrev_b32_e32 v15, 20, v15
	v_and_b32_e32 v22, 0x80000000, v22
	v_lshl_add_u32 v2, v2, 23, v5
	v_or3_b32 v15, v22, v2, v15
.LBB4_12894:                            ;   in Loop: Header=BB4_12085 Depth=3
	s_or_b64 exec, exec, s[36:37]
.LBB4_12895:                            ;   in Loop: Header=BB4_12085 Depth=3
	s_or_b64 exec, exec, s[34:35]
.LBB4_12896:                            ;   in Loop: Header=BB4_12085 Depth=3
	s_or_b64 exec, exec, s[28:29]
	v_and_b32_e32 v2, 0xff, v49
	v_cmp_ne_u16_e32 vcc, 0, v2
	s_and_saveexec_b64 s[28:29], vcc
	s_cbranch_execz .LBB4_12902
; %bb.12897:                            ;   in Loop: Header=BB4_12085 Depth=3
	v_cmp_ne_u16_e32 vcc, s70, v2
	v_bfrev_b32_e32 v14, 1
	s_and_saveexec_b64 s[34:35], vcc
	s_cbranch_execz .LBB4_12901
; %bb.12898:                            ;   in Loop: Header=BB4_12085 Depth=3
	v_and_b32_e32 v25, 0x7f, v49
	v_cmp_ne_u32_e32 vcc, s68, v25
	v_mov_b32_e32 v14, 0x7f800001
	s_and_saveexec_b64 s[36:37], vcc
	s_cbranch_execz .LBB4_12900
; %bb.12899:                            ;   in Loop: Header=BB4_12085 Depth=3
	v_and_b32_e32 v14, 7, v2
	v_ffbh_u32_e32 v23, v14
	v_min_u32_e32 v23, 32, v23
	v_lshrrev_b32_e32 v22, 3, v25
	v_cmp_gt_u32_e32 vcc, 8, v25
	v_subrev_u32_e32 v25, 28, v23
	v_lshlrev_b64 v[50:51], v25, v[2:3]
	v_sub_u32_e32 v2, 29, v23
	v_and_b32_e32 v23, 7, v50
	v_cndmask_b32_e32 v2, v22, v2, vcc
	v_cndmask_b32_e32 v14, v14, v23, vcc
	v_lshlrev_b32_e32 v22, 24, v49
	v_lshlrev_b32_e32 v14, 20, v14
	v_and_b32_e32 v22, 0x80000000, v22
	v_lshl_add_u32 v2, v2, 23, v5
	v_or3_b32 v14, v22, v2, v14
.LBB4_12900:                            ;   in Loop: Header=BB4_12085 Depth=3
	s_or_b64 exec, exec, s[36:37]
.LBB4_12901:                            ;   in Loop: Header=BB4_12085 Depth=3
	s_or_b64 exec, exec, s[34:35]
.LBB4_12902:                            ;   in Loop: Header=BB4_12085 Depth=3
	s_or_b64 exec, exec, s[28:29]
	v_add_f32_e32 v14, v15, v14
	v_and_b32_e32 v2, 0x7f800000, v14
	v_cmp_ne_u64_e32 vcc, s[62:63], v[2:3]
                                        ; implicit-def: $vgpr25
	s_and_saveexec_b64 s[28:29], vcc
	s_xor_b64 s[34:35], exec, s[28:29]
	s_cbranch_execz .LBB4_12920
; %bb.12903:                            ;   in Loop: Header=BB4_12085 Depth=3
	v_and_b32_e32 v2, 0x7fffffff, v14
	v_cmp_gt_u64_e32 vcc, s[72:73], v[2:3]
	v_and_b32_sdwa v49, v14, s70 dst_sel:DWORD dst_unused:UNUSED_PAD src0_sel:BYTE_3 src1_sel:DWORD
                                        ; implicit-def: $vgpr25
	s_and_saveexec_b64 s[28:29], vcc
	s_xor_b64 s[36:37], exec, s[28:29]
	s_cbranch_execz .LBB4_12917
; %bb.12904:                            ;   in Loop: Header=BB4_12085 Depth=3
	v_cmp_ne_u32_e32 vcc, 0, v14
	v_mov_b32_e32 v25, 0
	s_and_saveexec_b64 s[38:39], vcc
	s_cbranch_execz .LBB4_12916
; %bb.12905:                            ;   in Loop: Header=BB4_12085 Depth=3
	v_bfe_u32 v25, v14, 23, 8
	v_and_b32_e32 v2, 0x7fffff, v14
	v_cmp_gt_u32_e64 s[28:29], s71, v25
	v_sub_u32_e32 v14, 0x79, v25
	v_cmp_eq_u32_e32 vcc, 0, v25
	v_cndmask_b32_e64 v14, 0, v14, s[28:29]
	v_mov_b32_e32 v22, 0x78
	v_cndmask_b32_e32 v50, v14, v22, vcc
	v_or_b32_e32 v15, 0x800000, v2
	v_add_u32_e32 v14, 20, v50
	v_cndmask_b32_e32 v2, v15, v2, vcc
	v_lshlrev_b64 v[14:15], v14, -1
	v_add_u32_e32 v22, 19, v50
	v_lshlrev_b64 v[51:52], v22, 1
	v_bfi_b32 v15, v15, 0, 0
	v_bfi_b32 v14, v14, 0, v2
	v_cmp_eq_u64_e64 s[28:29], v[14:15], v[51:52]
	v_lshrrev_b64 v[14:15], v50, v[2:3]
	v_mov_b32_e32 v54, v15
	v_mov_b32_e32 v53, v14
	s_and_saveexec_b64 s[48:49], s[28:29]
; %bb.12906:                            ;   in Loop: Header=BB4_12085 Depth=3
	v_bfe_u32 v2, v14, 20, 1
	v_add_co_u32_e64 v2, s[28:29], v14, v2
	v_add_co_u32_e64 v53, s[28:29], -1, v2
; %bb.12907:                            ;   in Loop: Header=BB4_12085 Depth=3
	s_or_b64 exec, exec, s[48:49]
	v_add_u32_e32 v2, 0xffffff81, v25
	v_mov_b32_e32 v15, 0xffffff82
	v_cndmask_b32_e32 v2, v2, v15, vcc
	v_lshrrev_b32_e32 v15, 23, v14
	v_add3_u32 v51, v50, v2, v15
	v_add_u32_e32 v25, 6, v51
	v_and_b32_e32 v2, 0xfffff, v53
	v_add_u32_e32 v2, v2, v14
	v_cmp_ne_u32_e32 vcc, 0, v25
                                        ; implicit-def: $vgpr14_vgpr15
                                        ; implicit-def: $vgpr50
	s_and_saveexec_b64 s[28:29], vcc
	s_xor_b64 s[28:29], exec, s[28:29]
; %bb.12908:                            ;   in Loop: Header=BB4_12085 Depth=3
	v_cmp_lt_u64_e32 vcc, s[74:75], v[2:3]
	v_add_u32_e32 v14, 7, v51
	v_cndmask_b32_e32 v50, v25, v14, vcc
	v_cndmask_b32_e64 v14, 0, 1, vcc
	v_lshrrev_b64 v[14:15], v14, v[2:3]
; %bb.12909:                            ;   in Loop: Header=BB4_12085 Depth=3
	s_andn2_saveexec_b64 s[28:29], s[28:29]
; %bb.12910:                            ;   in Loop: Header=BB4_12085 Depth=3
	v_mov_b32_e32 v15, v3
	v_mov_b32_e32 v14, v2
	v_bfe_u32 v50, v2, 23, 1
; %bb.12911:                            ;   in Loop: Header=BB4_12085 Depth=3
	s_or_b64 exec, exec, s[28:29]
	v_lshrrev_b64 v[14:15], 20, v[14:15]
	v_cmp_gt_i32_e32 vcc, 16, v50
	v_cndmask_b32_e32 v15, 0, v15, vcc
	v_cndmask_b32_e32 v14, 7, v14, vcc
	v_cmp_ne_u64_e32 vcc, 0, v[14:15]
	v_cmp_ne_u32_e64 s[28:29], 0, v50
	s_or_b64 s[28:29], s[28:29], vcc
                                        ; implicit-def: $vgpr25
	s_and_saveexec_b64 s[44:45], s[28:29]
	s_xor_b64 s[28:29], exec, s[44:45]
; %bb.12912:                            ;   in Loop: Header=BB4_12085 Depth=3
	v_min_i32_e32 v2, 15, v50
	v_lshl_or_b32 v2, v2, 3, v49
	v_and_or_b32 v25, v14, 7, v2
                                        ; implicit-def: $vgpr49
; %bb.12913:                            ;   in Loop: Header=BB4_12085 Depth=3
	s_andn2_saveexec_b64 s[28:29], s[28:29]
; %bb.12914:                            ;   in Loop: Header=BB4_12085 Depth=3
	v_mov_b32_e32 v25, v49
; %bb.12915:                            ;   in Loop: Header=BB4_12085 Depth=3
	s_or_b64 exec, exec, s[28:29]
.LBB4_12916:                            ;   in Loop: Header=BB4_12085 Depth=3
	s_or_b64 exec, exec, s[38:39]
                                        ; implicit-def: $vgpr49
.LBB4_12917:                            ;   in Loop: Header=BB4_12085 Depth=3
	s_andn2_saveexec_b64 s[28:29], s[36:37]
; %bb.12918:                            ;   in Loop: Header=BB4_12085 Depth=3
	v_or_b32_e32 v25, 0x7e, v49
; %bb.12919:                            ;   in Loop: Header=BB4_12085 Depth=3
	s_or_b64 exec, exec, s[28:29]
                                        ; implicit-def: $vgpr14
.LBB4_12920:                            ;   in Loop: Header=BB4_12085 Depth=3
	s_andn2_saveexec_b64 s[28:29], s[34:35]
; %bb.12921:                            ;   in Loop: Header=BB4_12085 Depth=3
	v_or_b32_sdwa v25, v14, s68 dst_sel:DWORD dst_unused:UNUSED_PAD src0_sel:BYTE_3 src1_sel:DWORD
; %bb.12922:                            ;   in Loop: Header=BB4_12085 Depth=3
	s_or_b64 exec, exec, s[28:29]
	v_and_b32_e32 v2, 0xff, v24
	v_cmp_ne_u16_e32 vcc, 0, v2
	v_mov_b32_e32 v14, 0
	v_mov_b32_e32 v15, 0
	s_and_saveexec_b64 s[28:29], vcc
	s_cbranch_execz .LBB4_12928
; %bb.12923:                            ;   in Loop: Header=BB4_12085 Depth=3
	v_cmp_ne_u16_e32 vcc, s70, v2
	v_bfrev_b32_e32 v15, 1
	s_and_saveexec_b64 s[34:35], vcc
	s_cbranch_execz .LBB4_12927
; %bb.12924:                            ;   in Loop: Header=BB4_12085 Depth=3
	v_and_b32_e32 v49, 0x7f, v24
	v_cmp_ne_u32_e32 vcc, s68, v49
	v_mov_b32_e32 v15, 0x7f800001
	s_and_saveexec_b64 s[36:37], vcc
	s_cbranch_execz .LBB4_12926
; %bb.12925:                            ;   in Loop: Header=BB4_12085 Depth=3
	v_and_b32_e32 v15, 7, v2
	v_ffbh_u32_e32 v23, v15
	v_min_u32_e32 v23, 32, v23
	v_subrev_u32_e32 v32, 28, v23
	v_lshrrev_b32_e32 v22, 3, v49
	v_cmp_gt_u32_e32 vcc, 8, v49
	v_lshlrev_b64 v[49:50], v32, v[2:3]
	v_sub_u32_e32 v2, 29, v23
	v_and_b32_e32 v23, 7, v49
	v_cndmask_b32_e32 v2, v22, v2, vcc
	v_cndmask_b32_e32 v15, v15, v23, vcc
	v_lshlrev_b32_e32 v22, 24, v24
	v_lshlrev_b32_e32 v15, 20, v15
	v_and_b32_e32 v22, 0x80000000, v22
	v_lshl_add_u32 v2, v2, 23, v5
	v_or3_b32 v15, v22, v2, v15
.LBB4_12926:                            ;   in Loop: Header=BB4_12085 Depth=3
	s_or_b64 exec, exec, s[36:37]
.LBB4_12927:                            ;   in Loop: Header=BB4_12085 Depth=3
	s_or_b64 exec, exec, s[34:35]
.LBB4_12928:                            ;   in Loop: Header=BB4_12085 Depth=3
	s_or_b64 exec, exec, s[28:29]
	v_and_b32_e32 v2, 0xff, v39
	v_cmp_ne_u16_e32 vcc, 0, v2
	s_and_saveexec_b64 s[28:29], vcc
	s_cbranch_execz .LBB4_12934
; %bb.12929:                            ;   in Loop: Header=BB4_12085 Depth=3
	v_cmp_ne_u16_e32 vcc, s70, v2
	v_bfrev_b32_e32 v14, 1
	s_and_saveexec_b64 s[34:35], vcc
	s_cbranch_execz .LBB4_12933
; %bb.12930:                            ;   in Loop: Header=BB4_12085 Depth=3
	v_and_b32_e32 v24, 0x7f, v39
	v_cmp_ne_u32_e32 vcc, s68, v24
	v_mov_b32_e32 v14, 0x7f800001
	s_and_saveexec_b64 s[36:37], vcc
	s_cbranch_execz .LBB4_12932
; %bb.12931:                            ;   in Loop: Header=BB4_12085 Depth=3
	v_and_b32_e32 v14, 7, v2
	v_ffbh_u32_e32 v23, v14
	v_min_u32_e32 v23, 32, v23
	v_lshrrev_b32_e32 v22, 3, v24
	v_cmp_gt_u32_e32 vcc, 8, v24
	v_subrev_u32_e32 v24, 28, v23
	v_lshlrev_b64 v[49:50], v24, v[2:3]
	v_sub_u32_e32 v2, 29, v23
	v_and_b32_e32 v23, 7, v49
	v_cndmask_b32_e32 v2, v22, v2, vcc
	v_cndmask_b32_e32 v14, v14, v23, vcc
	v_lshlrev_b32_e32 v22, 24, v39
	v_lshlrev_b32_e32 v14, 20, v14
	v_and_b32_e32 v22, 0x80000000, v22
	v_lshl_add_u32 v2, v2, 23, v5
	v_or3_b32 v14, v22, v2, v14
.LBB4_12932:                            ;   in Loop: Header=BB4_12085 Depth=3
	s_or_b64 exec, exec, s[36:37]
.LBB4_12933:                            ;   in Loop: Header=BB4_12085 Depth=3
	s_or_b64 exec, exec, s[34:35]
.LBB4_12934:                            ;   in Loop: Header=BB4_12085 Depth=3
	s_or_b64 exec, exec, s[28:29]
	v_add_f32_e32 v14, v15, v14
	v_and_b32_e32 v2, 0x7f800000, v14
	v_cmp_ne_u64_e32 vcc, s[62:63], v[2:3]
                                        ; implicit-def: $vgpr24
	s_and_saveexec_b64 s[28:29], vcc
	s_xor_b64 s[34:35], exec, s[28:29]
	s_cbranch_execz .LBB4_12952
; %bb.12935:                            ;   in Loop: Header=BB4_12085 Depth=3
	v_and_b32_e32 v2, 0x7fffffff, v14
	v_cmp_gt_u64_e32 vcc, s[72:73], v[2:3]
	v_and_b32_sdwa v39, v14, s70 dst_sel:DWORD dst_unused:UNUSED_PAD src0_sel:BYTE_3 src1_sel:DWORD
                                        ; implicit-def: $vgpr24
	s_and_saveexec_b64 s[28:29], vcc
	s_xor_b64 s[36:37], exec, s[28:29]
	s_cbranch_execz .LBB4_12949
; %bb.12936:                            ;   in Loop: Header=BB4_12085 Depth=3
	v_cmp_ne_u32_e32 vcc, 0, v14
	v_mov_b32_e32 v24, 0
	s_and_saveexec_b64 s[38:39], vcc
	s_cbranch_execz .LBB4_12948
; %bb.12937:                            ;   in Loop: Header=BB4_12085 Depth=3
	v_bfe_u32 v24, v14, 23, 8
	v_and_b32_e32 v2, 0x7fffff, v14
	v_cmp_gt_u32_e64 s[28:29], s71, v24
	v_sub_u32_e32 v14, 0x79, v24
	v_cmp_eq_u32_e32 vcc, 0, v24
	v_cndmask_b32_e64 v14, 0, v14, s[28:29]
	v_mov_b32_e32 v22, 0x78
	v_cndmask_b32_e32 v49, v14, v22, vcc
	v_or_b32_e32 v15, 0x800000, v2
	v_add_u32_e32 v14, 20, v49
	v_cndmask_b32_e32 v2, v15, v2, vcc
	v_lshlrev_b64 v[14:15], v14, -1
	v_add_u32_e32 v22, 19, v49
	v_lshlrev_b64 v[50:51], v22, 1
	v_bfi_b32 v15, v15, 0, 0
	v_bfi_b32 v14, v14, 0, v2
	v_cmp_eq_u64_e64 s[28:29], v[14:15], v[50:51]
	v_lshrrev_b64 v[14:15], v49, v[2:3]
	v_mov_b32_e32 v54, v15
	v_mov_b32_e32 v53, v14
	s_and_saveexec_b64 s[48:49], s[28:29]
; %bb.12938:                            ;   in Loop: Header=BB4_12085 Depth=3
	v_bfe_u32 v2, v14, 20, 1
	v_add_co_u32_e64 v2, s[28:29], v14, v2
	v_add_co_u32_e64 v53, s[28:29], -1, v2
; %bb.12939:                            ;   in Loop: Header=BB4_12085 Depth=3
	s_or_b64 exec, exec, s[48:49]
	v_add_u32_e32 v2, 0xffffff81, v24
	v_mov_b32_e32 v15, 0xffffff82
	v_cndmask_b32_e32 v2, v2, v15, vcc
	v_lshrrev_b32_e32 v15, 23, v14
	v_add3_u32 v50, v49, v2, v15
	v_add_u32_e32 v24, 6, v50
	v_and_b32_e32 v2, 0xfffff, v53
	v_add_u32_e32 v2, v2, v14
	v_cmp_ne_u32_e32 vcc, 0, v24
                                        ; implicit-def: $vgpr14_vgpr15
                                        ; implicit-def: $vgpr49
	s_and_saveexec_b64 s[28:29], vcc
	s_xor_b64 s[28:29], exec, s[28:29]
; %bb.12940:                            ;   in Loop: Header=BB4_12085 Depth=3
	v_cmp_lt_u64_e32 vcc, s[74:75], v[2:3]
	v_add_u32_e32 v14, 7, v50
	v_cndmask_b32_e32 v49, v24, v14, vcc
	v_cndmask_b32_e64 v14, 0, 1, vcc
	v_lshrrev_b64 v[14:15], v14, v[2:3]
; %bb.12941:                            ;   in Loop: Header=BB4_12085 Depth=3
	s_andn2_saveexec_b64 s[28:29], s[28:29]
; %bb.12942:                            ;   in Loop: Header=BB4_12085 Depth=3
	v_mov_b32_e32 v15, v3
	v_mov_b32_e32 v14, v2
	v_bfe_u32 v49, v2, 23, 1
; %bb.12943:                            ;   in Loop: Header=BB4_12085 Depth=3
	s_or_b64 exec, exec, s[28:29]
	v_lshrrev_b64 v[14:15], 20, v[14:15]
	v_cmp_gt_i32_e32 vcc, 16, v49
	v_cndmask_b32_e32 v15, 0, v15, vcc
	v_cndmask_b32_e32 v14, 7, v14, vcc
	v_cmp_ne_u64_e32 vcc, 0, v[14:15]
	v_cmp_ne_u32_e64 s[28:29], 0, v49
	s_or_b64 s[28:29], s[28:29], vcc
                                        ; implicit-def: $vgpr24
	s_and_saveexec_b64 s[44:45], s[28:29]
	s_xor_b64 s[28:29], exec, s[44:45]
; %bb.12944:                            ;   in Loop: Header=BB4_12085 Depth=3
	v_min_i32_e32 v2, 15, v49
	v_lshl_or_b32 v2, v2, 3, v39
	v_and_or_b32 v24, v14, 7, v2
                                        ; implicit-def: $vgpr39
; %bb.12945:                            ;   in Loop: Header=BB4_12085 Depth=3
	s_andn2_saveexec_b64 s[28:29], s[28:29]
; %bb.12946:                            ;   in Loop: Header=BB4_12085 Depth=3
	v_mov_b32_e32 v24, v39
; %bb.12947:                            ;   in Loop: Header=BB4_12085 Depth=3
	s_or_b64 exec, exec, s[28:29]
.LBB4_12948:                            ;   in Loop: Header=BB4_12085 Depth=3
	s_or_b64 exec, exec, s[38:39]
                                        ; implicit-def: $vgpr39
.LBB4_12949:                            ;   in Loop: Header=BB4_12085 Depth=3
	s_andn2_saveexec_b64 s[28:29], s[36:37]
; %bb.12950:                            ;   in Loop: Header=BB4_12085 Depth=3
	v_or_b32_e32 v24, 0x7e, v39
; %bb.12951:                            ;   in Loop: Header=BB4_12085 Depth=3
	s_or_b64 exec, exec, s[28:29]
                                        ; implicit-def: $vgpr14
.LBB4_12952:                            ;   in Loop: Header=BB4_12085 Depth=3
	s_andn2_saveexec_b64 s[28:29], s[34:35]
; %bb.12953:                            ;   in Loop: Header=BB4_12085 Depth=3
	v_or_b32_sdwa v24, v14, s68 dst_sel:DWORD dst_unused:UNUSED_PAD src0_sel:BYTE_3 src1_sel:DWORD
; %bb.12954:                            ;   in Loop: Header=BB4_12085 Depth=3
	s_or_b64 exec, exec, s[28:29]
	v_and_b32_e32 v2, 0xff, v21
	v_cmp_ne_u16_e32 vcc, 0, v2
	v_mov_b32_e32 v14, 0
	v_mov_b32_e32 v15, 0
	s_and_saveexec_b64 s[28:29], vcc
	s_cbranch_execz .LBB4_12960
; %bb.12955:                            ;   in Loop: Header=BB4_12085 Depth=3
	v_cmp_ne_u16_e32 vcc, s70, v2
	v_bfrev_b32_e32 v15, 1
	s_and_saveexec_b64 s[34:35], vcc
	s_cbranch_execz .LBB4_12959
; %bb.12956:                            ;   in Loop: Header=BB4_12085 Depth=3
	v_and_b32_e32 v39, 0x7f, v21
	v_cmp_ne_u32_e32 vcc, s68, v39
	v_mov_b32_e32 v15, 0x7f800001
	s_and_saveexec_b64 s[36:37], vcc
	s_cbranch_execz .LBB4_12958
; %bb.12957:                            ;   in Loop: Header=BB4_12085 Depth=3
	v_and_b32_e32 v15, 7, v2
	v_ffbh_u32_e32 v23, v15
	v_min_u32_e32 v23, 32, v23
	v_subrev_u32_e32 v32, 28, v23
	v_lshlrev_b64 v[49:50], v32, v[2:3]
	v_lshrrev_b32_e32 v22, 3, v39
	v_cmp_gt_u32_e32 vcc, 8, v39
	v_sub_u32_e32 v2, 29, v23
	v_and_b32_e32 v23, 7, v49
	v_cndmask_b32_e32 v2, v22, v2, vcc
	v_cndmask_b32_e32 v15, v15, v23, vcc
	v_lshlrev_b32_e32 v21, 24, v21
	v_lshlrev_b32_e32 v15, 20, v15
	v_and_b32_e32 v21, 0x80000000, v21
	v_lshl_add_u32 v2, v2, 23, v5
	v_or3_b32 v15, v21, v2, v15
.LBB4_12958:                            ;   in Loop: Header=BB4_12085 Depth=3
	s_or_b64 exec, exec, s[36:37]
.LBB4_12959:                            ;   in Loop: Header=BB4_12085 Depth=3
	s_or_b64 exec, exec, s[34:35]
.LBB4_12960:                            ;   in Loop: Header=BB4_12085 Depth=3
	s_or_b64 exec, exec, s[28:29]
	v_and_b32_e32 v2, 0xff, v29
	v_cmp_ne_u16_e32 vcc, 0, v2
	s_and_saveexec_b64 s[28:29], vcc
	s_cbranch_execz .LBB4_12966
; %bb.12961:                            ;   in Loop: Header=BB4_12085 Depth=3
	v_cmp_ne_u16_e32 vcc, s70, v2
	v_bfrev_b32_e32 v14, 1
	s_and_saveexec_b64 s[34:35], vcc
	s_cbranch_execz .LBB4_12965
; %bb.12962:                            ;   in Loop: Header=BB4_12085 Depth=3
	v_and_b32_e32 v21, 0x7f, v29
	v_cmp_ne_u32_e32 vcc, s68, v21
	v_mov_b32_e32 v14, 0x7f800001
	s_and_saveexec_b64 s[36:37], vcc
	s_cbranch_execz .LBB4_12964
; %bb.12963:                            ;   in Loop: Header=BB4_12085 Depth=3
	v_and_b32_e32 v14, 7, v2
	v_lshrrev_b32_e32 v22, 3, v21
	v_cmp_gt_u32_e32 vcc, 8, v21
	v_ffbh_u32_e32 v21, v14
	v_min_u32_e32 v21, 32, v21
	v_subrev_u32_e32 v23, 28, v21
	v_lshlrev_b64 v[49:50], v23, v[2:3]
	v_sub_u32_e32 v2, 29, v21
	v_and_b32_e32 v21, 7, v49
	v_cndmask_b32_e32 v2, v22, v2, vcc
	v_cndmask_b32_e32 v14, v14, v21, vcc
	v_lshlrev_b32_e32 v21, 24, v29
	v_lshlrev_b32_e32 v14, 20, v14
	v_and_b32_e32 v21, 0x80000000, v21
	v_lshl_add_u32 v2, v2, 23, v5
	v_or3_b32 v14, v21, v2, v14
.LBB4_12964:                            ;   in Loop: Header=BB4_12085 Depth=3
	s_or_b64 exec, exec, s[36:37]
.LBB4_12965:                            ;   in Loop: Header=BB4_12085 Depth=3
	s_or_b64 exec, exec, s[34:35]
.LBB4_12966:                            ;   in Loop: Header=BB4_12085 Depth=3
	s_or_b64 exec, exec, s[28:29]
	v_add_f32_e32 v14, v15, v14
	v_and_b32_e32 v2, 0x7f800000, v14
	v_cmp_ne_u64_e32 vcc, s[62:63], v[2:3]
                                        ; implicit-def: $vgpr21
	s_and_saveexec_b64 s[28:29], vcc
	s_xor_b64 s[34:35], exec, s[28:29]
	s_cbranch_execz .LBB4_12984
; %bb.12967:                            ;   in Loop: Header=BB4_12085 Depth=3
	v_and_b32_e32 v2, 0x7fffffff, v14
	v_cmp_gt_u64_e32 vcc, s[72:73], v[2:3]
	v_and_b32_sdwa v29, v14, s70 dst_sel:DWORD dst_unused:UNUSED_PAD src0_sel:BYTE_3 src1_sel:DWORD
                                        ; implicit-def: $vgpr21
	s_and_saveexec_b64 s[28:29], vcc
	s_xor_b64 s[36:37], exec, s[28:29]
	s_cbranch_execz .LBB4_12981
; %bb.12968:                            ;   in Loop: Header=BB4_12085 Depth=3
	v_cmp_ne_u32_e32 vcc, 0, v14
	v_mov_b32_e32 v21, 0
	s_and_saveexec_b64 s[38:39], vcc
	s_cbranch_execz .LBB4_12980
; %bb.12969:                            ;   in Loop: Header=BB4_12085 Depth=3
	v_bfe_u32 v21, v14, 23, 8
	v_and_b32_e32 v2, 0x7fffff, v14
	v_cmp_gt_u32_e64 s[28:29], s71, v21
	v_sub_u32_e32 v14, 0x79, v21
	v_cmp_eq_u32_e32 vcc, 0, v21
	v_cndmask_b32_e64 v14, 0, v14, s[28:29]
	v_mov_b32_e32 v22, 0x78
	v_cndmask_b32_e32 v39, v14, v22, vcc
	v_or_b32_e32 v15, 0x800000, v2
	v_add_u32_e32 v14, 20, v39
	v_cndmask_b32_e32 v2, v15, v2, vcc
	v_lshlrev_b64 v[14:15], v14, -1
	v_add_u32_e32 v22, 19, v39
	v_lshlrev_b64 v[49:50], v22, 1
	v_bfi_b32 v15, v15, 0, 0
	v_bfi_b32 v14, v14, 0, v2
	v_cmp_eq_u64_e64 s[28:29], v[14:15], v[49:50]
	v_lshrrev_b64 v[14:15], v39, v[2:3]
	v_mov_b32_e32 v54, v15
	v_mov_b32_e32 v53, v14
	s_and_saveexec_b64 s[48:49], s[28:29]
; %bb.12970:                            ;   in Loop: Header=BB4_12085 Depth=3
	v_bfe_u32 v2, v14, 20, 1
	v_add_co_u32_e64 v2, s[28:29], v14, v2
	v_add_co_u32_e64 v53, s[28:29], -1, v2
; %bb.12971:                            ;   in Loop: Header=BB4_12085 Depth=3
	s_or_b64 exec, exec, s[48:49]
	v_add_u32_e32 v2, 0xffffff81, v21
	v_mov_b32_e32 v15, 0xffffff82
	v_cndmask_b32_e32 v2, v2, v15, vcc
	v_lshrrev_b32_e32 v15, 23, v14
	v_add3_u32 v49, v39, v2, v15
	v_add_u32_e32 v21, 6, v49
	v_and_b32_e32 v2, 0xfffff, v53
	v_add_u32_e32 v2, v2, v14
	v_cmp_ne_u32_e32 vcc, 0, v21
                                        ; implicit-def: $vgpr14_vgpr15
                                        ; implicit-def: $vgpr39
	s_and_saveexec_b64 s[28:29], vcc
	s_xor_b64 s[28:29], exec, s[28:29]
; %bb.12972:                            ;   in Loop: Header=BB4_12085 Depth=3
	v_cmp_lt_u64_e32 vcc, s[74:75], v[2:3]
	v_add_u32_e32 v14, 7, v49
	v_cndmask_b32_e32 v39, v21, v14, vcc
	v_cndmask_b32_e64 v14, 0, 1, vcc
	v_lshrrev_b64 v[14:15], v14, v[2:3]
; %bb.12973:                            ;   in Loop: Header=BB4_12085 Depth=3
	s_andn2_saveexec_b64 s[28:29], s[28:29]
; %bb.12974:                            ;   in Loop: Header=BB4_12085 Depth=3
	v_mov_b32_e32 v15, v3
	v_mov_b32_e32 v14, v2
	v_bfe_u32 v39, v2, 23, 1
; %bb.12975:                            ;   in Loop: Header=BB4_12085 Depth=3
	s_or_b64 exec, exec, s[28:29]
	v_lshrrev_b64 v[14:15], 20, v[14:15]
	v_cmp_gt_i32_e32 vcc, 16, v39
	v_cndmask_b32_e32 v15, 0, v15, vcc
	v_cndmask_b32_e32 v14, 7, v14, vcc
	v_cmp_ne_u64_e32 vcc, 0, v[14:15]
	v_cmp_ne_u32_e64 s[28:29], 0, v39
	s_or_b64 s[28:29], s[28:29], vcc
                                        ; implicit-def: $vgpr21
	s_and_saveexec_b64 s[44:45], s[28:29]
	s_xor_b64 s[28:29], exec, s[44:45]
; %bb.12976:                            ;   in Loop: Header=BB4_12085 Depth=3
	v_min_i32_e32 v2, 15, v39
	v_lshl_or_b32 v2, v2, 3, v29
	v_and_or_b32 v21, v14, 7, v2
                                        ; implicit-def: $vgpr29
; %bb.12977:                            ;   in Loop: Header=BB4_12085 Depth=3
	s_andn2_saveexec_b64 s[28:29], s[28:29]
; %bb.12978:                            ;   in Loop: Header=BB4_12085 Depth=3
	v_mov_b32_e32 v21, v29
; %bb.12979:                            ;   in Loop: Header=BB4_12085 Depth=3
	s_or_b64 exec, exec, s[28:29]
.LBB4_12980:                            ;   in Loop: Header=BB4_12085 Depth=3
	s_or_b64 exec, exec, s[38:39]
                                        ; implicit-def: $vgpr29
.LBB4_12981:                            ;   in Loop: Header=BB4_12085 Depth=3
	s_andn2_saveexec_b64 s[28:29], s[36:37]
; %bb.12982:                            ;   in Loop: Header=BB4_12085 Depth=3
	v_or_b32_e32 v21, 0x7e, v29
; %bb.12983:                            ;   in Loop: Header=BB4_12085 Depth=3
	s_or_b64 exec, exec, s[28:29]
                                        ; implicit-def: $vgpr14
.LBB4_12984:                            ;   in Loop: Header=BB4_12085 Depth=3
	s_andn2_saveexec_b64 s[28:29], s[34:35]
; %bb.12985:                            ;   in Loop: Header=BB4_12085 Depth=3
	v_or_b32_sdwa v21, v14, s68 dst_sel:DWORD dst_unused:UNUSED_PAD src0_sel:BYTE_3 src1_sel:DWORD
; %bb.12986:                            ;   in Loop: Header=BB4_12085 Depth=3
	s_or_b64 exec, exec, s[28:29]
	v_and_b32_e32 v2, 0xff, v4
	v_cmp_ne_u16_e32 vcc, 0, v2
	v_mov_b32_e32 v14, 0
	v_mov_b32_e32 v15, 0
	s_and_saveexec_b64 s[28:29], vcc
	s_cbranch_execz .LBB4_12992
; %bb.12987:                            ;   in Loop: Header=BB4_12085 Depth=3
	v_cmp_ne_u16_e32 vcc, s70, v2
	v_bfrev_b32_e32 v15, 1
	s_and_saveexec_b64 s[34:35], vcc
	s_cbranch_execz .LBB4_12991
; %bb.12988:                            ;   in Loop: Header=BB4_12085 Depth=3
	v_and_b32_e32 v29, 0x7f, v4
	v_cmp_ne_u32_e32 vcc, s68, v29
	v_mov_b32_e32 v15, 0x7f800001
	s_and_saveexec_b64 s[36:37], vcc
	s_cbranch_execz .LBB4_12990
; %bb.12989:                            ;   in Loop: Header=BB4_12085 Depth=3
	v_and_b32_e32 v15, 7, v2
	v_ffbh_u32_e32 v23, v15
	v_min_u32_e32 v23, 32, v23
	v_lshrrev_b32_e32 v22, 3, v29
	v_cmp_gt_u32_e32 vcc, 8, v29
	v_subrev_u32_e32 v29, 28, v23
	v_lshlrev_b64 v[49:50], v29, v[2:3]
	v_sub_u32_e32 v2, 29, v23
	v_and_b32_e32 v23, 7, v49
	v_cndmask_b32_e32 v2, v22, v2, vcc
	v_cndmask_b32_e32 v15, v15, v23, vcc
	v_lshlrev_b32_e32 v4, 24, v4
	v_lshlrev_b32_e32 v15, 20, v15
	v_and_b32_e32 v4, 0x80000000, v4
	v_lshl_add_u32 v2, v2, 23, v5
	v_or3_b32 v15, v4, v2, v15
.LBB4_12990:                            ;   in Loop: Header=BB4_12085 Depth=3
	s_or_b64 exec, exec, s[36:37]
.LBB4_12991:                            ;   in Loop: Header=BB4_12085 Depth=3
	s_or_b64 exec, exec, s[34:35]
.LBB4_12992:                            ;   in Loop: Header=BB4_12085 Depth=3
	s_or_b64 exec, exec, s[28:29]
	v_and_b32_e32 v2, 0xff, v17
	v_cmp_ne_u16_e32 vcc, 0, v2
	s_and_saveexec_b64 s[28:29], vcc
	s_cbranch_execz .LBB4_12998
; %bb.12993:                            ;   in Loop: Header=BB4_12085 Depth=3
	v_cmp_ne_u16_e32 vcc, s70, v2
	v_bfrev_b32_e32 v14, 1
	s_and_saveexec_b64 s[34:35], vcc
	s_cbranch_execz .LBB4_12997
; %bb.12994:                            ;   in Loop: Header=BB4_12085 Depth=3
	v_and_b32_e32 v4, 0x7f, v17
	v_cmp_ne_u32_e32 vcc, s68, v4
	v_mov_b32_e32 v14, 0x7f800001
	s_and_saveexec_b64 s[36:37], vcc
	s_cbranch_execz .LBB4_12996
; %bb.12995:                            ;   in Loop: Header=BB4_12085 Depth=3
	v_and_b32_e32 v14, 7, v2
	v_lshrrev_b32_e32 v22, 3, v4
	v_cmp_gt_u32_e32 vcc, 8, v4
	v_ffbh_u32_e32 v4, v14
	v_min_u32_e32 v4, 32, v4
	v_subrev_u32_e32 v23, 28, v4
	v_lshlrev_b64 v[49:50], v23, v[2:3]
	v_sub_u32_e32 v2, 29, v4
	v_and_b32_e32 v4, 7, v49
	v_cndmask_b32_e32 v2, v22, v2, vcc
	v_cndmask_b32_e32 v4, v14, v4, vcc
	v_lshlrev_b32_e32 v14, 24, v17
	v_lshlrev_b32_e32 v4, 20, v4
	v_and_b32_e32 v14, 0x80000000, v14
	v_lshl_add_u32 v2, v2, 23, v5
	v_or3_b32 v14, v14, v2, v4
.LBB4_12996:                            ;   in Loop: Header=BB4_12085 Depth=3
	s_or_b64 exec, exec, s[36:37]
.LBB4_12997:                            ;   in Loop: Header=BB4_12085 Depth=3
	s_or_b64 exec, exec, s[34:35]
.LBB4_12998:                            ;   in Loop: Header=BB4_12085 Depth=3
	s_or_b64 exec, exec, s[28:29]
	v_add_f32_e32 v14, v15, v14
	v_and_b32_e32 v2, 0x7f800000, v14
	v_cmp_ne_u64_e32 vcc, s[62:63], v[2:3]
                                        ; implicit-def: $vgpr2
	s_and_saveexec_b64 s[28:29], vcc
	s_xor_b64 s[34:35], exec, s[28:29]
	s_cbranch_execz .LBB4_13016
; %bb.12999:                            ;   in Loop: Header=BB4_12085 Depth=3
	v_and_b32_e32 v2, 0x7fffffff, v14
	v_cmp_gt_u64_e32 vcc, s[72:73], v[2:3]
	v_and_b32_sdwa v4, v14, s70 dst_sel:DWORD dst_unused:UNUSED_PAD src0_sel:BYTE_3 src1_sel:DWORD
                                        ; implicit-def: $vgpr2
	s_and_saveexec_b64 s[28:29], vcc
	s_xor_b64 s[36:37], exec, s[28:29]
	s_cbranch_execz .LBB4_13013
; %bb.13000:                            ;   in Loop: Header=BB4_12085 Depth=3
	v_cmp_ne_u32_e32 vcc, 0, v14
	v_mov_b32_e32 v2, 0
	s_and_saveexec_b64 s[38:39], vcc
	s_cbranch_execz .LBB4_13012
; %bb.13001:                            ;   in Loop: Header=BB4_12085 Depth=3
	v_bfe_u32 v17, v14, 23, 8
	v_and_b32_e32 v2, 0x7fffff, v14
	v_cmp_gt_u32_e64 s[28:29], s71, v17
	v_sub_u32_e32 v14, 0x79, v17
	v_cmp_eq_u32_e32 vcc, 0, v17
	v_cndmask_b32_e64 v14, 0, v14, s[28:29]
	v_mov_b32_e32 v22, 0x78
	v_cndmask_b32_e32 v29, v14, v22, vcc
	v_or_b32_e32 v15, 0x800000, v2
	v_add_u32_e32 v14, 20, v29
	v_cndmask_b32_e32 v2, v15, v2, vcc
	v_lshlrev_b64 v[14:15], v14, -1
	v_add_u32_e32 v22, 19, v29
	v_lshlrev_b64 v[49:50], v22, 1
	v_bfi_b32 v15, v15, 0, 0
	v_bfi_b32 v14, v14, 0, v2
	v_cmp_eq_u64_e64 s[28:29], v[14:15], v[49:50]
	v_lshrrev_b64 v[14:15], v29, v[2:3]
	v_mov_b32_e32 v54, v15
	v_mov_b32_e32 v53, v14
	s_and_saveexec_b64 s[48:49], s[28:29]
; %bb.13002:                            ;   in Loop: Header=BB4_12085 Depth=3
	v_bfe_u32 v2, v14, 20, 1
	v_add_co_u32_e64 v2, s[28:29], v14, v2
	v_add_co_u32_e64 v53, s[28:29], -1, v2
; %bb.13003:                            ;   in Loop: Header=BB4_12085 Depth=3
	s_or_b64 exec, exec, s[48:49]
	v_add_u32_e32 v2, 0xffffff81, v17
	v_mov_b32_e32 v15, 0xffffff82
	v_cndmask_b32_e32 v2, v2, v15, vcc
	v_lshrrev_b32_e32 v15, 23, v14
	v_add3_u32 v39, v29, v2, v15
	v_add_u32_e32 v29, 6, v39
	v_and_b32_e32 v2, 0xfffff, v53
	v_add_u32_e32 v2, v2, v14
	v_cmp_ne_u32_e32 vcc, 0, v29
                                        ; implicit-def: $vgpr14_vgpr15
                                        ; implicit-def: $vgpr17
	s_and_saveexec_b64 s[28:29], vcc
	s_xor_b64 s[28:29], exec, s[28:29]
; %bb.13004:                            ;   in Loop: Header=BB4_12085 Depth=3
	v_cmp_lt_u64_e32 vcc, s[74:75], v[2:3]
	v_add_u32_e32 v14, 7, v39
	v_cndmask_b32_e32 v17, v29, v14, vcc
	v_cndmask_b32_e64 v14, 0, 1, vcc
	v_lshrrev_b64 v[14:15], v14, v[2:3]
; %bb.13005:                            ;   in Loop: Header=BB4_12085 Depth=3
	s_andn2_saveexec_b64 s[28:29], s[28:29]
; %bb.13006:                            ;   in Loop: Header=BB4_12085 Depth=3
	v_mov_b32_e32 v15, v3
	v_mov_b32_e32 v14, v2
	v_bfe_u32 v17, v2, 23, 1
; %bb.13007:                            ;   in Loop: Header=BB4_12085 Depth=3
	s_or_b64 exec, exec, s[28:29]
	v_lshrrev_b64 v[14:15], 20, v[14:15]
	v_cmp_gt_i32_e32 vcc, 16, v17
	v_cndmask_b32_e32 v15, 0, v15, vcc
	v_cndmask_b32_e32 v14, 7, v14, vcc
	v_cmp_ne_u64_e32 vcc, 0, v[14:15]
	v_cmp_ne_u32_e64 s[28:29], 0, v17
	s_or_b64 s[28:29], s[28:29], vcc
                                        ; implicit-def: $vgpr2
	s_and_saveexec_b64 s[44:45], s[28:29]
	s_xor_b64 s[28:29], exec, s[44:45]
; %bb.13008:                            ;   in Loop: Header=BB4_12085 Depth=3
	v_min_i32_e32 v2, 15, v17
	v_lshl_or_b32 v2, v2, 3, v4
	v_and_or_b32 v2, v14, 7, v2
                                        ; implicit-def: $vgpr4
; %bb.13009:                            ;   in Loop: Header=BB4_12085 Depth=3
	s_andn2_saveexec_b64 s[28:29], s[28:29]
; %bb.13010:                            ;   in Loop: Header=BB4_12085 Depth=3
	v_mov_b32_e32 v2, v4
; %bb.13011:                            ;   in Loop: Header=BB4_12085 Depth=3
	s_or_b64 exec, exec, s[28:29]
.LBB4_13012:                            ;   in Loop: Header=BB4_12085 Depth=3
	s_or_b64 exec, exec, s[38:39]
                                        ; implicit-def: $vgpr4
.LBB4_13013:                            ;   in Loop: Header=BB4_12085 Depth=3
	s_andn2_saveexec_b64 s[28:29], s[36:37]
; %bb.13014:                            ;   in Loop: Header=BB4_12085 Depth=3
	v_or_b32_e32 v2, 0x7e, v4
; %bb.13015:                            ;   in Loop: Header=BB4_12085 Depth=3
	s_or_b64 exec, exec, s[28:29]
                                        ; implicit-def: $vgpr14
.LBB4_13016:                            ;   in Loop: Header=BB4_12085 Depth=3
	s_andn2_saveexec_b64 s[28:29], s[34:35]
	s_cbranch_execz .LBB4_12084
; %bb.13017:                            ;   in Loop: Header=BB4_12085 Depth=3
	v_or_b32_sdwa v2, v14, s68 dst_sel:DWORD dst_unused:UNUSED_PAD src0_sel:BYTE_3 src1_sel:DWORD
	s_branch .LBB4_12084
.LBB4_13018:                            ;   in Loop: Header=BB4_6132 Depth=2
	s_or_b64 exec, exec, s[30:31]
.LBB4_13019:                            ;   in Loop: Header=BB4_6132 Depth=2
	s_or_b64 exec, exec, s[42:43]
	v_lshlrev_b32_e32 v2, 10, v18
	v_cmp_ne_u32_e32 vcc, v6, v2
	s_and_b64 exec, exec, vcc
	s_cbranch_execz .LBB4_13086
; %bb.13020:                            ;   in Loop: Header=BB4_6132 Depth=2
	v_lshlrev_b32_e32 v0, 6, v0
	v_sub_u32_e32 v0, v7, v0
	v_lshlrev_b32_e32 v4, 6, v16
	v_sub_u32_e32 v0, v0, v4
	v_add_u32_e32 v2, v2, v0
	v_sub_u32_e32 v0, v6, v2
	v_cmp_lt_i32_e32 vcc, 0, v0
	s_and_b64 exec, exec, vcc
	s_cbranch_execz .LBB4_13086
; %bb.13021:                            ;   in Loop: Header=BB4_6132 Depth=2
	s_trap 2
	ds_read_b128 v[8:11], v0
	v_add_u32_e32 v4, v2, v1
	ds_read_b64 v[1:2], v0
	v_ashrrev_i32_e32 v6, 31, v4
	s_mov_b64 s[42:43], 0
	s_waitcnt lgkmcnt(0)
	v_add_co_u32_e32 v8, vcc, v8, v4
	v_addc_co_u32_e32 v9, vcc, v9, v6, vcc
	v_add_co_u32_e32 v10, vcc, v10, v4
	v_addc_co_u32_e32 v11, vcc, v11, v6, vcc
	;; [unrolled: 2-line block ×3, first 2 shown]
	s_branch .LBB4_13023
.LBB4_13022:                            ;   in Loop: Header=BB4_13023 Depth=3
	s_or_b64 exec, exec, s[28:29]
	buffer_load_dword v1, off, s[0:3], s33 offset:104 ; 4-byte Folded Reload
	s_waitcnt vmcnt(0)
	v_add_co_u32_e32 v8, vcc, v8, v1
	v_addc_co_u32_e32 v9, vcc, 0, v9, vcc
	v_add_co_u32_e32 v10, vcc, v10, v1
	v_addc_co_u32_e32 v11, vcc, 0, v11, vcc
	v_sub_u32_e32 v0, v0, v1
	v_cmp_gt_i32_e32 vcc, 1, v0
	flat_store_byte v[12:13], v2 glc slc
	s_or_b64 s[42:43], vcc, s[42:43]
	v_add_co_u32_e32 v12, vcc, v12, v1
	v_addc_co_u32_e32 v13, vcc, 0, v13, vcc
	s_andn2_b64 exec, exec, s[42:43]
	s_cbranch_execz .LBB4_13086
.LBB4_13023:                            ;   Parent Loop BB4_47 Depth=1
                                        ;     Parent Loop BB4_6132 Depth=2
                                        ; =>    This Inner Loop Header: Depth=3
	s_trap 2
	ds_read_b64 v[14:15], v0
	s_waitcnt lgkmcnt(0)
	v_cmp_eq_u32_sdwa s[44:45], v14, v3 src0_sel:BYTE_0 src1_sel:DWORD
	v_readfirstlane_b32 s28, v14
	v_readfirstlane_b32 s29, v15
	s_and_b64 vcc, exec, s[44:45]
	s_cbranch_vccnz .LBB4_13027
; %bb.13024:                            ;   in Loop: Header=BB4_13023 Depth=3
	v_cmp_eq_u32_sdwa vcc, v14, s70 src0_sel:BYTE_0 src1_sel:DWORD
	s_brev_b32 s44, 1
	s_and_b64 vcc, exec, vcc
	s_cbranch_vccnz .LBB4_13028
; %bb.13025:                            ;   in Loop: Header=BB4_13023 Depth=3
	s_and_b32 s45, s28, 0x7f
	s_cmpk_eq_i32 s45, 0x7f
	s_mov_b32 s44, 0x7f800001
	s_cbranch_scc1 .LBB4_13028
; %bb.13026:                            ;   in Loop: Header=BB4_13023 Depth=3
	s_and_b32 s44, s28, 7
	s_flbit_i32_b32 s44, s44
	s_min_u32 s44, s44, 32
	s_lshr_b32 vcc_lo, s45, 3
	s_sub_i32 vcc_hi, s44, 28
	s_sub_i32 s44, 29, s44
	s_cmp_lt_u32 s45, 8
	s_cselect_b32 vcc_lo, s44, vcc_lo
	s_cselect_b32 s44, vcc_hi, 0
	s_lshl_b64 s[44:45], s[28:29], s44
	s_lshl_b32 s29, s44, 20
	s_lshl_b32 s28, s28, 24
	s_lshl_b32 s44, vcc_lo, 23
	s_and_b32 s28, s28, 0x80000000
	s_add_i32 s44, s44, 0x3c000000
	s_and_b32 s29, s29, 0x700000
	s_or_b32 s28, s28, s44
	s_or_b32 s44, s28, s29
	s_branch .LBB4_13028
.LBB4_13027:                            ;   in Loop: Header=BB4_13023 Depth=3
	s_mov_b32 s44, 0
.LBB4_13028:                            ;   in Loop: Header=BB4_13023 Depth=3
	flat_load_ubyte v1, v[8:9] glc slc
	v_mov_b32_e32 v4, 0
	s_waitcnt vmcnt(0) lgkmcnt(0)
	v_cmp_ne_u16_e32 vcc, 0, v1
	s_and_saveexec_b64 s[28:29], vcc
	s_cbranch_execz .LBB4_13034
; %bb.13029:                            ;   in Loop: Header=BB4_13023 Depth=3
	v_cmp_ne_u16_e32 vcc, s70, v1
	v_bfrev_b32_e32 v4, 1
	s_and_saveexec_b64 s[30:31], vcc
	s_cbranch_execz .LBB4_13033
; %bb.13030:                            ;   in Loop: Header=BB4_13023 Depth=3
	v_and_b32_e32 v2, 0xffff, v1
	v_and_b32_e32 v6, 0x7f, v2
	v_cmp_ne_u32_e32 vcc, s68, v6
	v_mov_b32_e32 v4, 0x7f800001
	s_and_saveexec_b64 s[34:35], vcc
	s_cbranch_execz .LBB4_13032
; %bb.13031:                            ;   in Loop: Header=BB4_13023 Depth=3
	v_and_b32_e32 v4, 7, v2
	v_lshrrev_b32_e32 v14, 3, v6
	v_cmp_gt_u32_e32 vcc, 8, v6
	v_ffbh_u32_e32 v6, v4
	v_min_u32_e32 v15, 32, v6
	v_subrev_u32_e32 v6, 28, v15
	v_lshlrev_b64 v[6:7], v6, v[2:3]
	v_sub_u32_e32 v2, 29, v15
	v_and_b32_e32 v6, 7, v6
	v_cndmask_b32_e32 v2, v14, v2, vcc
	v_cndmask_b32_e32 v4, v4, v6, vcc
	v_lshlrev_b32_e32 v1, 24, v1
	v_lshlrev_b32_e32 v4, 20, v4
	v_and_b32_e32 v1, 0x80000000, v1
	v_lshl_add_u32 v2, v2, 23, v5
	v_or3_b32 v4, v1, v2, v4
.LBB4_13032:                            ;   in Loop: Header=BB4_13023 Depth=3
	s_or_b64 exec, exec, s[34:35]
.LBB4_13033:                            ;   in Loop: Header=BB4_13023 Depth=3
	s_or_b64 exec, exec, s[30:31]
.LBB4_13034:                            ;   in Loop: Header=BB4_13023 Depth=3
	s_or_b64 exec, exec, s[28:29]
	v_mul_f32_e32 v6, s44, v4
	v_and_b32_e32 v2, 0x7f800000, v6
	v_cmp_ne_u64_e32 vcc, s[62:63], v[2:3]
                                        ; implicit-def: $vgpr4
	s_and_saveexec_b64 s[28:29], vcc
	s_xor_b64 s[30:31], exec, s[28:29]
	s_cbranch_execz .LBB4_13052
; %bb.13035:                            ;   in Loop: Header=BB4_13023 Depth=3
	v_and_b32_e32 v2, 0x7fffffff, v6
	v_cmp_gt_u64_e32 vcc, s[72:73], v[2:3]
	v_and_b32_sdwa v1, v6, s70 dst_sel:DWORD dst_unused:UNUSED_PAD src0_sel:BYTE_3 src1_sel:DWORD
                                        ; implicit-def: $vgpr4
	s_and_saveexec_b64 s[28:29], vcc
	s_xor_b64 s[34:35], exec, s[28:29]
	s_cbranch_execz .LBB4_13049
; %bb.13036:                            ;   in Loop: Header=BB4_13023 Depth=3
	v_cmp_ne_u32_e32 vcc, 0, v6
	v_mov_b32_e32 v4, 0
	s_and_saveexec_b64 s[36:37], vcc
	s_cbranch_execz .LBB4_13048
; %bb.13037:                            ;   in Loop: Header=BB4_13023 Depth=3
	v_bfe_u32 v4, v6, 23, 8
	v_and_b32_e32 v2, 0x7fffff, v6
	v_cmp_gt_u32_e64 s[28:29], s71, v4
	v_sub_u32_e32 v6, 0x79, v4
	v_cmp_eq_u32_e32 vcc, 0, v4
	v_cndmask_b32_e64 v6, 0, v6, s[28:29]
	v_mov_b32_e32 v14, 0x78
	v_or_b32_e32 v7, 0x800000, v2
	v_cndmask_b32_e32 v6, v6, v14, vcc
	v_cndmask_b32_e32 v2, v7, v2, vcc
	v_add_u32_e32 v7, 20, v6
	v_lshlrev_b64 v[14:15], v7, -1
	v_add_u32_e32 v7, 19, v6
	v_lshlrev_b64 v[16:17], v7, 1
	v_bfi_b32 v15, v15, 0, 0
	v_bfi_b32 v14, v14, 0, v2
	v_cmp_eq_u64_e64 s[28:29], v[14:15], v[16:17]
	v_lshrrev_b64 v[14:15], v6, v[2:3]
	v_mov_b32_e32 v54, v15
	v_mov_b32_e32 v53, v14
	s_and_saveexec_b64 s[38:39], s[28:29]
; %bb.13038:                            ;   in Loop: Header=BB4_13023 Depth=3
	v_bfe_u32 v2, v14, 20, 1
	v_add_co_u32_e64 v2, s[28:29], v14, v2
	v_add_co_u32_e64 v53, s[28:29], -1, v2
; %bb.13039:                            ;   in Loop: Header=BB4_13023 Depth=3
	s_or_b64 exec, exec, s[38:39]
	v_add_u32_e32 v2, 0xffffff81, v4
	v_mov_b32_e32 v4, 0xffffff82
	v_cndmask_b32_e32 v2, v2, v4, vcc
	v_lshrrev_b32_e32 v4, 23, v14
	v_add3_u32 v7, v6, v2, v4
	v_add_u32_e32 v4, 6, v7
	v_and_b32_e32 v2, 0xfffff, v53
	v_add_u32_e32 v2, v2, v14
	v_cmp_ne_u32_e32 vcc, 0, v4
                                        ; implicit-def: $vgpr14_vgpr15
                                        ; implicit-def: $vgpr6
	s_and_saveexec_b64 s[28:29], vcc
	s_xor_b64 s[28:29], exec, s[28:29]
; %bb.13040:                            ;   in Loop: Header=BB4_13023 Depth=3
	v_cmp_lt_u64_e32 vcc, s[74:75], v[2:3]
	v_add_u32_e32 v6, 7, v7
	v_cndmask_b32_e32 v6, v4, v6, vcc
	v_cndmask_b32_e64 v4, 0, 1, vcc
	v_lshrrev_b64 v[14:15], v4, v[2:3]
; %bb.13041:                            ;   in Loop: Header=BB4_13023 Depth=3
	s_andn2_saveexec_b64 s[28:29], s[28:29]
; %bb.13042:                            ;   in Loop: Header=BB4_13023 Depth=3
	v_mov_b32_e32 v15, v3
	v_mov_b32_e32 v14, v2
	v_bfe_u32 v6, v2, 23, 1
; %bb.13043:                            ;   in Loop: Header=BB4_13023 Depth=3
	s_or_b64 exec, exec, s[28:29]
	v_lshrrev_b64 v[14:15], 20, v[14:15]
	v_cmp_gt_i32_e32 vcc, 16, v6
	v_cndmask_b32_e32 v15, 0, v15, vcc
	v_cndmask_b32_e32 v14, 7, v14, vcc
	v_cmp_ne_u64_e32 vcc, 0, v[14:15]
	v_cmp_ne_u32_e64 s[28:29], 0, v6
	s_or_b64 s[28:29], s[28:29], vcc
                                        ; implicit-def: $vgpr4
	s_and_saveexec_b64 s[44:45], s[28:29]
	s_xor_b64 s[28:29], exec, s[44:45]
; %bb.13044:                            ;   in Loop: Header=BB4_13023 Depth=3
	v_min_i32_e32 v2, 15, v6
	v_lshl_or_b32 v1, v2, 3, v1
	v_and_or_b32 v4, v14, 7, v1
                                        ; implicit-def: $vgpr1
; %bb.13045:                            ;   in Loop: Header=BB4_13023 Depth=3
	s_andn2_saveexec_b64 s[28:29], s[28:29]
; %bb.13046:                            ;   in Loop: Header=BB4_13023 Depth=3
	v_mov_b32_e32 v4, v1
; %bb.13047:                            ;   in Loop: Header=BB4_13023 Depth=3
	s_or_b64 exec, exec, s[28:29]
.LBB4_13048:                            ;   in Loop: Header=BB4_13023 Depth=3
	s_or_b64 exec, exec, s[36:37]
                                        ; implicit-def: $vgpr1
.LBB4_13049:                            ;   in Loop: Header=BB4_13023 Depth=3
	s_andn2_saveexec_b64 s[28:29], s[34:35]
; %bb.13050:                            ;   in Loop: Header=BB4_13023 Depth=3
	v_or_b32_e32 v4, 0x7e, v1
; %bb.13051:                            ;   in Loop: Header=BB4_13023 Depth=3
	s_or_b64 exec, exec, s[28:29]
                                        ; implicit-def: $vgpr6
.LBB4_13052:                            ;   in Loop: Header=BB4_13023 Depth=3
	s_andn2_saveexec_b64 s[28:29], s[30:31]
; %bb.13053:                            ;   in Loop: Header=BB4_13023 Depth=3
	v_or_b32_sdwa v4, v6, s68 dst_sel:DWORD dst_unused:UNUSED_PAD src0_sel:BYTE_3 src1_sel:DWORD
; %bb.13054:                            ;   in Loop: Header=BB4_13023 Depth=3
	s_or_b64 exec, exec, s[28:29]
	flat_load_ubyte v6, v[10:11] glc slc
	v_and_b32_e32 v2, 0xff, v4
	v_cmp_ne_u16_e32 vcc, 0, v2
	v_mov_b32_e32 v1, 0
	v_mov_b32_e32 v7, 0
	s_and_saveexec_b64 s[28:29], vcc
	s_cbranch_execz .LBB4_13060
; %bb.13055:                            ;   in Loop: Header=BB4_13023 Depth=3
	v_cmp_ne_u16_e32 vcc, s70, v2
	v_bfrev_b32_e32 v7, 1
	s_and_saveexec_b64 s[30:31], vcc
	s_cbranch_execz .LBB4_13059
; %bb.13056:                            ;   in Loop: Header=BB4_13023 Depth=3
	v_and_b32_e32 v14, 0x7f, v4
	v_cmp_ne_u32_e32 vcc, s68, v14
	v_mov_b32_e32 v7, 0x7f800001
	s_and_saveexec_b64 s[34:35], vcc
	s_cbranch_execz .LBB4_13058
; %bb.13057:                            ;   in Loop: Header=BB4_13023 Depth=3
	v_and_b32_e32 v7, 7, v2
	v_lshrrev_b32_e32 v16, 3, v14
	v_cmp_gt_u32_e32 vcc, 8, v14
	v_ffbh_u32_e32 v14, v7
	v_min_u32_e32 v17, 32, v14
	v_subrev_u32_e32 v14, 28, v17
	v_lshlrev_b64 v[14:15], v14, v[2:3]
	v_sub_u32_e32 v2, 29, v17
	v_and_b32_e32 v14, 7, v14
	v_cndmask_b32_e32 v2, v16, v2, vcc
	v_cndmask_b32_e32 v7, v7, v14, vcc
	v_lshlrev_b32_e32 v4, 24, v4
	v_lshlrev_b32_e32 v7, 20, v7
	v_and_b32_e32 v4, 0x80000000, v4
	v_lshl_add_u32 v2, v2, 23, v5
	v_or3_b32 v7, v4, v2, v7
.LBB4_13058:                            ;   in Loop: Header=BB4_13023 Depth=3
	s_or_b64 exec, exec, s[34:35]
.LBB4_13059:                            ;   in Loop: Header=BB4_13023 Depth=3
	s_or_b64 exec, exec, s[30:31]
.LBB4_13060:                            ;   in Loop: Header=BB4_13023 Depth=3
	s_or_b64 exec, exec, s[28:29]
	s_waitcnt vmcnt(0) lgkmcnt(0)
	v_and_b32_e32 v2, 0xff, v6
	v_cmp_ne_u16_e32 vcc, 0, v2
	s_and_saveexec_b64 s[28:29], vcc
	s_cbranch_execz .LBB4_13066
; %bb.13061:                            ;   in Loop: Header=BB4_13023 Depth=3
	v_cmp_ne_u16_e32 vcc, s70, v2
	v_bfrev_b32_e32 v1, 1
	s_and_saveexec_b64 s[30:31], vcc
	s_cbranch_execz .LBB4_13065
; %bb.13062:                            ;   in Loop: Header=BB4_13023 Depth=3
	v_and_b32_e32 v4, 0x7f, v6
	v_cmp_ne_u32_e32 vcc, s68, v4
	v_mov_b32_e32 v1, 0x7f800001
	s_and_saveexec_b64 s[34:35], vcc
	s_cbranch_execz .LBB4_13064
; %bb.13063:                            ;   in Loop: Header=BB4_13023 Depth=3
	v_and_b32_e32 v14, 7, v2
	v_lshlrev_b32_e32 v1, 24, v6
	v_and_b32_e32 v6, 0x80000000, v1
	v_ffbh_u32_e32 v1, v14
	v_lshrrev_b32_e32 v15, 3, v4
	v_cmp_gt_u32_e32 vcc, 8, v4
	v_min_u32_e32 v4, 32, v1
	v_subrev_u32_e32 v1, 28, v4
	v_lshlrev_b64 v[1:2], v1, v[2:3]
	v_sub_u32_e32 v2, 29, v4
	v_and_b32_e32 v1, 7, v1
	v_cndmask_b32_e32 v2, v15, v2, vcc
	v_cndmask_b32_e32 v1, v14, v1, vcc
	v_lshlrev_b32_e32 v1, 20, v1
	v_lshl_add_u32 v2, v2, 23, v5
	v_or3_b32 v1, v6, v2, v1
.LBB4_13064:                            ;   in Loop: Header=BB4_13023 Depth=3
	s_or_b64 exec, exec, s[34:35]
.LBB4_13065:                            ;   in Loop: Header=BB4_13023 Depth=3
	s_or_b64 exec, exec, s[30:31]
.LBB4_13066:                            ;   in Loop: Header=BB4_13023 Depth=3
	s_or_b64 exec, exec, s[28:29]
	v_add_f32_e32 v4, v7, v1
	v_and_b32_e32 v2, 0x7f800000, v4
	v_cmp_ne_u64_e32 vcc, s[62:63], v[2:3]
                                        ; implicit-def: $vgpr2
	s_and_saveexec_b64 s[28:29], vcc
	s_xor_b64 s[30:31], exec, s[28:29]
	s_cbranch_execz .LBB4_13084
; %bb.13067:                            ;   in Loop: Header=BB4_13023 Depth=3
	v_and_b32_e32 v2, 0x7fffffff, v4
	v_cmp_gt_u64_e32 vcc, s[72:73], v[2:3]
	v_and_b32_sdwa v1, v4, s70 dst_sel:DWORD dst_unused:UNUSED_PAD src0_sel:BYTE_3 src1_sel:DWORD
                                        ; implicit-def: $vgpr2
	s_and_saveexec_b64 s[28:29], vcc
	s_xor_b64 s[34:35], exec, s[28:29]
	s_cbranch_execz .LBB4_13081
; %bb.13068:                            ;   in Loop: Header=BB4_13023 Depth=3
	v_cmp_ne_u32_e32 vcc, 0, v4
	v_mov_b32_e32 v2, 0
	s_and_saveexec_b64 s[36:37], vcc
	s_cbranch_execz .LBB4_13080
; %bb.13069:                            ;   in Loop: Header=BB4_13023 Depth=3
	v_and_b32_e32 v2, 0x7fffff, v4
	v_bfe_u32 v4, v4, 23, 8
	v_cmp_gt_u32_e64 s[28:29], s71, v4
	v_sub_u32_e32 v6, 0x79, v4
	v_cmp_eq_u32_e32 vcc, 0, v4
	v_cndmask_b32_e64 v6, 0, v6, s[28:29]
	v_mov_b32_e32 v14, 0x78
	v_or_b32_e32 v7, 0x800000, v2
	v_cndmask_b32_e32 v6, v6, v14, vcc
	v_cndmask_b32_e32 v2, v7, v2, vcc
	v_add_u32_e32 v7, 20, v6
	v_lshlrev_b64 v[14:15], v7, -1
	v_add_u32_e32 v7, 19, v6
	v_lshlrev_b64 v[16:17], v7, 1
	v_bfi_b32 v15, v15, 0, 0
	v_bfi_b32 v14, v14, 0, v2
	v_cmp_eq_u64_e64 s[28:29], v[14:15], v[16:17]
	v_lshrrev_b64 v[14:15], v6, v[2:3]
	v_mov_b32_e32 v54, v15
	v_mov_b32_e32 v53, v14
	s_and_saveexec_b64 s[38:39], s[28:29]
; %bb.13070:                            ;   in Loop: Header=BB4_13023 Depth=3
	v_bfe_u32 v2, v14, 20, 1
	v_add_co_u32_e64 v2, s[28:29], v14, v2
	v_add_co_u32_e64 v53, s[28:29], -1, v2
; %bb.13071:                            ;   in Loop: Header=BB4_13023 Depth=3
	s_or_b64 exec, exec, s[38:39]
	v_add_u32_e32 v2, 0xffffff81, v4
	v_mov_b32_e32 v4, 0xffffff82
	v_cndmask_b32_e32 v2, v2, v4, vcc
	v_lshrrev_b32_e32 v4, 23, v14
	v_add3_u32 v7, v6, v2, v4
	v_add_u32_e32 v6, 6, v7
	v_and_b32_e32 v2, 0xfffff, v53
	v_add_u32_e32 v2, v2, v14
	v_cmp_ne_u32_e32 vcc, 0, v6
                                        ; implicit-def: $vgpr14_vgpr15
                                        ; implicit-def: $vgpr4
	s_and_saveexec_b64 s[28:29], vcc
	s_xor_b64 s[28:29], exec, s[28:29]
; %bb.13072:                            ;   in Loop: Header=BB4_13023 Depth=3
	v_cmp_lt_u64_e32 vcc, s[74:75], v[2:3]
	v_add_u32_e32 v4, 7, v7
	v_cndmask_b32_e32 v4, v6, v4, vcc
	v_cndmask_b32_e64 v6, 0, 1, vcc
	v_lshrrev_b64 v[14:15], v6, v[2:3]
; %bb.13073:                            ;   in Loop: Header=BB4_13023 Depth=3
	s_andn2_saveexec_b64 s[28:29], s[28:29]
; %bb.13074:                            ;   in Loop: Header=BB4_13023 Depth=3
	v_mov_b32_e32 v15, v3
	v_mov_b32_e32 v14, v2
	v_bfe_u32 v4, v2, 23, 1
; %bb.13075:                            ;   in Loop: Header=BB4_13023 Depth=3
	s_or_b64 exec, exec, s[28:29]
	v_lshrrev_b64 v[6:7], 20, v[14:15]
	v_cmp_gt_i32_e32 vcc, 16, v4
	v_cndmask_b32_e32 v15, 0, v7, vcc
	v_cndmask_b32_e32 v14, 7, v6, vcc
	v_cmp_ne_u64_e32 vcc, 0, v[14:15]
	v_cmp_ne_u32_e64 s[28:29], 0, v4
	s_or_b64 s[28:29], s[28:29], vcc
                                        ; implicit-def: $vgpr2
	s_and_saveexec_b64 s[44:45], s[28:29]
	s_xor_b64 s[28:29], exec, s[44:45]
; %bb.13076:                            ;   in Loop: Header=BB4_13023 Depth=3
	v_min_i32_e32 v2, 15, v4
	v_lshl_or_b32 v1, v2, 3, v1
	v_and_or_b32 v2, v14, 7, v1
                                        ; implicit-def: $vgpr1
; %bb.13077:                            ;   in Loop: Header=BB4_13023 Depth=3
	s_andn2_saveexec_b64 s[28:29], s[28:29]
; %bb.13078:                            ;   in Loop: Header=BB4_13023 Depth=3
	v_mov_b32_e32 v2, v1
; %bb.13079:                            ;   in Loop: Header=BB4_13023 Depth=3
	s_or_b64 exec, exec, s[28:29]
.LBB4_13080:                            ;   in Loop: Header=BB4_13023 Depth=3
	s_or_b64 exec, exec, s[36:37]
                                        ; implicit-def: $vgpr1
.LBB4_13081:                            ;   in Loop: Header=BB4_13023 Depth=3
	s_andn2_saveexec_b64 s[28:29], s[34:35]
; %bb.13082:                            ;   in Loop: Header=BB4_13023 Depth=3
	v_or_b32_e32 v2, 0x7e, v1
; %bb.13083:                            ;   in Loop: Header=BB4_13023 Depth=3
	s_or_b64 exec, exec, s[28:29]
                                        ; implicit-def: $vgpr4
.LBB4_13084:                            ;   in Loop: Header=BB4_13023 Depth=3
	s_andn2_saveexec_b64 s[28:29], s[30:31]
	s_cbranch_execz .LBB4_13022
; %bb.13085:                            ;   in Loop: Header=BB4_13023 Depth=3
	v_or_b32_sdwa v2, v4, s68 dst_sel:DWORD dst_unused:UNUSED_PAD src0_sel:BYTE_3 src1_sel:DWORD
	s_branch .LBB4_13022
.LBB4_13086:                            ;   in Loop: Header=BB4_6132 Depth=2
	s_or_b64 exec, exec, s[40:41]
	buffer_load_dword v16, off, s[0:3], s33 offset:272 ; 4-byte Folded Reload
.LBB4_13087:                            ;   in Loop: Header=BB4_6132 Depth=2
	buffer_load_dword v0, off, s[0:3], s33 offset:228 ; 4-byte Folded Reload
	s_waitcnt vmcnt(0)
	v_cmp_lt_i32_e64 s[28:29], 0, v0
	s_and_saveexec_b64 s[40:41], s[10:11]
	s_cbranch_execnz .LBB4_13088
; %bb.13730:                            ;   in Loop: Header=BB4_6132 Depth=2
	s_getpc_b64 s[98:99]
.Lpost_getpc16:
	s_add_u32 s98, s98, (.LBB4_6208-.Lpost_getpc16)&4294967295
	s_addc_u32 s99, s99, (.LBB4_6208-.Lpost_getpc16)>>32
	s_setpc_b64 s[98:99]
.LBB4_13088:                            ;   in Loop: Header=BB4_6132 Depth=2
	s_and_saveexec_b64 s[42:43], s[58:59]
	s_xor_b64 s[42:43], exec, s[42:43]
	s_cbranch_execz .LBB4_13103
; %bb.13089:                            ;   in Loop: Header=BB4_6132 Depth=2
	s_and_saveexec_b64 s[30:31], s[16:17]
	s_cbranch_execz .LBB4_13102
; %bb.13090:                            ;   in Loop: Header=BB4_6132 Depth=2
	s_mov_b64 s[36:37], exec
	v_mbcnt_lo_u32_b32 v0, s36, 0
	v_mbcnt_hi_u32_b32 v0, s37, v0
	v_cmp_eq_u32_e32 vcc, 0, v0
	s_waitcnt vmcnt(0) lgkmcnt(0)
	buffer_wbinvl1_vol
	s_and_saveexec_b64 s[34:35], vcc
	s_cbranch_execz .LBB4_13092
; %bb.13091:                            ;   in Loop: Header=BB4_6132 Depth=2
	s_bcnt1_i32_b64 s44, s[36:37]
	v_mov_b32_e32 v0, s44
	v_mov_b32_e32 v1, v3
	ds_add_u64 v0, v[0:1]
	s_trap 2
.LBB4_13092:                            ;   in Loop: Header=BB4_6132 Depth=2
	s_or_b64 exec, exec, s[34:35]
	s_trap 2
	ds_read_b64 v[0:1], v0
	s_waitcnt lgkmcnt(0)
	buffer_load_dword v6, off, s[0:3], s33 offset:72 ; 4-byte Folded Reload
	buffer_load_dword v7, off, s[0:3], s33 offset:76 ; 4-byte Folded Reload
	;; [unrolled: 1-line block ×3, first 2 shown]
	s_waitcnt vmcnt(0)
	v_add_co_u32_e32 v6, vcc, v6, v2
	v_addc_co_u32_e32 v7, vcc, 0, v7, vcc
	buffer_store_dword v6, off, s[0:3], s33 offset:72 ; 4-byte Folded Spill
	s_nop 0
	buffer_store_dword v7, off, s[0:3], s33 offset:76 ; 4-byte Folded Spill
	v_cmp_lt_u64_e32 vcc, v[0:1], v[6:7]
	s_and_saveexec_b64 s[34:35], vcc
	s_cbranch_execz .LBB4_13101
; %bb.13093:                            ;   in Loop: Header=BB4_6132 Depth=2
	s_mov_b32 s44, 0
	s_mov_b64 s[36:37], 0
                                        ; implicit-def: $sgpr38_sgpr39
                                        ; implicit-def: $sgpr48_sgpr49
	s_branch .LBB4_13095
.LBB4_13094:                            ;   in Loop: Header=BB4_13095 Depth=3
	s_or_b64 exec, exec, s[52:53]
	s_and_b64 vcc, exec, vcc
	s_or_b64 s[36:37], vcc, s[36:37]
	s_andn2_b64 vcc, s[38:39], exec
	s_and_b64 s[38:39], s[48:49], exec
	s_or_b64 s[38:39], vcc, s[38:39]
	s_andn2_b64 exec, exec, s[36:37]
	s_cbranch_execz .LBB4_13099
.LBB4_13095:                            ;   Parent Loop BB4_47 Depth=1
                                        ;     Parent Loop BB4_6132 Depth=2
                                        ; =>    This Inner Loop Header: Depth=3
	s_add_i32 s44, s44, 1
	s_cmpk_lg_i32 s44, 0x2710
	s_cselect_b64 s[50:51], -1, 0
	s_and_b64 vcc, exec, s[50:51]
	s_cbranch_vccz .LBB4_13097
; %bb.13096:                            ;   in Loop: Header=BB4_13095 Depth=3
	s_mov_b64 vcc, -1
	s_or_b64 s[48:49], s[48:49], exec
	s_and_saveexec_b64 s[52:53], s[50:51]
	s_cbranch_execz .LBB4_13094
	s_branch .LBB4_13098
.LBB4_13097:                            ;   in Loop: Header=BB4_13095 Depth=3
	s_trap 2
	ds_read_b64 v[0:1], v0
	s_andn2_b64 s[50:51], s[50:51], exec
	s_mov_b32 s44, 0
	s_waitcnt vmcnt(0) lgkmcnt(0)
	flat_load_dword v0, v[0:1] glc
	s_waitcnt vmcnt(0) lgkmcnt(0)
	buffer_wbinvl1_vol
	v_cmp_eq_u32_e32 vcc, 0, v0
	s_and_b64 vcc, vcc, exec
	s_or_b64 s[50:51], s[50:51], vcc
	s_mov_b64 vcc, -1
	s_or_b64 s[48:49], s[48:49], exec
	s_and_saveexec_b64 s[52:53], s[50:51]
	s_cbranch_execz .LBB4_13094
.LBB4_13098:                            ;   in Loop: Header=BB4_13095 Depth=3
	s_sleep 1
	s_trap 2
	ds_read_b64 v[0:1], v0
	s_waitcnt lgkmcnt(0)
	buffer_load_dword v6, off, s[0:3], s33 offset:72 ; 4-byte Folded Reload
	buffer_load_dword v7, off, s[0:3], s33 offset:76 ; 4-byte Folded Reload
	s_andn2_b64 s[48:49], s[48:49], exec
	s_waitcnt vmcnt(0)
	v_cmp_ge_u64_e32 vcc, v[0:1], v[6:7]
	s_orn2_b64 vcc, vcc, exec
	s_branch .LBB4_13094
.LBB4_13099:                            ;   in Loop: Header=BB4_6132 Depth=2
	s_or_b64 exec, exec, s[36:37]
	s_and_saveexec_b64 s[44:45], s[38:39]
	s_xor_b64 s[44:45], exec, s[44:45]
	s_cbranch_execz .LBB4_13101
; %bb.13100:                            ;   in Loop: Header=BB4_6132 Depth=2
	v_mov_b32_e32 v0, 1
	ds_write_b32 v0, v0
	s_trap 2
.LBB4_13101:                            ;   in Loop: Header=BB4_6132 Depth=2
	s_or_b64 exec, exec, s[34:35]
	;;#ASMSTART
	s_wakeup
	;;#ASMEND
.LBB4_13102:                            ;   in Loop: Header=BB4_6132 Depth=2
	s_or_b64 exec, exec, s[30:31]
.LBB4_13103:                            ;   in Loop: Header=BB4_6132 Depth=2
	s_andn2_saveexec_b64 s[42:43], s[42:43]
	s_cbranch_execz .LBB4_13105
; %bb.13104:                            ;   in Loop: Header=BB4_6132 Depth=2
	s_waitcnt vmcnt(0) lgkmcnt(0)
	buffer_wbinvl1_vol
	s_barrier
.LBB4_13105:                            ;   in Loop: Header=BB4_6132 Depth=2
	s_or_b64 exec, exec, s[42:43]
	s_or_b64 exec, exec, s[40:41]
                                        ; implicit-def: $vgpr0
	s_and_saveexec_b64 s[40:41], s[24:25]
	s_xor_b64 s[40:41], exec, s[40:41]
	s_cbranch_execz .LBB4_13106
; %bb.13732:                            ;   in Loop: Header=BB4_6132 Depth=2
	s_getpc_b64 s[98:99]
.Lpost_getpc17:
	s_add_u32 s98, s98, (.LBB4_6209-.Lpost_getpc17)&4294967295
	s_addc_u32 s99, s99, (.LBB4_6209-.Lpost_getpc17)>>32
	s_setpc_b64 s[98:99]
.LBB4_13106:                            ;   in Loop: Header=BB4_6132 Depth=2
	s_andn2_saveexec_b64 s[28:29], s[40:41]
	s_cbranch_execz .LBB4_13125
.LBB4_13107:                            ;   in Loop: Header=BB4_6132 Depth=2
	s_and_saveexec_b64 s[40:41], s[58:59]
	s_xor_b64 s[40:41], exec, s[40:41]
	s_cbranch_execz .LBB4_13122
; %bb.13108:                            ;   in Loop: Header=BB4_6132 Depth=2
	s_and_saveexec_b64 s[42:43], s[16:17]
	s_cbranch_execz .LBB4_13121
; %bb.13109:                            ;   in Loop: Header=BB4_6132 Depth=2
	s_mov_b64 s[34:35], exec
	v_mbcnt_lo_u32_b32 v0, s34, 0
	v_mbcnt_hi_u32_b32 v0, s35, v0
	v_cmp_eq_u32_e32 vcc, 0, v0
	;;#ASMSTART
	s_waitcnt lgkmcnt(0) vmcnt(0)
	;;#ASMEND
	s_and_saveexec_b64 s[30:31], vcc
	s_cbranch_execz .LBB4_13111
; %bb.13110:                            ;   in Loop: Header=BB4_6132 Depth=2
	s_bcnt1_i32_b64 s44, s[34:35]
	v_mov_b32_e32 v0, s44
	v_mov_b32_e32 v1, v3
	s_waitcnt lgkmcnt(0)
	ds_add_u64 v0, v[0:1]
	s_trap 2
.LBB4_13111:                            ;   in Loop: Header=BB4_6132 Depth=2
	s_or_b64 exec, exec, s[30:31]
	s_trap 2
	ds_read_b64 v[0:1], v0
	s_waitcnt lgkmcnt(0)
	buffer_load_dword v6, off, s[0:3], s33 offset:72 ; 4-byte Folded Reload
	buffer_load_dword v7, off, s[0:3], s33 offset:76 ; 4-byte Folded Reload
	;; [unrolled: 1-line block ×3, first 2 shown]
	s_waitcnt vmcnt(0)
	v_add_co_u32_e32 v6, vcc, v6, v2
	v_addc_co_u32_e32 v7, vcc, 0, v7, vcc
	buffer_store_dword v6, off, s[0:3], s33 offset:72 ; 4-byte Folded Spill
	s_nop 0
	buffer_store_dword v7, off, s[0:3], s33 offset:76 ; 4-byte Folded Spill
	v_cmp_lt_u64_e32 vcc, v[0:1], v[6:7]
	s_and_saveexec_b64 s[30:31], vcc
	s_cbranch_execz .LBB4_13120
; %bb.13112:                            ;   in Loop: Header=BB4_6132 Depth=2
	s_mov_b32 s44, 0
	s_mov_b64 s[34:35], 0
                                        ; implicit-def: $sgpr36_sgpr37
                                        ; implicit-def: $sgpr38_sgpr39
	s_branch .LBB4_13114
.LBB4_13113:                            ;   in Loop: Header=BB4_13114 Depth=3
	s_or_b64 exec, exec, s[50:51]
	s_and_b64 vcc, exec, vcc
	s_or_b64 s[34:35], vcc, s[34:35]
	s_andn2_b64 vcc, s[36:37], exec
	s_and_b64 s[36:37], s[38:39], exec
	s_or_b64 s[36:37], vcc, s[36:37]
	s_andn2_b64 exec, exec, s[34:35]
	s_cbranch_execz .LBB4_13118
.LBB4_13114:                            ;   Parent Loop BB4_47 Depth=1
                                        ;     Parent Loop BB4_6132 Depth=2
                                        ; =>    This Inner Loop Header: Depth=3
	s_add_i32 s44, s44, 1
	s_cmpk_lg_i32 s44, 0x2710
	s_cselect_b64 s[48:49], -1, 0
	s_and_b64 vcc, exec, s[48:49]
	s_cbranch_vccz .LBB4_13116
; %bb.13115:                            ;   in Loop: Header=BB4_13114 Depth=3
	s_mov_b64 vcc, -1
	s_or_b64 s[38:39], s[38:39], exec
	s_and_saveexec_b64 s[50:51], s[48:49]
	s_cbranch_execz .LBB4_13113
	s_branch .LBB4_13117
.LBB4_13116:                            ;   in Loop: Header=BB4_13114 Depth=3
	s_trap 2
	ds_read_b64 v[0:1], v0
	s_andn2_b64 s[48:49], s[48:49], exec
	s_mov_b32 s44, 0
	s_waitcnt vmcnt(0) lgkmcnt(0)
	flat_load_dword v0, v[0:1] glc
	s_waitcnt vmcnt(0) lgkmcnt(0)
	buffer_wbinvl1_vol
	v_cmp_eq_u32_e32 vcc, 0, v0
	s_and_b64 vcc, vcc, exec
	s_or_b64 s[48:49], s[48:49], vcc
	s_mov_b64 vcc, -1
	s_or_b64 s[38:39], s[38:39], exec
	s_and_saveexec_b64 s[50:51], s[48:49]
	s_cbranch_execz .LBB4_13113
.LBB4_13117:                            ;   in Loop: Header=BB4_13114 Depth=3
	s_sleep 1
	s_trap 2
	ds_read_b64 v[0:1], v0
	s_waitcnt lgkmcnt(0)
	buffer_load_dword v6, off, s[0:3], s33 offset:72 ; 4-byte Folded Reload
	buffer_load_dword v7, off, s[0:3], s33 offset:76 ; 4-byte Folded Reload
	s_andn2_b64 s[38:39], s[38:39], exec
	s_waitcnt vmcnt(0)
	v_cmp_ge_u64_e32 vcc, v[0:1], v[6:7]
	s_orn2_b64 vcc, vcc, exec
	s_branch .LBB4_13113
.LBB4_13118:                            ;   in Loop: Header=BB4_6132 Depth=2
	s_or_b64 exec, exec, s[34:35]
	s_and_saveexec_b64 s[44:45], s[36:37]
	s_xor_b64 s[44:45], exec, s[44:45]
	s_cbranch_execz .LBB4_13120
; %bb.13119:                            ;   in Loop: Header=BB4_6132 Depth=2
	v_mov_b32_e32 v0, 1
	ds_write_b32 v0, v0
	s_trap 2
.LBB4_13120:                            ;   in Loop: Header=BB4_6132 Depth=2
	s_or_b64 exec, exec, s[30:31]
	;;#ASMSTART
	s_wakeup
	;;#ASMEND
.LBB4_13121:                            ;   in Loop: Header=BB4_6132 Depth=2
	s_or_b64 exec, exec, s[42:43]
.LBB4_13122:                            ;   in Loop: Header=BB4_6132 Depth=2
	s_andn2_saveexec_b64 s[40:41], s[40:41]
	s_cbranch_execz .LBB4_13124
; %bb.13123:                            ;   in Loop: Header=BB4_6132 Depth=2
	;;#ASMSTART
	s_waitcnt lgkmcnt(0) vmcnt(0)
	;;#ASMEND
	s_waitcnt vmcnt(0) lgkmcnt(0)
	s_barrier
.LBB4_13124:                            ;   in Loop: Header=BB4_6132 Depth=2
	s_or_b64 exec, exec, s[40:41]
	v_and_b32_e32 v0, 16, v19
.LBB4_13125:                            ;   in Loop: Header=BB4_6132 Depth=2
	s_or_b64 exec, exec, s[28:29]
	v_cmp_ne_u32_e32 vcc, 0, v0
	s_xor_b64 s[28:29], s[12:13], -1
	s_and_b64 s[40:41], vcc, s[28:29]
	s_and_saveexec_b64 s[28:29], s[40:41]
	s_cbranch_execz .LBB4_13127
; %bb.13126:                            ;   in Loop: Header=BB4_6132 Depth=2
	buffer_load_dword v0, off, s[0:3], s33 offset:136 ; 4-byte Folded Reload
	buffer_load_dword v1, off, s[0:3], s33 offset:140 ; 4-byte Folded Reload
	v_mov_b32_e32 v2, 1
	s_waitcnt vmcnt(0)
	flat_store_dword v[0:1], v2
.LBB4_13127:                            ;   in Loop: Header=BB4_6132 Depth=2
	s_or_b64 exec, exec, s[28:29]
	v_and_b32_e32 v0, 48, v19
	v_cmp_ne_u32_e32 vcc, 0, v0
	s_and_saveexec_b64 s[28:29], vcc
	s_cbranch_execnz .LBB4_13128
; %bb.13734:                            ;   in Loop: Header=BB4_6132 Depth=2
	s_getpc_b64 s[98:99]
.Lpost_getpc18:
	s_add_u32 s98, s98, (.LBB4_6131-.Lpost_getpc18)&4294967295
	s_addc_u32 s99, s99, (.LBB4_6131-.Lpost_getpc18)>>32
	s_setpc_b64 s[98:99]
.LBB4_13128:                            ;   in Loop: Header=BB4_6132 Depth=2
	buffer_load_dword v6, off, s[0:3], s33 offset:80 ; 4-byte Folded Reload
	buffer_load_dword v7, off, s[0:3], s33 offset:84 ; 4-byte Folded Reload
	;; [unrolled: 1-line block ×4, first 2 shown]
	s_waitcnt vmcnt(0)
	v_add_co_u32_e32 v6, vcc, 2, v6
	v_addc_co_u32_e32 v7, vcc, 0, v7, vcc
	buffer_store_dword v6, off, s[0:3], s33 offset:80 ; 4-byte Folded Spill
	s_nop 0
	buffer_store_dword v7, off, s[0:3], s33 offset:84 ; 4-byte Folded Spill
	flat_store_dwordx2 v[0:1], v[6:7]
; %bb.13712:                            ;   in Loop: Header=BB4_6132 Depth=2
	s_getpc_b64 s[98:99]
.Lpost_getpc7:
	s_add_u32 s98, s98, (.LBB4_6131-.Lpost_getpc7)&4294967295
	s_addc_u32 s99, s99, (.LBB4_6131-.Lpost_getpc7)>>32
	s_setpc_b64 s[98:99]
.LBB4_13129:                            ;   in Loop: Header=BB4_47 Depth=1
	s_or_b64 exec, exec, s[90:91]
	v_cmp_gt_i32_e32 vcc, 2, v0
	s_and_saveexec_b64 s[40:41], vcc
	s_cbranch_execz .LBB4_13205
.LBB4_13130:                            ;   in Loop: Header=BB4_47 Depth=1
	v_cmp_eq_u32_e64 s[90:91], 0, v0
	buffer_load_dword v17, off, s[0:3], s33 offset:96 ; 4-byte Folded Reload
	buffer_load_dword v18, off, s[0:3], s33 offset:100 ; 4-byte Folded Reload
	;; [unrolled: 1-line block ×3, first 2 shown]
	s_mov_b64 s[42:43], 0
	s_branch .LBB4_13132
.LBB4_13131:                            ;   in Loop: Header=BB4_13132 Depth=2
	s_or_b64 exec, exec, s[28:29]
	v_mov_b32_e32 v0, v18
	v_add_u32_e32 v0, v17, v0
	s_mov_b64 s[90:91], 0
	s_andn2_b64 exec, exec, s[42:43]
	s_cbranch_execz .LBB4_13206
.LBB4_13132:                            ;   Parent Loop BB4_47 Depth=1
                                        ; =>  This Loop Header: Depth=2
                                        ;       Child Loop BB4_13138 Depth 3
                                        ;       Child Loop BB4_13166 Depth 3
	;; [unrolled: 1-line block ×3, first 2 shown]
	s_waitcnt vmcnt(0)
	v_mov_b32_e32 v18, v0
	v_sub_u32_e32 v0, v16, v0
	v_min_i32_e32 v17, v17, v0
	v_and_b32_e32 v0, 12, v19
	v_cmp_ne_u32_e32 vcc, 0, v0
	s_and_saveexec_b64 s[92:93], vcc
	s_cbranch_execz .LBB4_13158
; %bb.13133:                            ;   in Loop: Header=BB4_13132 Depth=2
	buffer_load_dword v1, off, s[0:3], s33 offset:56 ; 4-byte Folded Reload
	buffer_load_dword v2, off, s[0:3], s33 offset:60 ; 4-byte Folded Reload
	;; [unrolled: 1-line block ×4, first 2 shown]
	v_and_b32_e32 v0, 8, v19
	s_waitcnt vmcnt(0)
	v_add_co_u32_e32 v1, vcc, v1, v0
	v_addc_co_u32_e32 v2, vcc, 0, v2, vcc
	v_add_co_u32_e32 v8, vcc, 2, v6
	v_addc_co_u32_e32 v9, vcc, 0, v7, vcc
	v_cmp_lt_u64_e32 vcc, v[1:2], v[8:9]
	s_and_saveexec_b64 s[94:95], vcc
	s_cbranch_execz .LBB4_13145
; %bb.13134:                            ;   in Loop: Header=BB4_13132 Depth=2
	v_and_b32_e32 v1, 64, v19
	s_mov_b32 s44, 0
	v_cmp_eq_u32_e32 vcc, 0, v1
	s_mov_b64 s[30:31], 0
                                        ; implicit-def: $sgpr34_sgpr35
                                        ; implicit-def: $sgpr36_sgpr37
                                        ; implicit-def: $sgpr38_sgpr39
	s_branch .LBB4_13138
.LBB4_13135:                            ;   in Loop: Header=BB4_13138 Depth=3
	buffer_load_dword v6, off, s[0:3], s33 offset:56 ; 4-byte Folded Reload
	buffer_load_dword v7, off, s[0:3], s33 offset:60 ; 4-byte Folded Reload
	s_or_b64 s[52:53], s[52:53], exec
	s_waitcnt vmcnt(1)
	v_add_co_u32_e64 v6, s[28:29], v6, v0
	s_waitcnt vmcnt(0)
	v_addc_co_u32_e64 v7, s[28:29], 0, v7, s[28:29]
	v_cmp_ge_u64_e64 s[28:29], v[6:7], v[8:9]
	s_orn2_b64 s[50:51], s[28:29], exec
.LBB4_13136:                            ;   in Loop: Header=BB4_13138 Depth=3
	s_or_b64 exec, exec, s[64:65]
	s_andn2_b64 s[28:29], s[38:39], exec
	s_and_b64 s[38:39], s[52:53], exec
	s_or_b64 s[38:39], s[28:29], s[38:39]
	s_andn2_b64 s[28:29], s[36:37], exec
	s_and_b64 s[36:37], s[50:51], exec
	s_or_b64 s[36:37], s[28:29], s[36:37]
.LBB4_13137:                            ;   in Loop: Header=BB4_13138 Depth=3
	s_or_b64 exec, exec, s[48:49]
	s_and_b64 s[28:29], exec, s[36:37]
	s_or_b64 s[30:31], s[28:29], s[30:31]
	s_andn2_b64 s[28:29], s[34:35], exec
	s_and_b64 s[34:35], s[38:39], exec
	s_or_b64 s[34:35], s[28:29], s[34:35]
	s_andn2_b64 exec, exec, s[30:31]
	s_cbranch_execz .LBB4_13142
.LBB4_13138:                            ;   Parent Loop BB4_47 Depth=1
                                        ;     Parent Loop BB4_13132 Depth=2
                                        ; =>    This Inner Loop Header: Depth=3
	s_sleep 1
	buffer_load_dword v1, off, s[0:3], s33 offset:64 ; 4-byte Folded Reload
	buffer_load_dword v2, off, s[0:3], s33 offset:68 ; 4-byte Folded Reload
	s_or_b64 s[38:39], s[38:39], exec
	s_or_b64 s[36:37], s[36:37], exec
	s_waitcnt vmcnt(0)
	flat_load_dwordx2 v[1:2], v[1:2] glc
	s_waitcnt vmcnt(0) lgkmcnt(0)
	buffer_store_dword v1, off, s[0:3], s33 offset:56 ; 4-byte Folded Spill
	s_nop 0
	buffer_store_dword v2, off, s[0:3], s33 offset:60 ; 4-byte Folded Spill
                                        ; implicit-def: $vgpr1
	s_and_saveexec_b64 s[48:49], vcc
	s_cbranch_execz .LBB4_13137
; %bb.13139:                            ;   in Loop: Header=BB4_13138 Depth=3
	s_cmpk_lt_i32 s44, 0x270f
	s_cselect_b64 s[54:55], -1, 0
	s_cmpk_gt_i32 s44, 0x270e
	s_mov_b64 s[50:51], -1
	s_cbranch_scc0 .LBB4_13141
; %bb.13140:                            ;   in Loop: Header=BB4_13138 Depth=3
	s_trap 2
	ds_read_b64 v[1:2], v0
	s_andn2_b64 s[54:55], s[54:55], exec
	s_mov_b32 s44, 0
	s_mov_b64 s[52:53], 0
	s_waitcnt vmcnt(0) lgkmcnt(0)
	flat_load_dword v1, v[1:2] glc
	s_waitcnt vmcnt(0) lgkmcnt(0)
	buffer_wbinvl1_vol
	v_cmp_eq_u32_e64 s[28:29], 0, v1
	s_and_b64 s[28:29], s[28:29], exec
	s_or_b64 s[54:55], s[54:55], s[28:29]
	s_and_saveexec_b64 s[64:65], s[54:55]
	s_cbranch_execz .LBB4_13136
	s_branch .LBB4_13135
.LBB4_13141:                            ;   in Loop: Header=BB4_13138 Depth=3
	s_add_i32 s44, s44, 1
	s_mov_b64 s[52:53], -1
                                        ; implicit-def: $vgpr1
	s_and_saveexec_b64 s[64:65], s[54:55]
	s_cbranch_execz .LBB4_13136
	s_branch .LBB4_13135
.LBB4_13142:                            ;   in Loop: Header=BB4_13132 Depth=2
	s_or_b64 exec, exec, s[30:31]
	s_xor_b64 s[28:29], s[34:35], -1
	s_and_saveexec_b64 s[44:45], s[28:29]
	s_xor_b64 s[28:29], exec, s[44:45]
	s_cbranch_execz .LBB4_13144
; %bb.13143:                            ;   in Loop: Header=BB4_13132 Depth=2
	v_or_b32_e32 v19, 64, v19
	ds_write_b32 v0, v1
	s_trap 2
.LBB4_13144:                            ;   in Loop: Header=BB4_13132 Depth=2
	s_or_b64 exec, exec, s[28:29]
.LBB4_13145:                            ;   in Loop: Header=BB4_13132 Depth=2
	s_or_b64 exec, exec, s[94:95]
	v_and_b32_e32 v1, 0x108, v19
	v_cmp_ne_u32_e32 vcc, s81, v1
	;;#ASMSTART
	s_wakeup
	;;#ASMEND
                                        ; implicit-def: $vgpr10_vgpr11
	s_and_saveexec_b64 s[28:29], vcc
	s_xor_b64 s[28:29], exec, s[28:29]
	s_cbranch_execz .LBB4_13147
; %bb.13146:                            ;   in Loop: Header=BB4_13132 Depth=2
	buffer_load_dword v1, off, s[0:3], s33 offset:80 ; 4-byte Folded Reload
	buffer_load_dword v2, off, s[0:3], s33 offset:84 ; 4-byte Folded Reload
	v_mov_b32_e32 v11, v3
	s_waitcnt vmcnt(0)
	v_and_b32_e32 v10, 7, v1
                                        ; implicit-def: $vgpr1_vgpr2
                                        ; kill: killed $vgpr1_vgpr2
.LBB4_13147:                            ;   in Loop: Header=BB4_13132 Depth=2
	s_andn2_saveexec_b64 s[28:29], s[28:29]
	s_cbranch_execz .LBB4_13149
; %bb.13148:                            ;   in Loop: Header=BB4_13132 Depth=2
	buffer_load_dword v1, off, s[0:3], s33 offset:80 ; 4-byte Folded Reload
	buffer_load_dword v2, off, s[0:3], s33 offset:84 ; 4-byte Folded Reload
	;; [unrolled: 1-line block ×6, first 2 shown]
	v_mov_b32_e32 v6, v17
	v_ashrrev_i32_e32 v7, 31, v6
	s_waitcnt vmcnt(0)
	v_and_b32_e32 v10, 7, v1
	v_mad_u64_u32 v[1:2], s[44:45], v10, 24, v[11:12]
	v_mov_b32_e32 v11, v3
	flat_store_dwordx2 v[1:2], v[6:7] offset:8
.LBB4_13149:                            ;   in Loop: Header=BB4_13132 Depth=2
	s_or_b64 exec, exec, s[28:29]
	v_and_b32_e32 v1, 0x100, v19
	v_cmp_ne_u32_e32 vcc, 0, v1
	s_mov_b64 s[28:29], -1
                                        ; implicit-def: $vgpr12_vgpr13
	s_and_saveexec_b64 s[94:95], vcc
	s_cbranch_execz .LBB4_13153
; %bb.13150:                            ;   in Loop: Header=BB4_13132 Depth=2
	buffer_load_dword v12, off, s[0:3], s33 offset:120 ; 4-byte Folded Reload
	buffer_load_dword v13, off, s[0:3], s33 offset:124 ; 4-byte Folded Reload
	;; [unrolled: 1-line block ×4, first 2 shown]
	s_waitcnt vmcnt(0)
	v_mad_u64_u32 v[14:15], s[28:29], v10, 24, v[12:13]
                                        ; implicit-def: $vgpr12_vgpr13
	v_mov_b32_e32 v1, v15
	v_mad_u64_u32 v[1:2], s[28:29], v11, 24, v[1:2]
	v_mov_b32_e32 v15, v1
	flat_load_dword v1, v[14:15]
	s_waitcnt vmcnt(0) lgkmcnt(0)
	v_cmp_ne_u32_e32 vcc, 1, v1
	v_cmp_eq_u32_e64 s[28:29], 1, v1
	s_and_saveexec_b64 s[30:31], s[28:29]
	s_cbranch_execz .LBB4_13152
; %bb.13151:                            ;   in Loop: Header=BB4_13132 Depth=2
	flat_load_dword v12, v[14:15] offset:4 glc
	s_waitcnt vmcnt(0) lgkmcnt(0)
	v_ashrrev_i32_e32 v13, 31, v12
.LBB4_13152:                            ;   in Loop: Header=BB4_13132 Depth=2
	s_or_b64 exec, exec, s[30:31]
	s_orn2_b64 s[28:29], vcc, exec
.LBB4_13153:                            ;   in Loop: Header=BB4_13132 Depth=2
	s_or_b64 exec, exec, s[94:95]
	s_and_saveexec_b64 s[94:95], s[28:29]
	s_cbranch_execz .LBB4_13155
; %bb.13154:                            ;   in Loop: Header=BB4_13132 Depth=2
	buffer_load_dword v4, off, s[0:3], s33 offset:152 ; 4-byte Folded Reload
	buffer_load_dword v2, off, s[0:3], s33 offset:172 ; 4-byte Folded Reload
	s_waitcnt vmcnt(0)
	v_mul_lo_u32 v1, v11, v4
	v_mul_lo_u32 v2, v10, v2
	v_mad_u64_u32 v[12:13], s[28:29], v10, v4, 0
	v_add3_u32 v13, v13, v2, v1
.LBB4_13155:                            ;   in Loop: Header=BB4_13132 Depth=2
	s_or_b64 exec, exec, s[94:95]
	v_cmp_eq_u32_e32 vcc, 0, v0
	v_mov_b32_e32 v0, 0x90
	v_mov_b32_e32 v1, 0xd0
	v_cndmask_b32_e32 v2, v1, v0, vcc
	buffer_load_dword v0, off, s[0:3], s33 offset:112 ; 4-byte Folded Reload
	buffer_load_dword v1, off, s[0:3], s33 offset:116 ; 4-byte Folded Reload
	s_waitcnt vmcnt(0)
	v_add_co_u32_e32 v0, vcc, v0, v12
	v_addc_co_u32_e32 v1, vcc, v1, v13, vcc
	v_add_u32_e32 v2, v0, v2
	ds_write_b64 v2, v[0:1] offset:584
	v_and_b32_e32 v0, 0x2000, v19
	v_cmp_ne_u32_e32 vcc, 0, v0
	s_and_saveexec_b64 s[28:29], vcc
	s_cbranch_execz .LBB4_13157
; %bb.13156:                            ;   in Loop: Header=BB4_13132 Depth=2
	ds_read_b64 v[0:1], v0 offset:872
	s_waitcnt lgkmcnt(0)
	v_add_co_u32_e32 v0, vcc, 1, v0
	v_addc_co_u32_e32 v1, vcc, 0, v1, vcc
	ds_write_b64 v0, v[0:1] offset:872
.LBB4_13157:                            ;   in Loop: Header=BB4_13132 Depth=2
	s_or_b64 exec, exec, s[28:29]
	buffer_store_dword v8, off, s[0:3], s33 offset:80 ; 4-byte Folded Spill
	s_nop 0
	buffer_store_dword v9, off, s[0:3], s33 offset:84 ; 4-byte Folded Spill
.LBB4_13158:                            ;   in Loop: Header=BB4_13132 Depth=2
	s_or_b64 exec, exec, s[92:93]
	s_xor_b64 s[28:29], s[90:91], -1
	s_and_b64 s[28:29], exec, s[28:29]
	s_or_b64 s[42:43], s[28:29], s[42:43]
	s_and_saveexec_b64 s[28:29], s[10:11]
	s_cbranch_execz .LBB4_13177
; %bb.13159:                            ;   in Loop: Header=BB4_13132 Depth=2
	s_and_saveexec_b64 s[44:45], s[58:59]
	s_xor_b64 s[90:91], exec, s[44:45]
	s_cbranch_execz .LBB4_13174
; %bb.13160:                            ;   in Loop: Header=BB4_13132 Depth=2
	s_and_saveexec_b64 s[92:93], s[16:17]
	s_cbranch_execz .LBB4_13173
; %bb.13161:                            ;   in Loop: Header=BB4_13132 Depth=2
	s_mov_b64 s[30:31], exec
	v_mbcnt_lo_u32_b32 v0, s30, 0
	v_mbcnt_hi_u32_b32 v0, s31, v0
	v_cmp_eq_u32_e32 vcc, 0, v0
	s_waitcnt vmcnt(0) lgkmcnt(0)
	buffer_wbinvl1_vol
	s_and_saveexec_b64 s[94:95], vcc
	s_cbranch_execz .LBB4_13163
; %bb.13162:                            ;   in Loop: Header=BB4_13132 Depth=2
	s_bcnt1_i32_b64 s44, s[30:31]
	v_mov_b32_e32 v0, s44
	v_mov_b32_e32 v1, v3
	ds_add_u64 v0, v[0:1]
	s_trap 2
.LBB4_13163:                            ;   in Loop: Header=BB4_13132 Depth=2
	s_or_b64 exec, exec, s[94:95]
	s_trap 2
	ds_read_b64 v[0:1], v0
	s_waitcnt lgkmcnt(0)
	buffer_load_dword v6, off, s[0:3], s33 offset:72 ; 4-byte Folded Reload
	buffer_load_dword v7, off, s[0:3], s33 offset:76 ; 4-byte Folded Reload
	;; [unrolled: 1-line block ×3, first 2 shown]
	s_waitcnt vmcnt(0)
	v_add_co_u32_e32 v6, vcc, v6, v2
	v_addc_co_u32_e32 v7, vcc, 0, v7, vcc
	buffer_store_dword v6, off, s[0:3], s33 offset:72 ; 4-byte Folded Spill
	s_nop 0
	buffer_store_dword v7, off, s[0:3], s33 offset:76 ; 4-byte Folded Spill
	v_cmp_lt_u64_e32 vcc, v[0:1], v[6:7]
	s_and_saveexec_b64 s[94:95], vcc
	s_cbranch_execz .LBB4_13172
; %bb.13164:                            ;   in Loop: Header=BB4_13132 Depth=2
	s_mov_b32 s44, 0
	s_mov_b64 s[30:31], 0
                                        ; implicit-def: $sgpr34_sgpr35
                                        ; implicit-def: $sgpr36_sgpr37
	s_branch .LBB4_13166
.LBB4_13165:                            ;   in Loop: Header=BB4_13166 Depth=3
	s_or_b64 exec, exec, s[48:49]
	s_and_b64 vcc, exec, vcc
	s_or_b64 s[30:31], vcc, s[30:31]
	s_andn2_b64 vcc, s[34:35], exec
	s_and_b64 s[34:35], s[36:37], exec
	s_or_b64 s[34:35], vcc, s[34:35]
	s_andn2_b64 exec, exec, s[30:31]
	s_cbranch_execz .LBB4_13170
.LBB4_13166:                            ;   Parent Loop BB4_47 Depth=1
                                        ;     Parent Loop BB4_13132 Depth=2
                                        ; =>    This Inner Loop Header: Depth=3
	s_add_i32 s44, s44, 1
	s_cmpk_lg_i32 s44, 0x2710
	s_cselect_b64 s[38:39], -1, 0
	s_and_b64 vcc, exec, s[38:39]
	s_cbranch_vccz .LBB4_13168
; %bb.13167:                            ;   in Loop: Header=BB4_13166 Depth=3
	s_mov_b64 vcc, -1
	s_or_b64 s[36:37], s[36:37], exec
	s_and_saveexec_b64 s[48:49], s[38:39]
	s_cbranch_execz .LBB4_13165
	s_branch .LBB4_13169
.LBB4_13168:                            ;   in Loop: Header=BB4_13166 Depth=3
	s_trap 2
	ds_read_b64 v[0:1], v0
	s_andn2_b64 s[38:39], s[38:39], exec
	s_mov_b32 s44, 0
	s_waitcnt vmcnt(0) lgkmcnt(0)
	flat_load_dword v0, v[0:1] glc
	s_waitcnt vmcnt(0) lgkmcnt(0)
	buffer_wbinvl1_vol
	v_cmp_eq_u32_e32 vcc, 0, v0
	s_and_b64 vcc, vcc, exec
	s_or_b64 s[38:39], s[38:39], vcc
	s_mov_b64 vcc, -1
	s_or_b64 s[36:37], s[36:37], exec
	s_and_saveexec_b64 s[48:49], s[38:39]
	s_cbranch_execz .LBB4_13165
.LBB4_13169:                            ;   in Loop: Header=BB4_13166 Depth=3
	s_sleep 1
	s_trap 2
	ds_read_b64 v[0:1], v0
	s_waitcnt lgkmcnt(0)
	buffer_load_dword v6, off, s[0:3], s33 offset:72 ; 4-byte Folded Reload
	buffer_load_dword v7, off, s[0:3], s33 offset:76 ; 4-byte Folded Reload
	s_andn2_b64 s[36:37], s[36:37], exec
	s_waitcnt vmcnt(0)
	v_cmp_ge_u64_e32 vcc, v[0:1], v[6:7]
	s_orn2_b64 vcc, vcc, exec
	s_branch .LBB4_13165
.LBB4_13170:                            ;   in Loop: Header=BB4_13132 Depth=2
	s_or_b64 exec, exec, s[30:31]
	s_and_saveexec_b64 s[44:45], s[34:35]
	s_xor_b64 s[44:45], exec, s[44:45]
	s_cbranch_execz .LBB4_13172
; %bb.13171:                            ;   in Loop: Header=BB4_13132 Depth=2
	v_mov_b32_e32 v0, 1
	ds_write_b32 v0, v0
	s_trap 2
.LBB4_13172:                            ;   in Loop: Header=BB4_13132 Depth=2
	s_or_b64 exec, exec, s[94:95]
	;;#ASMSTART
	s_wakeup
	;;#ASMEND
.LBB4_13173:                            ;   in Loop: Header=BB4_13132 Depth=2
	s_or_b64 exec, exec, s[92:93]
.LBB4_13174:                            ;   in Loop: Header=BB4_13132 Depth=2
	s_andn2_saveexec_b64 s[90:91], s[90:91]
	s_cbranch_execz .LBB4_13176
; %bb.13175:                            ;   in Loop: Header=BB4_13132 Depth=2
	s_waitcnt vmcnt(0) lgkmcnt(0)
	buffer_wbinvl1_vol
	s_barrier
.LBB4_13176:                            ;   in Loop: Header=BB4_13132 Depth=2
	s_or_b64 exec, exec, s[90:91]
.LBB4_13177:                            ;   in Loop: Header=BB4_13132 Depth=2
	s_or_b64 exec, exec, s[28:29]
                                        ; implicit-def: $vgpr0
	s_and_saveexec_b64 s[28:29], s[24:25]
	s_xor_b64 s[28:29], exec, s[28:29]
	s_cbranch_execz .LBB4_13181
; %bb.13178:                            ;   in Loop: Header=BB4_13132 Depth=2
	s_trap 2
	ds_read_b32 v0, v0
	v_cmp_lt_i32_e32 vcc, 0, v17
	v_and_b32_e32 v1, 16, v19
	s_waitcnt lgkmcnt(0)
	v_readfirstlane_b32 s44, v0
	s_cmp_eq_u32 s44, 0
	s_cselect_b64 s[44:45], -1, 0
	s_and_b64 s[44:45], vcc, s[44:45]
	v_cmp_ne_u32_e32 vcc, 0, v1
	v_and_b32_e32 v0, 16, v19
	s_and_b64 s[44:45], vcc, s[44:45]
	s_and_saveexec_b64 s[90:91], s[44:45]
	s_cbranch_execz .LBB4_13180
; %bb.13179:                            ;   in Loop: Header=BB4_13132 Depth=2
	v_mov_b32_e32 v0, 1
	s_waitcnt vmcnt(0)
	buffer_wbinvl1_vol
.LBB4_13180:                            ;   in Loop: Header=BB4_13132 Depth=2
	s_or_b64 exec, exec, s[90:91]
	s_andn2_saveexec_b64 s[28:29], s[28:29]
	s_cbranch_execz .LBB4_13200
	s_branch .LBB4_13182
.LBB4_13181:                            ;   in Loop: Header=BB4_13132 Depth=2
	s_andn2_saveexec_b64 s[28:29], s[28:29]
	s_cbranch_execz .LBB4_13200
.LBB4_13182:                            ;   in Loop: Header=BB4_13132 Depth=2
	s_and_saveexec_b64 s[44:45], s[58:59]
	s_xor_b64 s[90:91], exec, s[44:45]
	s_cbranch_execz .LBB4_13197
; %bb.13183:                            ;   in Loop: Header=BB4_13132 Depth=2
	s_and_saveexec_b64 s[92:93], s[16:17]
	s_cbranch_execz .LBB4_13196
; %bb.13184:                            ;   in Loop: Header=BB4_13132 Depth=2
	s_mov_b64 s[30:31], exec
	v_mbcnt_lo_u32_b32 v0, s30, 0
	v_mbcnt_hi_u32_b32 v0, s31, v0
	v_cmp_eq_u32_e32 vcc, 0, v0
	;;#ASMSTART
	s_waitcnt lgkmcnt(0) vmcnt(0)
	;;#ASMEND
	s_and_saveexec_b64 s[94:95], vcc
	s_cbranch_execz .LBB4_13186
; %bb.13185:                            ;   in Loop: Header=BB4_13132 Depth=2
	s_bcnt1_i32_b64 s44, s[30:31]
	v_mov_b32_e32 v0, s44
	v_mov_b32_e32 v1, v3
	s_waitcnt lgkmcnt(0)
	ds_add_u64 v0, v[0:1]
	s_trap 2
.LBB4_13186:                            ;   in Loop: Header=BB4_13132 Depth=2
	s_or_b64 exec, exec, s[94:95]
	s_trap 2
	ds_read_b64 v[0:1], v0
	s_waitcnt lgkmcnt(0)
	buffer_load_dword v6, off, s[0:3], s33 offset:72 ; 4-byte Folded Reload
	buffer_load_dword v7, off, s[0:3], s33 offset:76 ; 4-byte Folded Reload
	;; [unrolled: 1-line block ×3, first 2 shown]
	s_waitcnt vmcnt(0)
	v_add_co_u32_e32 v6, vcc, v6, v2
	v_addc_co_u32_e32 v7, vcc, 0, v7, vcc
	buffer_store_dword v6, off, s[0:3], s33 offset:72 ; 4-byte Folded Spill
	s_nop 0
	buffer_store_dword v7, off, s[0:3], s33 offset:76 ; 4-byte Folded Spill
	v_cmp_lt_u64_e32 vcc, v[0:1], v[6:7]
	s_and_saveexec_b64 s[94:95], vcc
	s_cbranch_execz .LBB4_13195
; %bb.13187:                            ;   in Loop: Header=BB4_13132 Depth=2
	s_mov_b32 s44, 0
	s_mov_b64 s[30:31], 0
                                        ; implicit-def: $sgpr34_sgpr35
                                        ; implicit-def: $sgpr36_sgpr37
	s_branch .LBB4_13189
.LBB4_13188:                            ;   in Loop: Header=BB4_13189 Depth=3
	s_or_b64 exec, exec, s[48:49]
	s_and_b64 vcc, exec, vcc
	s_or_b64 s[30:31], vcc, s[30:31]
	s_andn2_b64 vcc, s[34:35], exec
	s_and_b64 s[34:35], s[36:37], exec
	s_or_b64 s[34:35], vcc, s[34:35]
	s_andn2_b64 exec, exec, s[30:31]
	s_cbranch_execz .LBB4_13193
.LBB4_13189:                            ;   Parent Loop BB4_47 Depth=1
                                        ;     Parent Loop BB4_13132 Depth=2
                                        ; =>    This Inner Loop Header: Depth=3
	s_add_i32 s44, s44, 1
	s_cmpk_lg_i32 s44, 0x2710
	s_cselect_b64 s[38:39], -1, 0
	s_and_b64 vcc, exec, s[38:39]
	s_cbranch_vccz .LBB4_13191
; %bb.13190:                            ;   in Loop: Header=BB4_13189 Depth=3
	s_mov_b64 vcc, -1
	s_or_b64 s[36:37], s[36:37], exec
	s_and_saveexec_b64 s[48:49], s[38:39]
	s_cbranch_execz .LBB4_13188
	s_branch .LBB4_13192
.LBB4_13191:                            ;   in Loop: Header=BB4_13189 Depth=3
	s_trap 2
	ds_read_b64 v[0:1], v0
	s_andn2_b64 s[38:39], s[38:39], exec
	s_mov_b32 s44, 0
	s_waitcnt vmcnt(0) lgkmcnt(0)
	flat_load_dword v0, v[0:1] glc
	s_waitcnt vmcnt(0) lgkmcnt(0)
	buffer_wbinvl1_vol
	v_cmp_eq_u32_e32 vcc, 0, v0
	s_and_b64 vcc, vcc, exec
	s_or_b64 s[38:39], s[38:39], vcc
	s_mov_b64 vcc, -1
	s_or_b64 s[36:37], s[36:37], exec
	s_and_saveexec_b64 s[48:49], s[38:39]
	s_cbranch_execz .LBB4_13188
.LBB4_13192:                            ;   in Loop: Header=BB4_13189 Depth=3
	s_sleep 1
	s_trap 2
	ds_read_b64 v[0:1], v0
	s_waitcnt lgkmcnt(0)
	buffer_load_dword v6, off, s[0:3], s33 offset:72 ; 4-byte Folded Reload
	buffer_load_dword v7, off, s[0:3], s33 offset:76 ; 4-byte Folded Reload
	s_andn2_b64 s[36:37], s[36:37], exec
	s_waitcnt vmcnt(0)
	v_cmp_ge_u64_e32 vcc, v[0:1], v[6:7]
	s_orn2_b64 vcc, vcc, exec
	s_branch .LBB4_13188
.LBB4_13193:                            ;   in Loop: Header=BB4_13132 Depth=2
	s_or_b64 exec, exec, s[30:31]
	s_and_saveexec_b64 s[44:45], s[34:35]
	s_xor_b64 s[44:45], exec, s[44:45]
	s_cbranch_execz .LBB4_13195
; %bb.13194:                            ;   in Loop: Header=BB4_13132 Depth=2
	v_mov_b32_e32 v0, 1
	ds_write_b32 v0, v0
	s_trap 2
.LBB4_13195:                            ;   in Loop: Header=BB4_13132 Depth=2
	s_or_b64 exec, exec, s[94:95]
	;;#ASMSTART
	s_wakeup
	;;#ASMEND
.LBB4_13196:                            ;   in Loop: Header=BB4_13132 Depth=2
	s_or_b64 exec, exec, s[92:93]
.LBB4_13197:                            ;   in Loop: Header=BB4_13132 Depth=2
	s_andn2_saveexec_b64 s[90:91], s[90:91]
	s_cbranch_execz .LBB4_13199
; %bb.13198:                            ;   in Loop: Header=BB4_13132 Depth=2
	;;#ASMSTART
	s_waitcnt lgkmcnt(0) vmcnt(0)
	;;#ASMEND
	s_waitcnt vmcnt(0) lgkmcnt(0)
	s_barrier
.LBB4_13199:                            ;   in Loop: Header=BB4_13132 Depth=2
	s_or_b64 exec, exec, s[90:91]
	v_and_b32_e32 v0, 16, v19
.LBB4_13200:                            ;   in Loop: Header=BB4_13132 Depth=2
	s_or_b64 exec, exec, s[28:29]
	v_cmp_ne_u32_e32 vcc, 0, v0
	s_xor_b64 s[28:29], s[12:13], -1
	s_and_b64 s[44:45], vcc, s[28:29]
	s_and_saveexec_b64 s[28:29], s[44:45]
	s_cbranch_execz .LBB4_13202
; %bb.13201:                            ;   in Loop: Header=BB4_13132 Depth=2
	buffer_load_dword v0, off, s[0:3], s33 offset:136 ; 4-byte Folded Reload
	buffer_load_dword v1, off, s[0:3], s33 offset:140 ; 4-byte Folded Reload
	v_mov_b32_e32 v2, 1
	s_waitcnt vmcnt(0)
	flat_store_dword v[0:1], v2
.LBB4_13202:                            ;   in Loop: Header=BB4_13132 Depth=2
	s_or_b64 exec, exec, s[28:29]
	v_and_b32_e32 v0, 48, v19
	v_cmp_ne_u32_e32 vcc, 0, v0
	s_and_saveexec_b64 s[28:29], vcc
	s_cbranch_execz .LBB4_13131
; %bb.13203:                            ;   in Loop: Header=BB4_13132 Depth=2
	buffer_load_dword v6, off, s[0:3], s33 offset:80 ; 4-byte Folded Reload
	buffer_load_dword v7, off, s[0:3], s33 offset:84 ; 4-byte Folded Reload
	;; [unrolled: 1-line block ×4, first 2 shown]
	s_waitcnt vmcnt(0)
	v_add_co_u32_e32 v6, vcc, 2, v6
	v_addc_co_u32_e32 v7, vcc, 0, v7, vcc
	buffer_store_dword v6, off, s[0:3], s33 offset:80 ; 4-byte Folded Spill
	s_nop 0
	buffer_store_dword v7, off, s[0:3], s33 offset:84 ; 4-byte Folded Spill
	flat_store_dwordx2 v[0:1], v[6:7]
	s_branch .LBB4_13131
.LBB4_13204:                            ;   in Loop: Header=BB4_47 Depth=1
	s_or_b64 exec, exec, s[92:93]
	s_or_b64 exec, exec, s[90:91]
	v_cmp_gt_i32_e32 vcc, 2, v0
	s_and_saveexec_b64 s[40:41], vcc
	s_cbranch_execnz .LBB4_13130
.LBB4_13205:                            ;   in Loop: Header=BB4_47 Depth=1
	s_or_b64 exec, exec, s[40:41]
	s_and_b64 vcc, exec, s[26:27]
	s_cbranch_vccz .LBB4_13207
	s_branch .LBB4_13463
.LBB4_13206:                            ;   in Loop: Header=BB4_47 Depth=1
	s_or_b64 exec, exec, s[42:43]
	s_or_b64 exec, exec, s[40:41]
	s_and_b64 vcc, exec, s[26:27]
	s_cbranch_vccnz .LBB4_13463
.LBB4_13207:                            ;   in Loop: Header=BB4_47 Depth=1
	s_mov_b32 s44, 1
.LBB4_13208:                            ;   Parent Loop BB4_47 Depth=1
                                        ; =>  This Loop Header: Depth=2
                                        ;       Child Loop BB4_13211 Depth 3
                                        ;         Child Loop BB4_13219 Depth 4
                                        ;         Child Loop BB4_13247 Depth 4
	;; [unrolled: 1-line block ×9, first 2 shown]
                                        ;           Child Loop BB4_13301 Depth 5
                                        ;         Child Loop BB4_13308 Depth 4
                                        ;         Child Loop BB4_13313 Depth 4
                                        ;           Child Loop BB4_13314 Depth 5
                                        ;         Child Loop BB4_13350 Depth 4
                                        ;         Child Loop BB4_13369 Depth 4
                                        ;       Child Loop BB4_13387 Depth 3
                                        ;         Child Loop BB4_13393 Depth 4
                                        ;         Child Loop BB4_13421 Depth 4
                                        ;         Child Loop BB4_13444 Depth 4
	buffer_load_dword v6, off, s[0:3], s33 offset:348 ; 4-byte Folded Reload
	buffer_load_dword v7, off, s[0:3], s33 offset:352 ; 4-byte Folded Reload
	s_sub_i32 s26, s84, s44
	s_cmp_ge_i32 s26, s66
	s_cselect_b32 s27, s66, 0
	s_sub_i32 s26, s26, s27
	s_ashr_i32 s28, s26, 31
	s_waitcnt vmcnt(0)
	v_mul_lo_u32 v1, v6, s28
	v_mul_lo_u32 v0, v7, s26
	v_mad_u64_u32 v[8:9], s[26:27], v6, s26, 0
	v_add3_u32 v9, v9, v1, v0
	buffer_load_dword v0, off, s[0:3], s33 offset:340 ; 4-byte Folded Reload
	buffer_load_dword v1, off, s[0:3], s33 offset:344 ; 4-byte Folded Reload
	s_waitcnt vmcnt(0)
	v_sub_co_u32_e32 v0, vcc, v0, v8
	v_subb_co_u32_e32 v1, vcc, v1, v9, vcc
	v_cmp_lt_i64_e32 vcc, v[6:7], v[0:1]
	v_cndmask_b32_e32 v1, v0, v6, vcc
	v_max_i32_e32 v0, 0, v1
	v_add_u32_e32 v2, 31, v0
	v_lshrrev_b32_e32 v2, 1, v2
	v_and_b32_e32 v2, 0x3ffffff0, v2
	v_cmp_lt_i32_e32 vcc, 0, v1
	v_max_i32_e32 v12, s87, v2
	s_and_b64 s[26:27], s[88:89], vcc
	v_mov_b32_e32 v6, 0
	v_mov_b32_e32 v1, 0
	s_and_saveexec_b64 s[42:43], s[26:27]
	s_cbranch_execz .LBB4_13384
; %bb.13209:                            ;   in Loop: Header=BB4_13208 Depth=2
	buffer_load_dword v1, off, s[0:3], s33 offset:196 ; 4-byte Folded Reload
	s_mov_b32 s45, 1
	s_mov_b64 s[92:93], -1
	s_mov_b64 s[90:91], 0
	s_waitcnt vmcnt(0)
	v_add_co_u32_e32 v2, vcc, v8, v1
	buffer_load_dword v1, off, s[0:3], s33 offset:200 ; 4-byte Folded Reload
	s_waitcnt vmcnt(0)
	v_addc_co_u32_e32 v4, vcc, v9, v1, vcc
	v_mov_b32_e32 v1, 0
	s_branch .LBB4_13211
.LBB4_13210:                            ;   in Loop: Header=BB4_13211 Depth=3
	s_or_b64 exec, exec, s[26:27]
	v_add_u32_e32 v1, v12, v1
	v_cmp_ge_i32_e32 vcc, v1, v0
	s_xor_b64 s[26:27], s[92:93], -1
	s_or_b64 s[26:27], s[26:27], vcc
	s_and_b64 s[26:27], exec, s[26:27]
	s_or_b64 s[90:91], s[26:27], s[90:91]
	s_mov_b64 s[92:93], 0
	v_mov_b32_e32 v6, s45
	s_mov_b32 s45, 2
	s_andn2_b64 exec, exec, s[90:91]
	s_cbranch_execz .LBB4_13459
.LBB4_13211:                            ;   Parent Loop BB4_47 Depth=1
                                        ;     Parent Loop BB4_13208 Depth=2
                                        ; =>    This Loop Header: Depth=3
                                        ;         Child Loop BB4_13219 Depth 4
                                        ;         Child Loop BB4_13247 Depth 4
	;; [unrolled: 1-line block ×9, first 2 shown]
                                        ;           Child Loop BB4_13301 Depth 5
                                        ;         Child Loop BB4_13308 Depth 4
                                        ;         Child Loop BB4_13313 Depth 4
                                        ;           Child Loop BB4_13314 Depth 5
                                        ;         Child Loop BB4_13350 Depth 4
                                        ;         Child Loop BB4_13369 Depth 4
	s_and_saveexec_b64 s[26:27], s[4:5]
	s_cbranch_execz .LBB4_13213
; %bb.13212:                            ;   in Loop: Header=BB4_13211 Depth=3
	s_trap 2
	s_waitcnt vmcnt(0)
	ds_read_b128 v[6:9], v0
	v_ashrrev_i32_e32 v10, 31, v1
	s_waitcnt lgkmcnt(0)
	v_add_co_u32_e32 v6, vcc, v6, v2
	v_addc_co_u32_e32 v7, vcc, v7, v4, vcc
	v_add_co_u32_e32 v6, vcc, v6, v1
	v_addc_co_u32_e32 v7, vcc, v7, v10, vcc
	ds_write_b64 v0, v[6:7]
	v_add_co_u32_e32 v6, vcc, v8, v2
	v_addc_co_u32_e32 v7, vcc, v9, v4, vcc
	v_add_co_u32_e32 v6, vcc, v6, v1
	v_addc_co_u32_e32 v7, vcc, v7, v10, vcc
	v_cmp_ne_u64_e32 vcc, 0, v[8:9]
	v_cndmask_b32_e32 v7, 0, v7, vcc
	v_cndmask_b32_e32 v6, 0, v6, vcc
	ds_write_b64 v0, v[6:7]
.LBB4_13213:                            ;   in Loop: Header=BB4_13211 Depth=3
	s_or_b64 exec, exec, s[26:27]
	v_sub_u32_e32 v6, v0, v1
	v_min_i32_e32 v12, v12, v6
	v_and_b32_e32 v6, 12, v19
	v_cmp_ne_u32_e32 vcc, 0, v6
	s_and_saveexec_b64 s[28:29], vcc
	s_cbranch_execz .LBB4_13239
; %bb.13214:                            ;   in Loop: Header=BB4_13211 Depth=3
	buffer_load_dword v7, off, s[0:3], s33 offset:56 ; 4-byte Folded Reload
	buffer_load_dword v8, off, s[0:3], s33 offset:60 ; 4-byte Folded Reload
	v_and_b32_e32 v6, 8, v19
	s_waitcnt vmcnt(0)
	v_add_co_u32_e32 v10, vcc, v7, v6
	v_addc_co_u32_e32 v11, vcc, 0, v8, vcc
	buffer_load_dword v8, off, s[0:3], s33 offset:80 ; 4-byte Folded Reload
	buffer_load_dword v9, off, s[0:3], s33 offset:84 ; 4-byte Folded Reload
	s_waitcnt vmcnt(0)
	v_add_co_u32_e32 v8, vcc, 2, v8
	v_addc_co_u32_e32 v9, vcc, 0, v9, vcc
	v_cmp_lt_u64_e32 vcc, v[10:11], v[8:9]
	s_and_saveexec_b64 s[40:41], vcc
	s_cbranch_execz .LBB4_13226
; %bb.13215:                            ;   in Loop: Header=BB4_13211 Depth=3
	v_and_b32_e32 v7, 64, v19
	s_mov_b32 s47, 0
	v_cmp_eq_u32_e32 vcc, 0, v7
	s_mov_b64 s[94:95], 0
                                        ; implicit-def: $sgpr30_sgpr31
                                        ; implicit-def: $sgpr34_sgpr35
                                        ; implicit-def: $sgpr36_sgpr37
	s_branch .LBB4_13219
.LBB4_13216:                            ;   in Loop: Header=BB4_13219 Depth=4
	buffer_load_dword v10, off, s[0:3], s33 offset:56 ; 4-byte Folded Reload
	buffer_load_dword v11, off, s[0:3], s33 offset:60 ; 4-byte Folded Reload
	s_or_b64 s[50:51], s[50:51], exec
	s_waitcnt vmcnt(1)
	v_add_co_u32_e64 v10, s[26:27], v10, v6
	s_waitcnt vmcnt(0)
	v_addc_co_u32_e64 v11, s[26:27], 0, v11, s[26:27]
	v_cmp_ge_u64_e64 s[26:27], v[10:11], v[8:9]
	s_orn2_b64 s[48:49], s[26:27], exec
.LBB4_13217:                            ;   in Loop: Header=BB4_13219 Depth=4
	s_or_b64 exec, exec, s[54:55]
	s_andn2_b64 s[26:27], s[36:37], exec
	s_and_b64 s[36:37], s[50:51], exec
	s_or_b64 s[36:37], s[26:27], s[36:37]
	s_andn2_b64 s[26:27], s[34:35], exec
	s_and_b64 s[34:35], s[48:49], exec
	s_or_b64 s[34:35], s[26:27], s[34:35]
.LBB4_13218:                            ;   in Loop: Header=BB4_13219 Depth=4
	s_or_b64 exec, exec, s[38:39]
	s_and_b64 s[26:27], exec, s[34:35]
	s_or_b64 s[94:95], s[26:27], s[94:95]
	s_andn2_b64 s[26:27], s[30:31], exec
	s_and_b64 s[30:31], s[36:37], exec
	s_or_b64 s[30:31], s[26:27], s[30:31]
	s_andn2_b64 exec, exec, s[94:95]
	s_cbranch_execz .LBB4_13223
.LBB4_13219:                            ;   Parent Loop BB4_47 Depth=1
                                        ;     Parent Loop BB4_13208 Depth=2
                                        ;       Parent Loop BB4_13211 Depth=3
                                        ; =>      This Inner Loop Header: Depth=4
	s_sleep 1
	buffer_load_dword v10, off, s[0:3], s33 offset:64 ; 4-byte Folded Reload
	buffer_load_dword v11, off, s[0:3], s33 offset:68 ; 4-byte Folded Reload
	s_or_b64 s[36:37], s[36:37], exec
	s_or_b64 s[34:35], s[34:35], exec
                                        ; implicit-def: $vgpr7
	s_waitcnt vmcnt(0)
	flat_load_dwordx2 v[10:11], v[10:11] glc
	s_waitcnt vmcnt(0) lgkmcnt(0)
	buffer_store_dword v10, off, s[0:3], s33 offset:56 ; 4-byte Folded Spill
	s_nop 0
	buffer_store_dword v11, off, s[0:3], s33 offset:60 ; 4-byte Folded Spill
	s_and_saveexec_b64 s[38:39], vcc
	s_cbranch_execz .LBB4_13218
; %bb.13220:                            ;   in Loop: Header=BB4_13219 Depth=4
	s_cmpk_lt_i32 s47, 0x270f
	s_cselect_b64 s[52:53], -1, 0
	s_cmpk_gt_i32 s47, 0x270e
	s_mov_b64 s[48:49], -1
	s_cbranch_scc0 .LBB4_13222
; %bb.13221:                            ;   in Loop: Header=BB4_13219 Depth=4
	s_trap 2
	ds_read_b64 v[10:11], v0
	s_andn2_b64 s[52:53], s[52:53], exec
	s_mov_b32 s47, 0
	s_mov_b64 s[50:51], 0
	s_waitcnt vmcnt(0) lgkmcnt(0)
	flat_load_dword v7, v[10:11] glc
	s_waitcnt vmcnt(0) lgkmcnt(0)
	buffer_wbinvl1_vol
	v_cmp_eq_u32_e64 s[26:27], 0, v7
	s_and_b64 s[26:27], s[26:27], exec
	s_or_b64 s[52:53], s[52:53], s[26:27]
	s_and_saveexec_b64 s[54:55], s[52:53]
	s_cbranch_execz .LBB4_13217
	s_branch .LBB4_13216
.LBB4_13222:                            ;   in Loop: Header=BB4_13219 Depth=4
	s_add_i32 s47, s47, 1
	s_mov_b64 s[50:51], -1
                                        ; implicit-def: $vgpr7
	s_and_saveexec_b64 s[54:55], s[52:53]
	s_cbranch_execz .LBB4_13217
	s_branch .LBB4_13216
.LBB4_13223:                            ;   in Loop: Header=BB4_13211 Depth=3
	s_or_b64 exec, exec, s[94:95]
	s_xor_b64 s[26:27], s[30:31], -1
	s_and_saveexec_b64 s[94:95], s[26:27]
	s_xor_b64 s[26:27], exec, s[94:95]
	s_cbranch_execz .LBB4_13225
; %bb.13224:                            ;   in Loop: Header=BB4_13211 Depth=3
	v_or_b32_e32 v19, 64, v19
	ds_write_b32 v0, v7
	s_trap 2
.LBB4_13225:                            ;   in Loop: Header=BB4_13211 Depth=3
	s_or_b64 exec, exec, s[26:27]
.LBB4_13226:                            ;   in Loop: Header=BB4_13211 Depth=3
	s_or_b64 exec, exec, s[40:41]
	v_and_b32_e32 v7, 0x108, v19
	v_cmp_ne_u32_e32 vcc, s81, v7
	;;#ASMSTART
	s_wakeup
	;;#ASMEND
                                        ; implicit-def: $vgpr10_vgpr11
	s_and_saveexec_b64 s[26:27], vcc
	s_xor_b64 s[26:27], exec, s[26:27]
	s_cbranch_execz .LBB4_13228
; %bb.13227:                            ;   in Loop: Header=BB4_13211 Depth=3
	buffer_load_dword v10, off, s[0:3], s33 offset:80 ; 4-byte Folded Reload
	buffer_load_dword v11, off, s[0:3], s33 offset:84 ; 4-byte Folded Reload
	s_waitcnt vmcnt(0)
	v_mov_b32_e32 v11, v3
                                        ; implicit-def: $vgpr13_vgpr14
                                        ; kill: killed $vgpr13_vgpr14
	v_and_b32_e32 v10, 7, v10
.LBB4_13228:                            ;   in Loop: Header=BB4_13211 Depth=3
	s_andn2_saveexec_b64 s[26:27], s[26:27]
	s_cbranch_execz .LBB4_13230
; %bb.13229:                            ;   in Loop: Header=BB4_13211 Depth=3
	buffer_load_dword v10, off, s[0:3], s33 offset:80 ; 4-byte Folded Reload
	buffer_load_dword v11, off, s[0:3], s33 offset:84 ; 4-byte Folded Reload
	buffer_load_dword v13, off, s[0:3], s33 offset:120 ; 4-byte Folded Reload
	buffer_load_dword v14, off, s[0:3], s33 offset:124 ; 4-byte Folded Reload
	buffer_load_dword v15, off, s[0:3], s33 offset:128 ; 4-byte Folded Reload
	buffer_load_dword v16, off, s[0:3], s33 offset:132 ; 4-byte Folded Reload
	s_waitcnt vmcnt(0)
	v_mov_b32_e32 v11, v3
	v_and_b32_e32 v10, 7, v10
	v_mad_u64_u32 v[14:15], s[40:41], v10, 24, v[13:14]
	v_ashrrev_i32_e32 v13, 31, v12
	flat_store_dwordx2 v[14:15], v[12:13] offset:8
.LBB4_13230:                            ;   in Loop: Header=BB4_13211 Depth=3
	s_or_b64 exec, exec, s[26:27]
	v_and_b32_e32 v7, 0x100, v19
	v_cmp_ne_u32_e32 vcc, 0, v7
	s_mov_b64 s[26:27], -1
                                        ; implicit-def: $vgpr13_vgpr14
	s_and_saveexec_b64 s[40:41], vcc
	s_cbranch_execz .LBB4_13234
; %bb.13231:                            ;   in Loop: Header=BB4_13211 Depth=3
	buffer_load_dword v13, off, s[0:3], s33 offset:120 ; 4-byte Folded Reload
	buffer_load_dword v14, off, s[0:3], s33 offset:124 ; 4-byte Folded Reload
	;; [unrolled: 1-line block ×4, first 2 shown]
	s_waitcnt vmcnt(0)
	v_mad_u64_u32 v[48:49], s[26:27], v10, 24, v[13:14]
	v_mov_b32_e32 v7, v49
	v_mad_u64_u32 v[13:14], s[26:27], v11, 24, v[7:8]
	v_mov_b32_e32 v49, v13
	flat_load_dword v7, v[48:49]
                                        ; implicit-def: $vgpr13_vgpr14
	s_waitcnt vmcnt(0) lgkmcnt(0)
	v_cmp_ne_u32_e32 vcc, 1, v7
	v_cmp_eq_u32_e64 s[26:27], 1, v7
	s_and_saveexec_b64 s[94:95], s[26:27]
	s_cbranch_execz .LBB4_13233
; %bb.13232:                            ;   in Loop: Header=BB4_13211 Depth=3
	flat_load_dword v13, v[48:49] offset:4 glc
	s_waitcnt vmcnt(0) lgkmcnt(0)
	v_ashrrev_i32_e32 v14, 31, v13
.LBB4_13233:                            ;   in Loop: Header=BB4_13211 Depth=3
	s_or_b64 exec, exec, s[94:95]
	s_orn2_b64 s[26:27], vcc, exec
.LBB4_13234:                            ;   in Loop: Header=BB4_13211 Depth=3
	s_or_b64 exec, exec, s[40:41]
	s_and_saveexec_b64 s[40:41], s[26:27]
	s_cbranch_execz .LBB4_13236
; %bb.13235:                            ;   in Loop: Header=BB4_13211 Depth=3
	buffer_load_dword v13, off, s[0:3], s33 offset:152 ; 4-byte Folded Reload
	s_waitcnt vmcnt(0)
	v_mul_lo_u32 v7, v11, v13
	buffer_load_dword v11, off, s[0:3], s33 offset:172 ; 4-byte Folded Reload
	v_mad_u64_u32 v[13:14], s[26:27], v10, v13, 0
	s_waitcnt vmcnt(0)
	v_mul_lo_u32 v11, v10, v11
	v_add3_u32 v14, v14, v11, v7
.LBB4_13236:                            ;   in Loop: Header=BB4_13211 Depth=3
	s_or_b64 exec, exec, s[40:41]
	v_cmp_eq_u32_e32 vcc, 0, v6
	v_mov_b32_e32 v6, 0xd0
	v_mov_b32_e32 v7, 0x88
	v_cndmask_b32_e32 v10, v6, v7, vcc
	buffer_load_dword v6, off, s[0:3], s33 offset:112 ; 4-byte Folded Reload
	buffer_load_dword v7, off, s[0:3], s33 offset:116 ; 4-byte Folded Reload
	v_add_u32_e32 v10, v0, v10
	s_waitcnt vmcnt(0)
	v_add_co_u32_e32 v6, vcc, v6, v13
	v_addc_co_u32_e32 v7, vcc, v7, v14, vcc
	ds_write_b64 v10, v[6:7] offset:584
	v_and_b32_e32 v6, 0x2000, v19
	v_cmp_ne_u32_e32 vcc, 0, v6
	s_and_saveexec_b64 s[26:27], vcc
	s_cbranch_execz .LBB4_13238
; %bb.13237:                            ;   in Loop: Header=BB4_13211 Depth=3
	ds_read_b64 v[6:7], v0 offset:872
	s_waitcnt lgkmcnt(0)
	v_add_co_u32_e32 v6, vcc, 1, v6
	v_addc_co_u32_e32 v7, vcc, 0, v7, vcc
	ds_write_b64 v0, v[6:7] offset:872
.LBB4_13238:                            ;   in Loop: Header=BB4_13211 Depth=3
	s_or_b64 exec, exec, s[26:27]
	buffer_store_dword v8, off, s[0:3], s33 offset:80 ; 4-byte Folded Spill
	s_nop 0
	buffer_store_dword v9, off, s[0:3], s33 offset:84 ; 4-byte Folded Spill
.LBB4_13239:                            ;   in Loop: Header=BB4_13211 Depth=3
	s_or_b64 exec, exec, s[28:29]
	s_and_saveexec_b64 s[26:27], s[10:11]
	s_cbranch_execz .LBB4_13258
; %bb.13240:                            ;   in Loop: Header=BB4_13211 Depth=3
	s_and_saveexec_b64 s[28:29], s[58:59]
	s_xor_b64 s[28:29], exec, s[28:29]
	s_cbranch_execz .LBB4_13255
; %bb.13241:                            ;   in Loop: Header=BB4_13211 Depth=3
	s_and_saveexec_b64 s[40:41], s[16:17]
	s_cbranch_execz .LBB4_13254
; %bb.13242:                            ;   in Loop: Header=BB4_13211 Depth=3
	s_mov_b64 s[30:31], exec
	v_mbcnt_lo_u32_b32 v6, s30, 0
	v_mbcnt_hi_u32_b32 v6, s31, v6
	v_cmp_eq_u32_e32 vcc, 0, v6
	s_waitcnt vmcnt(0) lgkmcnt(0)
	buffer_wbinvl1_vol
	s_and_saveexec_b64 s[94:95], vcc
	s_cbranch_execz .LBB4_13244
; %bb.13243:                            ;   in Loop: Header=BB4_13211 Depth=3
	s_bcnt1_i32_b64 s47, s[30:31]
	v_mov_b32_e32 v6, s47
	v_mov_b32_e32 v7, v3
	ds_add_u64 v0, v[6:7]
	s_trap 2
.LBB4_13244:                            ;   in Loop: Header=BB4_13211 Depth=3
	s_or_b64 exec, exec, s[94:95]
	s_trap 2
	ds_read_b64 v[6:7], v0
	s_waitcnt lgkmcnt(0)
	buffer_load_dword v8, off, s[0:3], s33 offset:72 ; 4-byte Folded Reload
	buffer_load_dword v9, off, s[0:3], s33 offset:76 ; 4-byte Folded Reload
	;; [unrolled: 1-line block ×3, first 2 shown]
	s_waitcnt vmcnt(0)
	v_add_co_u32_e32 v8, vcc, v8, v10
	v_addc_co_u32_e32 v9, vcc, 0, v9, vcc
	buffer_store_dword v8, off, s[0:3], s33 offset:72 ; 4-byte Folded Spill
	s_nop 0
	buffer_store_dword v9, off, s[0:3], s33 offset:76 ; 4-byte Folded Spill
	v_cmp_lt_u64_e32 vcc, v[6:7], v[8:9]
	s_and_saveexec_b64 s[94:95], vcc
	s_cbranch_execz .LBB4_13253
; %bb.13245:                            ;   in Loop: Header=BB4_13211 Depth=3
	s_mov_b32 s47, 0
	s_mov_b64 s[30:31], 0
                                        ; implicit-def: $sgpr34_sgpr35
                                        ; implicit-def: $sgpr36_sgpr37
	s_branch .LBB4_13247
.LBB4_13246:                            ;   in Loop: Header=BB4_13247 Depth=4
	s_or_b64 exec, exec, s[48:49]
	s_and_b64 vcc, exec, vcc
	s_or_b64 s[30:31], vcc, s[30:31]
	s_andn2_b64 vcc, s[34:35], exec
	s_and_b64 s[34:35], s[36:37], exec
	s_or_b64 s[34:35], vcc, s[34:35]
	s_andn2_b64 exec, exec, s[30:31]
	s_cbranch_execz .LBB4_13251
.LBB4_13247:                            ;   Parent Loop BB4_47 Depth=1
                                        ;     Parent Loop BB4_13208 Depth=2
                                        ;       Parent Loop BB4_13211 Depth=3
                                        ; =>      This Inner Loop Header: Depth=4
	s_add_i32 s47, s47, 1
	s_cmpk_lg_i32 s47, 0x2710
	s_cselect_b64 s[38:39], -1, 0
	s_and_b64 vcc, exec, s[38:39]
	s_cbranch_vccz .LBB4_13249
; %bb.13248:                            ;   in Loop: Header=BB4_13247 Depth=4
	s_mov_b64 vcc, -1
	s_or_b64 s[36:37], s[36:37], exec
	s_and_saveexec_b64 s[48:49], s[38:39]
	s_cbranch_execz .LBB4_13246
	s_branch .LBB4_13250
.LBB4_13249:                            ;   in Loop: Header=BB4_13247 Depth=4
	s_trap 2
	ds_read_b64 v[6:7], v0
	s_andn2_b64 s[38:39], s[38:39], exec
	s_mov_b32 s47, 0
	s_waitcnt vmcnt(0) lgkmcnt(0)
	flat_load_dword v6, v[6:7] glc
	s_waitcnt vmcnt(0) lgkmcnt(0)
	buffer_wbinvl1_vol
	v_cmp_eq_u32_e32 vcc, 0, v6
	s_and_b64 vcc, vcc, exec
	s_or_b64 s[38:39], s[38:39], vcc
	s_mov_b64 vcc, -1
	s_or_b64 s[36:37], s[36:37], exec
	s_and_saveexec_b64 s[48:49], s[38:39]
	s_cbranch_execz .LBB4_13246
.LBB4_13250:                            ;   in Loop: Header=BB4_13247 Depth=4
	s_sleep 1
	s_trap 2
	ds_read_b64 v[6:7], v0
	s_waitcnt lgkmcnt(0)
	buffer_load_dword v8, off, s[0:3], s33 offset:72 ; 4-byte Folded Reload
	buffer_load_dword v9, off, s[0:3], s33 offset:76 ; 4-byte Folded Reload
	s_andn2_b64 s[36:37], s[36:37], exec
	s_waitcnt vmcnt(0)
	v_cmp_ge_u64_e32 vcc, v[6:7], v[8:9]
	s_orn2_b64 vcc, vcc, exec
	s_branch .LBB4_13246
.LBB4_13251:                            ;   in Loop: Header=BB4_13211 Depth=3
	s_or_b64 exec, exec, s[30:31]
	s_and_saveexec_b64 vcc, s[34:35]
	s_xor_b64 vcc, exec, vcc
	s_cbranch_execz .LBB4_13253
; %bb.13252:                            ;   in Loop: Header=BB4_13211 Depth=3
	v_mov_b32_e32 v6, 1
	ds_write_b32 v0, v6
	s_trap 2
.LBB4_13253:                            ;   in Loop: Header=BB4_13211 Depth=3
	s_or_b64 exec, exec, s[94:95]
	;;#ASMSTART
	s_wakeup
	;;#ASMEND
.LBB4_13254:                            ;   in Loop: Header=BB4_13211 Depth=3
	s_or_b64 exec, exec, s[40:41]
.LBB4_13255:                            ;   in Loop: Header=BB4_13211 Depth=3
	s_andn2_saveexec_b64 s[28:29], s[28:29]
	s_cbranch_execz .LBB4_13257
; %bb.13256:                            ;   in Loop: Header=BB4_13211 Depth=3
	s_waitcnt vmcnt(0) lgkmcnt(0)
	buffer_wbinvl1_vol
	s_barrier
.LBB4_13257:                            ;   in Loop: Header=BB4_13211 Depth=3
	s_or_b64 exec, exec, s[28:29]
.LBB4_13258:                            ;   in Loop: Header=BB4_13211 Depth=3
	s_or_b64 exec, exec, s[26:27]
	s_trap 2
	ds_read_b32 v6, v0
	v_and_b32_e32 v7, 0x4000, v19
	v_cmp_ne_u32_e32 vcc, 0, v7
	s_xor_b64 s[26:27], s[6:7], -1
	s_and_b64 s[28:29], s[26:27], vcc
	s_and_saveexec_b64 s[26:27], s[28:29]
	s_cbranch_execz .LBB4_13277
; %bb.13259:                            ;   in Loop: Header=BB4_13211 Depth=3
	s_and_saveexec_b64 s[28:29], s[58:59]
	s_xor_b64 s[28:29], exec, s[28:29]
	s_cbranch_execz .LBB4_13274
; %bb.13260:                            ;   in Loop: Header=BB4_13211 Depth=3
	s_and_saveexec_b64 s[40:41], s[16:17]
	s_cbranch_execz .LBB4_13273
; %bb.13261:                            ;   in Loop: Header=BB4_13211 Depth=3
	s_mov_b64 s[30:31], exec
	v_mbcnt_lo_u32_b32 v7, s30, 0
	v_mbcnt_hi_u32_b32 v7, s31, v7
	v_cmp_eq_u32_e32 vcc, 0, v7
	s_waitcnt vmcnt(0) lgkmcnt(0)
	buffer_wbinvl1_vol
	s_and_saveexec_b64 s[94:95], vcc
	s_cbranch_execz .LBB4_13263
; %bb.13262:                            ;   in Loop: Header=BB4_13211 Depth=3
	s_bcnt1_i32_b64 s47, s[30:31]
	v_mov_b32_e32 v7, s47
	v_mov_b32_e32 v8, v3
	ds_add_u64 v0, v[7:8]
	s_trap 2
.LBB4_13263:                            ;   in Loop: Header=BB4_13211 Depth=3
	s_or_b64 exec, exec, s[94:95]
	s_trap 2
	ds_read_b64 v[7:8], v0
	s_waitcnt lgkmcnt(0)
	buffer_load_dword v9, off, s[0:3], s33 offset:72 ; 4-byte Folded Reload
	buffer_load_dword v10, off, s[0:3], s33 offset:76 ; 4-byte Folded Reload
	;; [unrolled: 1-line block ×3, first 2 shown]
	s_waitcnt vmcnt(0)
	v_add_co_u32_e32 v9, vcc, v9, v11
	v_addc_co_u32_e32 v10, vcc, 0, v10, vcc
	buffer_store_dword v9, off, s[0:3], s33 offset:72 ; 4-byte Folded Spill
	s_nop 0
	buffer_store_dword v10, off, s[0:3], s33 offset:76 ; 4-byte Folded Spill
	v_cmp_lt_u64_e32 vcc, v[7:8], v[9:10]
	s_and_saveexec_b64 s[94:95], vcc
	s_cbranch_execz .LBB4_13272
; %bb.13264:                            ;   in Loop: Header=BB4_13211 Depth=3
	s_mov_b32 s47, 0
	s_mov_b64 s[30:31], 0
                                        ; implicit-def: $sgpr34_sgpr35
                                        ; implicit-def: $sgpr36_sgpr37
	s_branch .LBB4_13266
.LBB4_13265:                            ;   in Loop: Header=BB4_13266 Depth=4
	s_or_b64 exec, exec, s[48:49]
	s_and_b64 vcc, exec, vcc
	s_or_b64 s[30:31], vcc, s[30:31]
	s_andn2_b64 vcc, s[34:35], exec
	s_and_b64 s[34:35], s[36:37], exec
	s_or_b64 s[34:35], vcc, s[34:35]
	s_andn2_b64 exec, exec, s[30:31]
	s_cbranch_execz .LBB4_13270
.LBB4_13266:                            ;   Parent Loop BB4_47 Depth=1
                                        ;     Parent Loop BB4_13208 Depth=2
                                        ;       Parent Loop BB4_13211 Depth=3
                                        ; =>      This Inner Loop Header: Depth=4
	s_add_i32 s47, s47, 1
	s_cmpk_lg_i32 s47, 0x2710
	s_cselect_b64 s[38:39], -1, 0
	s_and_b64 vcc, exec, s[38:39]
	s_cbranch_vccz .LBB4_13268
; %bb.13267:                            ;   in Loop: Header=BB4_13266 Depth=4
	s_mov_b64 vcc, -1
	s_or_b64 s[36:37], s[36:37], exec
	s_and_saveexec_b64 s[48:49], s[38:39]
	s_cbranch_execz .LBB4_13265
	s_branch .LBB4_13269
.LBB4_13268:                            ;   in Loop: Header=BB4_13266 Depth=4
	s_trap 2
	ds_read_b64 v[7:8], v0
	s_andn2_b64 s[38:39], s[38:39], exec
	s_mov_b32 s47, 0
	s_waitcnt vmcnt(0) lgkmcnt(0)
	flat_load_dword v7, v[7:8] glc
	s_waitcnt vmcnt(0) lgkmcnt(0)
	buffer_wbinvl1_vol
	v_cmp_eq_u32_e32 vcc, 0, v7
	s_and_b64 vcc, vcc, exec
	s_or_b64 s[38:39], s[38:39], vcc
	s_mov_b64 vcc, -1
	s_or_b64 s[36:37], s[36:37], exec
	s_and_saveexec_b64 s[48:49], s[38:39]
	s_cbranch_execz .LBB4_13265
.LBB4_13269:                            ;   in Loop: Header=BB4_13266 Depth=4
	s_sleep 1
	s_trap 2
	ds_read_b64 v[7:8], v0
	s_waitcnt lgkmcnt(0)
	buffer_load_dword v9, off, s[0:3], s33 offset:72 ; 4-byte Folded Reload
	buffer_load_dword v10, off, s[0:3], s33 offset:76 ; 4-byte Folded Reload
	s_andn2_b64 s[36:37], s[36:37], exec
	s_waitcnt vmcnt(0)
	v_cmp_ge_u64_e32 vcc, v[7:8], v[9:10]
	s_orn2_b64 vcc, vcc, exec
	s_branch .LBB4_13265
.LBB4_13270:                            ;   in Loop: Header=BB4_13211 Depth=3
	s_or_b64 exec, exec, s[30:31]
	s_and_saveexec_b64 vcc, s[34:35]
	s_xor_b64 vcc, exec, vcc
	s_cbranch_execz .LBB4_13272
; %bb.13271:                            ;   in Loop: Header=BB4_13211 Depth=3
	v_mov_b32_e32 v7, 1
	ds_write_b32 v0, v7
	s_trap 2
.LBB4_13272:                            ;   in Loop: Header=BB4_13211 Depth=3
	s_or_b64 exec, exec, s[94:95]
	;;#ASMSTART
	s_wakeup
	;;#ASMEND
.LBB4_13273:                            ;   in Loop: Header=BB4_13211 Depth=3
	s_or_b64 exec, exec, s[40:41]
.LBB4_13274:                            ;   in Loop: Header=BB4_13211 Depth=3
	s_andn2_saveexec_b64 s[28:29], s[28:29]
	s_cbranch_execz .LBB4_13276
; %bb.13275:                            ;   in Loop: Header=BB4_13211 Depth=3
	s_waitcnt vmcnt(0) lgkmcnt(0)
	buffer_wbinvl1_vol
	s_barrier
.LBB4_13276:                            ;   in Loop: Header=BB4_13211 Depth=3
	s_or_b64 exec, exec, s[28:29]
.LBB4_13277:                            ;   in Loop: Header=BB4_13211 Depth=3
	s_or_b64 exec, exec, s[26:27]
	s_trap 2
	ds_read_b64 v[13:14], v0
	s_waitcnt lgkmcnt(0)
	v_cmp_eq_u64_e32 vcc, 0, v[13:14]
	s_cbranch_vccnz .LBB4_13286
; %bb.13278:                            ;   in Loop: Header=BB4_13211 Depth=3
	s_trap 2
	ds_read_b64 v[52:53], v0
	s_waitcnt lgkmcnt(0)
	v_cmp_eq_u64_e32 vcc, 0, v[52:53]
	s_cbranch_vccnz .LBB4_13286
; %bb.13279:                            ;   in Loop: Header=BB4_13211 Depth=3
	s_trap 2
	ds_read_b64 v[54:55], v0
	v_cmp_eq_u32_e64 s[26:27], 0, v6
	v_cndmask_b32_e64 v6, 0, v12, s[26:27]
	s_waitcnt lgkmcnt(0)
	v_cmp_ne_u64_e32 vcc, 0, v[54:55]
	s_cbranch_vccz .LBB4_13291
; %bb.13280:                            ;   in Loop: Header=BB4_13211 Depth=3
	s_mov_b64 s[28:29], -1
	s_and_saveexec_b64 s[26:27], s[20:21]
	s_cbranch_execz .LBB4_13282
; %bb.13281:                            ;   in Loop: Header=BB4_13211 Depth=3
	ds_read_b32 v7, v0 offset:720
	s_waitcnt lgkmcnt(0)
	v_and_b32_e32 v7, 15, v7
	v_cmp_eq_u32_e32 vcc, 0, v7
	s_orn2_b64 s[28:29], vcc, exec
.LBB4_13282:                            ;   in Loop: Header=BB4_13211 Depth=3
	s_or_b64 exec, exec, s[26:27]
	s_and_saveexec_b64 s[26:27], s[22:23]
	s_cbranch_execz .LBB4_13284
; %bb.13283:                            ;   in Loop: Header=BB4_13211 Depth=3
	ds_read_b32 v7, v0 offset:784
	s_waitcnt lgkmcnt(0)
	v_and_b32_e32 v7, 15, v7
	v_cmp_eq_u32_e32 vcc, 0, v7
	s_and_b64 s[40:41], s[28:29], vcc
	s_andn2_b64 s[28:29], s[28:29], exec
	s_and_b64 s[40:41], s[40:41], exec
	s_or_b64 s[28:29], s[28:29], s[40:41]
.LBB4_13284:                            ;   in Loop: Header=BB4_13211 Depth=3
	s_or_b64 exec, exec, s[26:27]
	buffer_load_dword v16, off, s[0:3], s33 offset:176 ; 4-byte Folded Reload
	s_xor_b64 s[28:29], s[28:29], -1
	v_cndmask_b32_e64 v8, 0, 1, s[28:29]
	s_mov_b64 s[26:27], -1
	v_mov_b32_e32 v7, 0
	v_cmp_ne_u32_e32 vcc, 0, v8
	v_mov_b32_e32 v15, v6
	s_cbranch_vccz .LBB4_13293
; %bb.13285:                            ;   in Loop: Header=BB4_13211 Depth=3
	s_and_saveexec_b64 s[40:41], s[26:27]
	s_cbranch_execnz .LBB4_13306
	s_branch .LBB4_13316
.LBB4_13286:                            ;   in Loop: Header=BB4_13211 Depth=3
	s_mov_b64 s[26:27], 0
	s_and_saveexec_b64 s[28:29], s[10:11]
	s_cbranch_execnz .LBB4_13343
.LBB4_13287:                            ;   in Loop: Header=BB4_13211 Depth=3
	s_or_b64 exec, exec, s[28:29]
                                        ; implicit-def: $vgpr6
	s_and_saveexec_b64 s[28:29], s[24:25]
	s_xor_b64 s[28:29], exec, s[28:29]
	s_cbranch_execz .LBB4_13361
.LBB4_13288:                            ;   in Loop: Header=BB4_13211 Depth=3
	v_and_b32_e32 v7, 16, v19
	v_cmp_ne_u32_e32 vcc, 0, v7
	v_and_b32_e32 v6, 16, v19
	s_and_b64 s[40:41], vcc, s[26:27]
	s_and_saveexec_b64 s[26:27], s[40:41]
	s_cbranch_execz .LBB4_13290
; %bb.13289:                            ;   in Loop: Header=BB4_13211 Depth=3
	v_mov_b32_e32 v6, 1
	s_waitcnt vmcnt(0) lgkmcnt(0)
	buffer_wbinvl1_vol
.LBB4_13290:                            ;   in Loop: Header=BB4_13211 Depth=3
	s_or_b64 exec, exec, s[26:27]
	s_andn2_saveexec_b64 s[26:27], s[28:29]
	s_cbranch_execz .LBB4_13380
	s_branch .LBB4_13362
.LBB4_13291:                            ;   in Loop: Header=BB4_13211 Depth=3
	s_cbranch_execnz .LBB4_13317
.LBB4_13292:                            ;   in Loop: Header=BB4_13211 Depth=3
	v_cmp_lt_i32_e64 s[26:27], 0, v6
	s_and_saveexec_b64 s[28:29], s[10:11]
	s_cbranch_execnz .LBB4_13343
	s_branch .LBB4_13287
.LBB4_13293:                            ;   in Loop: Header=BB4_13211 Depth=3
	buffer_load_dword v8, off, s[0:3], s33 offset:212 ; 4-byte Folded Reload
	v_ashrrev_i32_e32 v7, 31, v6
	v_lshrrev_b32_e32 v7, 21, v7
	v_add_u32_e32 v7, v6, v7
	v_ashrrev_i32_e32 v7, 11, v7
	s_waitcnt vmcnt(0)
	v_sub_u32_e32 v18, v7, v8
	v_cmp_lt_i32_e32 vcc, 0, v18
	s_and_saveexec_b64 s[26:27], vcc
	s_cbranch_execz .LBB4_13297
; %bb.13294:                            ;   in Loop: Header=BB4_13211 Depth=3
	buffer_load_dword v15, off, s[0:3], s33 offset:356 ; 4-byte Folded Reload
	s_mov_b64 s[28:29], 0
	s_waitcnt vmcnt(0)
	v_add_co_u32_e32 v8, vcc, v13, v15
	v_addc_co_u32_e32 v9, vcc, 0, v14, vcc
	v_add_co_u32_e32 v10, vcc, v52, v15
	v_addc_co_u32_e32 v11, vcc, 0, v53, vcc
	v_add_co_u32_e32 v40, vcc, v54, v15
	buffer_load_dword v15, off, s[0:3], s33 offset:88 ; 4-byte Folded Reload
	buffer_load_dword v16, off, s[0:3], s33 offset:108 ; 4-byte Folded Reload
	v_addc_co_u32_e32 v41, vcc, 0, v55, vcc
.LBB4_13295:                            ;   Parent Loop BB4_47 Depth=1
                                        ;     Parent Loop BB4_13208 Depth=2
                                        ;       Parent Loop BB4_13211 Depth=3
                                        ; =>      This Inner Loop Header: Depth=4
	global_load_dwordx4 v[24:27], v[8:9], off glc slc
	global_load_dwordx4 v[28:31], v[8:9], off offset:1024 glc slc
	s_waitcnt vmcnt(2)
	v_add_co_u32_e32 v8, vcc, v8, v16
	v_addc_co_u32_e32 v9, vcc, 0, v9, vcc
	v_sub_u32_e32 v18, v18, v15
	v_cmp_gt_i32_e32 vcc, 1, v18
	s_or_b64 s[28:29], vcc, s[28:29]
	s_waitcnt vmcnt(1)
	global_store_dwordx4 v[10:11], v[24:27], off glc slc
	s_waitcnt vmcnt(1)
	global_store_dwordx4 v[10:11], v[28:31], off offset:1024 glc slc
	global_store_dwordx4 v[40:41], v[24:27], off glc slc
	global_store_dwordx4 v[40:41], v[28:31], off offset:1024 glc slc
	v_add_co_u32_e32 v10, vcc, v10, v16
	v_addc_co_u32_e32 v11, vcc, 0, v11, vcc
	v_add_co_u32_e32 v40, vcc, v40, v16
	v_addc_co_u32_e32 v41, vcc, 0, v41, vcc
	s_andn2_b64 exec, exec, s[28:29]
	s_cbranch_execnz .LBB4_13295
; %bb.13296:                            ;   in Loop: Header=BB4_13211 Depth=3
	s_or_b64 exec, exec, s[28:29]
.LBB4_13297:                            ;   in Loop: Header=BB4_13211 Depth=3
	s_or_b64 exec, exec, s[26:27]
	v_lshlrev_b32_e32 v17, 11, v7
	v_cmp_ne_u32_e32 vcc, v6, v17
	s_mov_b64 s[26:27], 0
	v_mov_b32_e32 v7, 0
                                        ; implicit-def: $vgpr15
                                        ; implicit-def: $vgpr16
	s_and_saveexec_b64 s[94:95], vcc
	s_cbranch_execz .LBB4_13305
; %bb.13298:                            ;   in Loop: Header=BB4_13211 Depth=3
	buffer_load_dword v8, off, s[0:3], s33 offset:336 ; 4-byte Folded Reload
	v_lshlrev_b32_e32 v7, 6, v18
	v_sub_u32_e32 v9, v6, v17
	s_waitcnt vmcnt(0)
	v_sub_u32_e32 v7, v8, v7
	v_ashrrev_i32_e32 v8, 31, v7
	v_lshrrev_b32_e32 v8, 26, v8
	v_add_u32_e32 v8, v7, v8
	v_ashrrev_i32_e32 v10, 6, v8
	v_and_b32_e32 v8, 0xffffffc0, v8
	v_sub_u32_e32 v16, v7, v8
	v_lshlrev_b32_e32 v7, 4, v16
	v_lshl_add_u32 v8, v10, 10, v7
	v_ashrrev_i32_e32 v7, 31, v9
	v_lshrrev_b32_e32 v7, 22, v7
	v_add_u32_e32 v7, v9, v7
	v_ashrrev_i32_e32 v11, 10, v7
	v_and_b32_e32 v7, 0xfffffc00, v7
	v_sub_u32_e32 v15, v9, v7
	v_cmp_lt_i32_e64 s[26:27], 15, v15
	v_sub_u32_e32 v20, v9, v8
	v_addc_co_u32_e64 v9, vcc, 0, v11, s[26:27]
	v_sub_u32_e32 v18, v9, v10
	v_cmp_lt_i32_e32 vcc, 15, v20
	s_and_saveexec_b64 s[30:31], vcc
	s_cbranch_execz .LBB4_13304
; %bb.13299:                            ;   in Loop: Header=BB4_13211 Depth=3
	v_add_u32_e32 v8, v8, v17
	v_ashrrev_i32_e32 v9, 31, v8
	v_add_co_u32_e32 v40, vcc, v8, v13
	v_addc_co_u32_e32 v41, vcc, v9, v14, vcc
	v_add_co_u32_e32 v21, vcc, v8, v52
	v_addc_co_u32_e32 v24, vcc, v9, v53, vcc
	;; [unrolled: 2-line block ×3, first 2 shown]
	s_mov_b64 s[34:35], 0
.LBB4_13300:                            ;   Parent Loop BB4_47 Depth=1
                                        ;     Parent Loop BB4_13208 Depth=2
                                        ;       Parent Loop BB4_13211 Depth=3
                                        ; =>      This Loop Header: Depth=4
                                        ;           Child Loop BB4_13301 Depth 5
	global_load_dwordx4 v[8:11], v[40:41], off glc slc
	s_mov_b64 s[36:37], -1
	s_mov_b64 s[38:39], 0
	s_waitcnt vmcnt(0)
.LBB4_13301:                            ;   Parent Loop BB4_47 Depth=1
                                        ;     Parent Loop BB4_13208 Depth=2
                                        ;       Parent Loop BB4_13211 Depth=3
                                        ;         Parent Loop BB4_13300 Depth=4
                                        ; =>        This Inner Loop Header: Depth=5
	s_cmp_eq_u32 s38, 1
	s_cselect_b64 s[28:29], -1, 0
	v_cndmask_b32_e64 v23, v24, v26, s[28:29]
	v_cndmask_b32_e64 v22, v21, v25, s[28:29]
	global_store_dwordx4 v[22:23], v[8:11], off glc slc
	v_add_co_u32_e32 v22, vcc, 0x400, v22
	s_cmp_eq_u32 s38, 0
	v_addc_co_u32_e32 v23, vcc, 0, v23, vcc
	s_cselect_b64 vcc, -1, 0
	s_and_b64 s[40:41], exec, s[36:37]
	s_mov_b64 s[38:39], 1
	v_cndmask_b32_e64 v25, v25, v22, s[28:29]
	s_mov_b64 s[36:37], 0
	v_cndmask_b32_e64 v26, v26, v23, s[28:29]
	v_cndmask_b32_e32 v24, v24, v23, vcc
	v_cndmask_b32_e32 v21, v21, v22, vcc
	s_mov_b64 vcc, s[40:41]
	s_cbranch_vccnz .LBB4_13301
; %bb.13302:                            ;   in Loop: Header=BB4_13300 Depth=4
	buffer_load_dword v8, off, s[0:3], s33 offset:180 ; 4-byte Folded Reload
	buffer_load_dword v9, off, s[0:3], s33 offset:184 ; 4-byte Folded Reload
	s_waitcnt vmcnt(1)
	v_add_co_u32_e32 v21, vcc, v21, v8
	s_waitcnt vmcnt(0)
	v_addc_co_u32_e32 v24, vcc, v24, v9, vcc
	v_add_co_u32_e32 v25, vcc, v25, v8
	buffer_load_dword v8, off, s[0:3], s33 offset:188 ; 4-byte Folded Reload
	v_addc_co_u32_e32 v26, vcc, v26, v9, vcc
	s_waitcnt vmcnt(0)
	v_add_co_u32_e32 v40, vcc, v8, v40
	buffer_load_dword v8, off, s[0:3], s33 offset:192 ; 4-byte Folded Reload
	s_waitcnt vmcnt(0)
	v_addc_co_u32_e32 v41, vcc, v8, v41, vcc
	buffer_load_dword v8, off, s[0:3], s33 offset:92 ; 4-byte Folded Reload
	s_waitcnt vmcnt(0)
	v_sub_u32_e32 v20, v20, v8
	buffer_load_dword v8, off, s[0:3], s33 offset:88 ; 4-byte Folded Reload
	v_cmp_gt_i32_e32 vcc, 16, v20
	s_or_b64 s[34:35], vcc, s[34:35]
	s_waitcnt vmcnt(0)
	v_sub_u32_e32 v18, v18, v8
	s_andn2_b64 exec, exec, s[34:35]
	s_cbranch_execnz .LBB4_13300
; %bb.13303:                            ;   in Loop: Header=BB4_13211 Depth=3
	s_or_b64 exec, exec, s[34:35]
.LBB4_13304:                            ;   in Loop: Header=BB4_13211 Depth=3
	s_or_b64 exec, exec, s[30:31]
	v_and_b32_e32 v8, 15, v6
	v_sub_u32_e32 v9, v15, v8
	v_cndmask_b32_e64 v15, v15, v8, s[26:27]
	buffer_load_dword v8, off, s[0:3], s33 offset:88 ; 4-byte Folded Reload
	v_cmp_lt_i32_e32 vcc, 0, v18
	v_cndmask_b32_e64 v9, 0, v9, s[26:27]
	v_add3_u32 v7, v7, v17, v9
	s_waitcnt vmcnt(0)
	v_cndmask_b32_e32 v8, 0, v8, vcc
	v_sub_u32_e32 v8, v8, v18
	v_cmp_ne_u32_e32 vcc, 0, v15
	v_lshl_add_u32 v16, v8, 6, v16
	s_and_b64 s[26:27], vcc, exec
.LBB4_13305:                            ;   in Loop: Header=BB4_13211 Depth=3
	s_or_b64 exec, exec, s[94:95]
	s_and_saveexec_b64 s[40:41], s[26:27]
	s_cbranch_execz .LBB4_13316
.LBB4_13306:                            ;   in Loop: Header=BB4_13211 Depth=3
	s_waitcnt vmcnt(0)
	v_ashrrev_i32_e32 v8, 31, v16
	v_ashrrev_i32_e32 v9, 31, v15
	v_lshrrev_b32_e32 v8, 26, v8
	v_lshrrev_b32_e32 v9, 22, v9
	v_add_u32_e32 v8, v16, v8
	v_add_u32_e32 v9, v15, v9
	v_ashrrev_i32_e32 v17, 6, v8
	v_ashrrev_i32_e32 v20, 10, v9
	v_sub_u32_e32 v18, v20, v17
	v_cmp_lt_i32_e32 vcc, 0, v18
	s_and_saveexec_b64 s[26:27], vcc
	s_cbranch_execz .LBB4_13310
; %bb.13307:                            ;   in Loop: Header=BB4_13211 Depth=3
	buffer_load_dword v32, off, s[0:3], s33 offset:88 ; 4-byte Folded Reload
	buffer_load_dword v33, off, s[0:3], s33 offset:92 ; 4-byte Folded Reload
	v_and_b32_e32 v8, 0xffffffc0, v8
	v_sub_u32_e32 v8, v16, v8
	v_lshlrev_b32_e32 v9, 10, v17
	v_add3_u32 v21, v7, v8, v9
	v_ashrrev_i32_e32 v22, 31, v21
	v_add_co_u32_e32 v8, vcc, v21, v52
	v_addc_co_u32_e32 v9, vcc, v22, v53, vcc
	v_add_co_u32_e32 v10, vcc, v21, v54
	v_addc_co_u32_e32 v11, vcc, v22, v55, vcc
	;; [unrolled: 2-line block ×4, first 2 shown]
	s_mov_b64 s[28:29], 0
.LBB4_13308:                            ;   Parent Loop BB4_47 Depth=1
                                        ;     Parent Loop BB4_13208 Depth=2
                                        ;       Parent Loop BB4_13211 Depth=3
                                        ; =>      This Inner Loop Header: Depth=4
	v_add_co_u32_e32 v21, vcc, 0xfffffc40, v54
	v_addc_co_u32_e32 v22, vcc, -1, v55, vcc
	flat_load_ubyte v21, v[21:22] glc slc
	v_add_co_u32_e32 v22, vcc, 0xfffffc80, v54
	v_addc_co_u32_e32 v23, vcc, -1, v55, vcc
	flat_load_ubyte v24, v[22:23] glc slc
	;; [unrolled: 3-line block ×15, first 2 shown]
	s_nop 0
	flat_load_ubyte v22, v[54:55] glc slc
	s_waitcnt vmcnt(0)
	v_sub_u32_e32 v18, v18, v32
	s_waitcnt lgkmcnt(0)
	flat_store_byte v[8:9], v21 glc slc
	flat_store_byte v[8:9], v24 offset:64 glc slc
	flat_store_byte v[8:9], v25 offset:128 glc slc
	;; [unrolled: 1-line block ×15, first 2 shown]
	flat_store_byte v[10:11], v21 glc slc
	flat_store_byte v[10:11], v24 offset:64 glc slc
	flat_store_byte v[10:11], v25 offset:128 glc slc
	;; [unrolled: 1-line block ×15, first 2 shown]
	v_add_co_u32_e32 v8, vcc, v8, v33
	v_addc_co_u32_e32 v9, vcc, 0, v9, vcc
	v_add_co_u32_e32 v10, vcc, v10, v33
	v_addc_co_u32_e32 v11, vcc, 0, v11, vcc
	;; [unrolled: 2-line block ×3, first 2 shown]
	v_cmp_gt_i32_e32 vcc, 1, v18
	s_or_b64 s[28:29], vcc, s[28:29]
	s_andn2_b64 exec, exec, s[28:29]
	s_cbranch_execnz .LBB4_13308
; %bb.13309:                            ;   in Loop: Header=BB4_13211 Depth=3
	s_or_b64 exec, exec, s[28:29]
.LBB4_13310:                            ;   in Loop: Header=BB4_13211 Depth=3
	s_or_b64 exec, exec, s[26:27]
	v_lshlrev_b32_e32 v8, 10, v20
	v_cmp_ne_u32_e32 vcc, v15, v8
	s_and_b64 exec, exec, vcc
	s_cbranch_execz .LBB4_13316
; %bb.13311:                            ;   in Loop: Header=BB4_13211 Depth=3
	v_lshlrev_b32_e32 v9, 6, v17
	v_sub_u32_e32 v9, v16, v9
	v_lshlrev_b32_e32 v10, 6, v18
	v_sub_u32_e32 v9, v9, v10
	v_add_u32_e32 v8, v8, v9
	v_sub_u32_e32 v10, v15, v8
	v_cmp_lt_i32_e32 vcc, 0, v10
	s_and_b64 exec, exec, vcc
	s_cbranch_execz .LBB4_13316
; %bb.13312:                            ;   in Loop: Header=BB4_13211 Depth=3
	v_add_u32_e32 v20, v8, v7
	s_trap 2
	ds_read_b64 v[8:9], v0
	ds_read_b128 v[15:18], v0
	v_ashrrev_i32_e32 v21, 31, v20
	s_mov_b64 s[94:95], 0
	s_waitcnt lgkmcnt(0)
	v_add_co_u32_e32 v8, vcc, v8, v20
	v_addc_co_u32_e32 v9, vcc, v9, v21, vcc
	v_add_co_u32_e32 v7, vcc, v15, v20
	v_addc_co_u32_e32 v11, vcc, v16, v21, vcc
	;; [unrolled: 2-line block ×3, first 2 shown]
.LBB4_13313:                            ;   Parent Loop BB4_47 Depth=1
                                        ;     Parent Loop BB4_13208 Depth=2
                                        ;       Parent Loop BB4_13211 Depth=3
                                        ; =>      This Loop Header: Depth=4
                                        ;           Child Loop BB4_13314 Depth 5
	flat_load_ubyte v17, v[8:9] glc slc
	s_mov_b64 s[30:31], -1
	s_mov_b64 s[34:35], 0
	s_waitcnt vmcnt(0)
.LBB4_13314:                            ;   Parent Loop BB4_47 Depth=1
                                        ;     Parent Loop BB4_13208 Depth=2
                                        ;       Parent Loop BB4_13211 Depth=3
                                        ;         Parent Loop BB4_13313 Depth=4
                                        ; =>        This Inner Loop Header: Depth=5
	s_cmp_eq_u32 s34, 1
	s_cselect_b64 vcc, -1, 0
	v_cndmask_b32_e32 v20, v7, v15, vcc
	v_cndmask_b32_e32 v21, v11, v16, vcc
	v_add_co_u32_e64 v18, s[26:27], 64, v20
	s_cmp_eq_u32 s34, 0
	s_waitcnt lgkmcnt(0)
	flat_store_byte v[20:21], v17 glc slc
	v_addc_co_u32_e64 v20, s[26:27], 0, v21, s[26:27]
	s_cselect_b64 s[26:27], -1, 0
	s_and_b64 s[28:29], exec, s[30:31]
	s_mov_b64 s[34:35], 1
	s_mov_b64 s[30:31], 0
	v_cndmask_b32_e32 v16, v16, v20, vcc
	v_cndmask_b32_e32 v15, v15, v18, vcc
	v_cndmask_b32_e64 v11, v11, v20, s[26:27]
	v_cndmask_b32_e64 v7, v7, v18, s[26:27]
	s_mov_b64 vcc, s[28:29]
	s_cbranch_vccnz .LBB4_13314
; %bb.13315:                            ;   in Loop: Header=BB4_13313 Depth=4
	buffer_load_dword v17, off, s[0:3], s33 offset:156 ; 4-byte Folded Reload
	buffer_load_dword v18, off, s[0:3], s33 offset:160 ; 4-byte Folded Reload
	s_waitcnt vmcnt(0)
	v_add_co_u32_e32 v7, vcc, v7, v17
	v_addc_co_u32_e32 v11, vcc, v11, v18, vcc
	v_add_co_u32_e32 v15, vcc, v15, v17
	buffer_load_dword v17, off, s[0:3], s33 offset:104 ; 4-byte Folded Reload
	v_addc_co_u32_e32 v16, vcc, v16, v18, vcc
	s_waitcnt vmcnt(0)
	v_sub_u32_e32 v10, v10, v17
	buffer_load_dword v17, off, s[0:3], s33 offset:164 ; 4-byte Folded Reload
	v_cmp_gt_i32_e32 vcc, 1, v10
	s_or_b64 s[94:95], vcc, s[94:95]
	s_waitcnt vmcnt(0)
	v_add_co_u32_e32 v8, vcc, v17, v8
	buffer_load_dword v17, off, s[0:3], s33 offset:168 ; 4-byte Folded Reload
	s_waitcnt vmcnt(0)
	v_addc_co_u32_e32 v9, vcc, v17, v9, vcc
	s_andn2_b64 exec, exec, s[94:95]
	s_cbranch_execnz .LBB4_13313
.LBB4_13316:                            ;   in Loop: Header=BB4_13211 Depth=3
	s_or_b64 exec, exec, s[40:41]
	s_branch .LBB4_13292
.LBB4_13317:                            ;   in Loop: Header=BB4_13211 Depth=3
	s_mov_b64 s[26:27], -1
	s_and_saveexec_b64 s[28:29], s[20:21]
	s_cbranch_execz .LBB4_13319
; %bb.13318:                            ;   in Loop: Header=BB4_13211 Depth=3
	ds_read_b32 v7, v0 offset:720
	s_waitcnt lgkmcnt(0)
	v_and_b32_e32 v7, 15, v7
	v_cmp_eq_u32_e32 vcc, 0, v7
	s_orn2_b64 s[26:27], vcc, exec
.LBB4_13319:                            ;   in Loop: Header=BB4_13211 Depth=3
	s_or_b64 exec, exec, s[28:29]
	s_and_saveexec_b64 s[28:29], s[18:19]
	s_cbranch_execz .LBB4_13321
; %bb.13320:                            ;   in Loop: Header=BB4_13211 Depth=3
	ds_read_b32 v7, v0 offset:784
	s_waitcnt lgkmcnt(0)
	v_and_b32_e32 v7, 15, v7
	v_cmp_eq_u32_e32 vcc, 0, v7
	s_and_b64 s[40:41], s[26:27], vcc
	s_andn2_b64 s[26:27], s[26:27], exec
	s_and_b64 s[40:41], s[40:41], exec
	s_or_b64 s[26:27], s[26:27], s[40:41]
.LBB4_13321:                            ;   in Loop: Header=BB4_13211 Depth=3
	s_or_b64 exec, exec, s[28:29]
	buffer_load_dword v9, off, s[0:3], s33 offset:176 ; 4-byte Folded Reload
	s_xor_b64 s[26:27], s[26:27], -1
	v_cndmask_b32_e64 v8, 0, 1, s[26:27]
	s_mov_b64 s[40:41], -1
	v_mov_b32_e32 v7, 0
	v_cmp_ne_u32_e32 vcc, 0, v8
	v_mov_b32_e32 v8, v6
	s_cbranch_vccz .LBB4_13323
; %bb.13322:                            ;   in Loop: Header=BB4_13211 Depth=3
	s_and_saveexec_b64 s[26:27], s[40:41]
	s_cbranch_execnz .LBB4_13334
	s_branch .LBB4_13342
.LBB4_13323:                            ;   in Loop: Header=BB4_13211 Depth=3
	buffer_load_dword v8, off, s[0:3], s33 offset:212 ; 4-byte Folded Reload
	v_ashrrev_i32_e32 v7, 31, v6
	v_lshrrev_b32_e32 v7, 20, v7
	v_add_u32_e32 v7, v6, v7
	v_ashrrev_i32_e32 v7, 12, v7
	s_waitcnt vmcnt(0)
	v_sub_u32_e32 v15, v7, v8
	v_cmp_lt_i32_e32 vcc, 0, v15
	s_and_saveexec_b64 s[26:27], vcc
	s_cbranch_execz .LBB4_13327
; %bb.13324:                            ;   in Loop: Header=BB4_13211 Depth=3
	buffer_load_dword v18, off, s[0:3], s33 offset:88 ; 4-byte Folded Reload
	buffer_load_dword v20, off, s[0:3], s33 offset:332 ; 4-byte Folded Reload
	;; [unrolled: 1-line block ×3, first 2 shown]
	v_mov_b32_e32 v8, v52
	v_mov_b32_e32 v10, v13
	s_mov_b64 s[28:29], 0
	v_mov_b32_e32 v9, v53
	v_mov_b32_e32 v11, v14
.LBB4_13325:                            ;   Parent Loop BB4_47 Depth=1
                                        ;     Parent Loop BB4_13208 Depth=2
                                        ;       Parent Loop BB4_13211 Depth=3
                                        ; =>      This Inner Loop Header: Depth=4
	s_waitcnt vmcnt(0)
	v_add_co_u32_e32 v16, vcc, v21, v10
	v_addc_co_u32_e32 v17, vcc, 0, v11, vcc
	global_load_dwordx4 v[24:27], v[16:17], off glc slc
	global_load_dwordx4 v[28:31], v[16:17], off offset:1024 glc slc
	global_load_dwordx4 v[34:37], v[16:17], off offset:2048 glc slc
	;; [unrolled: 1-line block ×3, first 2 shown]
	v_add_co_u32_e32 v16, vcc, v21, v8
	v_addc_co_u32_e32 v17, vcc, 0, v9, vcc
	v_add_co_u32_e32 v10, vcc, v10, v20
	v_addc_co_u32_e32 v11, vcc, 0, v11, vcc
	v_add_co_u32_e32 v8, vcc, v8, v20
	v_sub_u32_e32 v15, v15, v18
	v_addc_co_u32_e32 v9, vcc, 0, v9, vcc
	v_cmp_gt_i32_e32 vcc, 1, v15
	s_or_b64 s[28:29], vcc, s[28:29]
	s_waitcnt vmcnt(0)
	global_store_dwordx4 v[16:17], v[24:27], off glc slc
	global_store_dwordx4 v[16:17], v[28:31], off offset:1024 glc slc
	global_store_dwordx4 v[16:17], v[34:37], off offset:2048 glc slc
	;; [unrolled: 1-line block ×3, first 2 shown]
	s_andn2_b64 exec, exec, s[28:29]
	s_cbranch_execnz .LBB4_13325
; %bb.13326:                            ;   in Loop: Header=BB4_13211 Depth=3
	s_or_b64 exec, exec, s[28:29]
.LBB4_13327:                            ;   in Loop: Header=BB4_13211 Depth=3
	s_or_b64 exec, exec, s[26:27]
	v_lshlrev_b32_e32 v10, 12, v7
	v_cmp_ne_u32_e32 vcc, v6, v10
	s_mov_b64 s[40:41], 0
	v_mov_b32_e32 v7, 0
                                        ; implicit-def: $vgpr8
                                        ; implicit-def: $vgpr9
	s_and_saveexec_b64 s[28:29], vcc
	s_cbranch_execz .LBB4_13333
; %bb.13328:                            ;   in Loop: Header=BB4_13211 Depth=3
	buffer_load_dword v9, off, s[0:3], s33 offset:336 ; 4-byte Folded Reload
	v_lshlrev_b32_e32 v7, 6, v15
	v_sub_u32_e32 v8, v6, v10
	s_waitcnt vmcnt(0)
	v_sub_u32_e32 v7, v9, v7
	v_ashrrev_i32_e32 v9, 31, v7
	v_lshrrev_b32_e32 v9, 26, v9
	v_add_u32_e32 v9, v7, v9
	v_ashrrev_i32_e32 v11, 6, v9
	v_and_b32_e32 v9, 0xffffffc0, v9
	v_sub_u32_e32 v9, v7, v9
	v_lshlrev_b32_e32 v7, 4, v9
	v_lshl_add_u32 v16, v11, 10, v7
	v_ashrrev_i32_e32 v7, 31, v8
	v_lshrrev_b32_e32 v7, 22, v7
	v_add_u32_e32 v7, v8, v7
	v_ashrrev_i32_e32 v17, 10, v7
	v_and_b32_e32 v7, 0xfffffc00, v7
	v_sub_u32_e32 v15, v8, v16
	v_sub_u32_e32 v8, v8, v7
	v_cmp_lt_i32_e32 vcc, 15, v8
	v_addc_co_u32_e64 v17, s[26:27], 0, v17, vcc
	v_sub_u32_e32 v11, v17, v11
	v_cmp_lt_i32_e64 s[26:27], 15, v15
	s_and_saveexec_b64 s[40:41], s[26:27]
	s_cbranch_execz .LBB4_13332
; %bb.13329:                            ;   in Loop: Header=BB4_13211 Depth=3
	buffer_load_dword v18, off, s[0:3], s33 offset:88 ; 4-byte Folded Reload
	buffer_load_dword v22, off, s[0:3], s33 offset:92 ; 4-byte Folded Reload
	v_add_u32_e32 v16, v16, v10
	v_ashrrev_i32_e32 v17, 31, v16
	s_mov_b64 s[94:95], 0
.LBB4_13330:                            ;   Parent Loop BB4_47 Depth=1
                                        ;     Parent Loop BB4_13208 Depth=2
                                        ;       Parent Loop BB4_13211 Depth=3
                                        ; =>      This Inner Loop Header: Depth=4
	v_add_co_u32_e64 v20, s[26:27], v13, v16
	v_addc_co_u32_e64 v21, s[26:27], v14, v17, s[26:27]
	global_load_dwordx4 v[24:27], v[20:21], off glc slc
	v_add_co_u32_e64 v20, s[26:27], v52, v16
	v_addc_co_u32_e64 v21, s[26:27], v53, v17, s[26:27]
	s_waitcnt vmcnt(0)
	v_add_co_u32_e64 v16, s[26:27], v16, v22
	v_sub_u32_e32 v15, v15, v22
	v_addc_co_u32_e64 v17, s[26:27], 0, v17, s[26:27]
	v_cmp_gt_i32_e64 s[26:27], 16, v15
	v_sub_u32_e32 v11, v11, v18
	s_or_b64 s[94:95], s[26:27], s[94:95]
	global_store_dwordx4 v[20:21], v[24:27], off glc slc
	s_andn2_b64 exec, exec, s[94:95]
	s_cbranch_execnz .LBB4_13330
; %bb.13331:                            ;   in Loop: Header=BB4_13211 Depth=3
	s_or_b64 exec, exec, s[94:95]
.LBB4_13332:                            ;   in Loop: Header=BB4_13211 Depth=3
	s_or_b64 exec, exec, s[40:41]
	v_and_b32_e32 v15, 15, v6
	v_sub_u32_e32 v16, v8, v15
	v_cndmask_b32_e32 v16, 0, v16, vcc
	v_add3_u32 v7, v7, v10, v16
	buffer_load_dword v10, off, s[0:3], s33 offset:88 ; 4-byte Folded Reload
	v_cndmask_b32_e32 v8, v8, v15, vcc
	v_cmp_lt_i32_e32 vcc, 0, v11
	s_waitcnt vmcnt(0)
	v_cndmask_b32_e32 v10, 0, v10, vcc
	v_sub_u32_e32 v10, v10, v11
	v_cmp_ne_u32_e32 vcc, 0, v8
	v_lshl_add_u32 v9, v10, 6, v9
	s_and_b64 s[40:41], vcc, exec
.LBB4_13333:                            ;   in Loop: Header=BB4_13211 Depth=3
	s_or_b64 exec, exec, s[28:29]
	s_and_saveexec_b64 s[26:27], s[40:41]
	s_cbranch_execz .LBB4_13342
.LBB4_13334:                            ;   in Loop: Header=BB4_13211 Depth=3
	s_waitcnt vmcnt(0)
	v_ashrrev_i32_e32 v10, 31, v9
	v_ashrrev_i32_e32 v11, 31, v8
	v_lshrrev_b32_e32 v10, 26, v10
	v_lshrrev_b32_e32 v11, 22, v11
	v_add_u32_e32 v16, v9, v10
	v_add_u32_e32 v11, v8, v11
	v_ashrrev_i32_e32 v10, 6, v16
	v_ashrrev_i32_e32 v15, 10, v11
	v_sub_u32_e32 v11, v15, v10
	v_cmp_lt_i32_e32 vcc, 0, v11
	s_and_saveexec_b64 s[28:29], vcc
	s_cbranch_execz .LBB4_13338
; %bb.13335:                            ;   in Loop: Header=BB4_13211 Depth=3
	buffer_load_dword v37, off, s[0:3], s33 offset:88 ; 4-byte Folded Reload
	buffer_load_dword v38, off, s[0:3], s33 offset:92 ; 4-byte Folded Reload
	v_and_b32_e32 v16, 0xffffffc0, v16
	v_sub_u32_e32 v16, v9, v16
	v_lshlrev_b32_e32 v17, 10, v10
	v_add3_u32 v16, v7, v16, v17
	v_ashrrev_i32_e32 v17, 31, v16
	s_mov_b64 s[40:41], 0
.LBB4_13336:                            ;   Parent Loop BB4_47 Depth=1
                                        ;     Parent Loop BB4_13208 Depth=2
                                        ;       Parent Loop BB4_13211 Depth=3
                                        ; =>      This Inner Loop Header: Depth=4
	v_add_co_u32_e32 v20, vcc, v16, v13
	v_addc_co_u32_e32 v21, vcc, v17, v14, vcc
	flat_load_ubyte v18, v[20:21] glc slc
	flat_load_ubyte v22, v[20:21] offset:64 glc slc
	flat_load_ubyte v23, v[20:21] offset:128 glc slc
	;; [unrolled: 1-line block ×15, first 2 shown]
	v_add_co_u32_e32 v20, vcc, v16, v52
	v_addc_co_u32_e32 v21, vcc, v17, v53, vcc
	s_waitcnt vmcnt(0)
	v_add_co_u32_e32 v13, vcc, v13, v38
	v_addc_co_u32_e32 v14, vcc, 0, v14, vcc
	v_add_co_u32_e32 v52, vcc, v52, v38
	v_sub_u32_e32 v11, v11, v37
	v_addc_co_u32_e32 v53, vcc, 0, v53, vcc
	v_cmp_gt_i32_e32 vcc, 1, v11
	s_or_b64 s[40:41], vcc, s[40:41]
	s_waitcnt lgkmcnt(0)
	flat_store_byte v[20:21], v18 glc slc
	flat_store_byte v[20:21], v22 offset:64 glc slc
	flat_store_byte v[20:21], v23 offset:128 glc slc
	;; [unrolled: 1-line block ×15, first 2 shown]
	s_andn2_b64 exec, exec, s[40:41]
	s_cbranch_execnz .LBB4_13336
; %bb.13337:                            ;   in Loop: Header=BB4_13211 Depth=3
	s_or_b64 exec, exec, s[40:41]
.LBB4_13338:                            ;   in Loop: Header=BB4_13211 Depth=3
	s_or_b64 exec, exec, s[28:29]
	buffer_load_dword v16, off, s[0:3], s33 offset:104 ; 4-byte Folded Reload
	v_lshlrev_b32_e32 v13, 10, v15
	v_cmp_ne_u32_e32 vcc, v8, v13
	s_and_b64 s[28:29], exec, vcc
	s_mov_b64 exec, s[28:29]
	s_cbranch_execz .LBB4_13342
; %bb.13339:                            ;   in Loop: Header=BB4_13211 Depth=3
	v_lshlrev_b32_e32 v10, 6, v10
	v_sub_u32_e32 v9, v9, v10
	v_lshlrev_b32_e32 v10, 6, v11
	v_sub_u32_e32 v9, v9, v10
	v_add_u32_e32 v9, v13, v9
	v_sub_u32_e32 v10, v8, v9
	v_cmp_lt_i32_e32 vcc, 0, v10
	s_and_b64 exec, exec, vcc
	s_cbranch_execz .LBB4_13342
; %bb.13340:                            ;   in Loop: Header=BB4_13211 Depth=3
	v_add_u32_e32 v7, v9, v7
	s_trap 2
	ds_read_b64 v[8:9], v0
	v_ashrrev_i32_e32 v11, 31, v7
	s_mov_b64 s[28:29], 0
.LBB4_13341:                            ;   Parent Loop BB4_47 Depth=1
                                        ;     Parent Loop BB4_13208 Depth=2
                                        ;       Parent Loop BB4_13211 Depth=3
                                        ; =>      This Inner Loop Header: Depth=4
	s_waitcnt lgkmcnt(0)
	v_add_co_u32_e32 v13, vcc, v8, v7
	v_addc_co_u32_e32 v14, vcc, v9, v11, vcc
	flat_load_ubyte v15, v[13:14] glc slc
	s_waitcnt vmcnt(0)
	v_add_co_u32_e32 v7, vcc, v7, v16
	v_sub_u32_e32 v10, v10, v16
	v_addc_co_u32_e32 v11, vcc, 0, v11, vcc
	v_cmp_gt_i32_e32 vcc, 1, v10
	s_or_b64 s[28:29], vcc, s[28:29]
	s_waitcnt lgkmcnt(0)
	flat_store_byte v[13:14], v15 glc slc
	s_andn2_b64 exec, exec, s[28:29]
	s_cbranch_execnz .LBB4_13341
.LBB4_13342:                            ;   in Loop: Header=BB4_13211 Depth=3
	s_or_b64 exec, exec, s[26:27]
	v_cmp_lt_i32_e64 s[26:27], 0, v6
	s_and_saveexec_b64 s[28:29], s[10:11]
	s_cbranch_execz .LBB4_13287
.LBB4_13343:                            ;   in Loop: Header=BB4_13211 Depth=3
	s_and_saveexec_b64 s[40:41], s[58:59]
	s_xor_b64 s[40:41], exec, s[40:41]
	s_cbranch_execz .LBB4_13358
; %bb.13344:                            ;   in Loop: Header=BB4_13211 Depth=3
	s_and_saveexec_b64 s[94:95], s[16:17]
	s_cbranch_execz .LBB4_13357
; %bb.13345:                            ;   in Loop: Header=BB4_13211 Depth=3
	s_mov_b64 s[34:35], exec
	v_mbcnt_lo_u32_b32 v6, s34, 0
	v_mbcnt_hi_u32_b32 v6, s35, v6
	v_cmp_eq_u32_e32 vcc, 0, v6
	s_waitcnt vmcnt(0) lgkmcnt(0)
	buffer_wbinvl1_vol
	s_and_saveexec_b64 s[30:31], vcc
	s_cbranch_execz .LBB4_13347
; %bb.13346:                            ;   in Loop: Header=BB4_13211 Depth=3
	s_bcnt1_i32_b64 s47, s[34:35]
	v_mov_b32_e32 v6, s47
	v_mov_b32_e32 v7, v3
	ds_add_u64 v0, v[6:7]
	s_trap 2
.LBB4_13347:                            ;   in Loop: Header=BB4_13211 Depth=3
	s_or_b64 exec, exec, s[30:31]
	s_trap 2
	ds_read_b64 v[6:7], v0
	s_waitcnt lgkmcnt(0)
	buffer_load_dword v8, off, s[0:3], s33 offset:72 ; 4-byte Folded Reload
	buffer_load_dword v9, off, s[0:3], s33 offset:76 ; 4-byte Folded Reload
	;; [unrolled: 1-line block ×3, first 2 shown]
	s_waitcnt vmcnt(0)
	v_add_co_u32_e32 v8, vcc, v8, v10
	v_addc_co_u32_e32 v9, vcc, 0, v9, vcc
	buffer_store_dword v8, off, s[0:3], s33 offset:72 ; 4-byte Folded Spill
	s_nop 0
	buffer_store_dword v9, off, s[0:3], s33 offset:76 ; 4-byte Folded Spill
	v_cmp_lt_u64_e32 vcc, v[6:7], v[8:9]
	s_and_saveexec_b64 s[30:31], vcc
	s_cbranch_execz .LBB4_13356
; %bb.13348:                            ;   in Loop: Header=BB4_13211 Depth=3
	s_mov_b32 s47, 0
	s_mov_b64 s[34:35], 0
                                        ; implicit-def: $sgpr36_sgpr37
                                        ; implicit-def: $sgpr38_sgpr39
	s_branch .LBB4_13350
.LBB4_13349:                            ;   in Loop: Header=BB4_13350 Depth=4
	s_or_b64 exec, exec, s[50:51]
	s_and_b64 vcc, exec, vcc
	s_or_b64 s[34:35], vcc, s[34:35]
	s_andn2_b64 vcc, s[36:37], exec
	s_and_b64 s[36:37], s[38:39], exec
	s_or_b64 s[36:37], vcc, s[36:37]
	s_andn2_b64 exec, exec, s[34:35]
	s_cbranch_execz .LBB4_13354
.LBB4_13350:                            ;   Parent Loop BB4_47 Depth=1
                                        ;     Parent Loop BB4_13208 Depth=2
                                        ;       Parent Loop BB4_13211 Depth=3
                                        ; =>      This Inner Loop Header: Depth=4
	s_add_i32 s47, s47, 1
	s_cmpk_lg_i32 s47, 0x2710
	s_cselect_b64 s[48:49], -1, 0
	s_and_b64 vcc, exec, s[48:49]
	s_cbranch_vccz .LBB4_13352
; %bb.13351:                            ;   in Loop: Header=BB4_13350 Depth=4
	s_mov_b64 vcc, -1
	s_or_b64 s[38:39], s[38:39], exec
	s_and_saveexec_b64 s[50:51], s[48:49]
	s_cbranch_execz .LBB4_13349
	s_branch .LBB4_13353
.LBB4_13352:                            ;   in Loop: Header=BB4_13350 Depth=4
	s_trap 2
	ds_read_b64 v[6:7], v0
	s_andn2_b64 s[48:49], s[48:49], exec
	s_mov_b32 s47, 0
	s_waitcnt vmcnt(0) lgkmcnt(0)
	flat_load_dword v6, v[6:7] glc
	s_waitcnt vmcnt(0) lgkmcnt(0)
	buffer_wbinvl1_vol
	v_cmp_eq_u32_e32 vcc, 0, v6
	s_and_b64 vcc, vcc, exec
	s_or_b64 s[48:49], s[48:49], vcc
	s_mov_b64 vcc, -1
	s_or_b64 s[38:39], s[38:39], exec
	s_and_saveexec_b64 s[50:51], s[48:49]
	s_cbranch_execz .LBB4_13349
.LBB4_13353:                            ;   in Loop: Header=BB4_13350 Depth=4
	s_sleep 1
	s_trap 2
	ds_read_b64 v[6:7], v0
	s_waitcnt lgkmcnt(0)
	buffer_load_dword v8, off, s[0:3], s33 offset:72 ; 4-byte Folded Reload
	buffer_load_dword v9, off, s[0:3], s33 offset:76 ; 4-byte Folded Reload
	s_andn2_b64 s[38:39], s[38:39], exec
	s_waitcnt vmcnt(0)
	v_cmp_ge_u64_e32 vcc, v[6:7], v[8:9]
	s_orn2_b64 vcc, vcc, exec
	s_branch .LBB4_13349
.LBB4_13354:                            ;   in Loop: Header=BB4_13211 Depth=3
	s_or_b64 exec, exec, s[34:35]
	s_and_saveexec_b64 vcc, s[36:37]
	s_xor_b64 vcc, exec, vcc
	s_cbranch_execz .LBB4_13356
; %bb.13355:                            ;   in Loop: Header=BB4_13211 Depth=3
	v_mov_b32_e32 v6, 1
	ds_write_b32 v0, v6
	s_trap 2
.LBB4_13356:                            ;   in Loop: Header=BB4_13211 Depth=3
	s_or_b64 exec, exec, s[30:31]
	;;#ASMSTART
	s_wakeup
	;;#ASMEND
.LBB4_13357:                            ;   in Loop: Header=BB4_13211 Depth=3
	s_or_b64 exec, exec, s[94:95]
.LBB4_13358:                            ;   in Loop: Header=BB4_13211 Depth=3
	s_andn2_saveexec_b64 s[40:41], s[40:41]
	s_cbranch_execz .LBB4_13360
; %bb.13359:                            ;   in Loop: Header=BB4_13211 Depth=3
	s_waitcnt vmcnt(0) lgkmcnt(0)
	buffer_wbinvl1_vol
	s_barrier
.LBB4_13360:                            ;   in Loop: Header=BB4_13211 Depth=3
	s_or_b64 exec, exec, s[40:41]
	s_or_b64 exec, exec, s[28:29]
                                        ; implicit-def: $vgpr6
	s_and_saveexec_b64 s[28:29], s[24:25]
	s_xor_b64 s[28:29], exec, s[28:29]
	s_cbranch_execnz .LBB4_13288
.LBB4_13361:                            ;   in Loop: Header=BB4_13211 Depth=3
	s_andn2_saveexec_b64 s[26:27], s[28:29]
	s_cbranch_execz .LBB4_13380
.LBB4_13362:                            ;   in Loop: Header=BB4_13211 Depth=3
	s_and_saveexec_b64 s[28:29], s[58:59]
	s_xor_b64 s[28:29], exec, s[28:29]
	s_cbranch_execz .LBB4_13377
; %bb.13363:                            ;   in Loop: Header=BB4_13211 Depth=3
	s_and_saveexec_b64 s[40:41], s[16:17]
	s_cbranch_execz .LBB4_13376
; %bb.13364:                            ;   in Loop: Header=BB4_13211 Depth=3
	s_mov_b64 s[30:31], exec
	v_mbcnt_lo_u32_b32 v6, s30, 0
	v_mbcnt_hi_u32_b32 v6, s31, v6
	v_cmp_eq_u32_e32 vcc, 0, v6
	;;#ASMSTART
	s_waitcnt lgkmcnt(0) vmcnt(0)
	;;#ASMEND
	s_and_saveexec_b64 s[94:95], vcc
	s_cbranch_execz .LBB4_13366
; %bb.13365:                            ;   in Loop: Header=BB4_13211 Depth=3
	s_bcnt1_i32_b64 s47, s[30:31]
	v_mov_b32_e32 v6, s47
	v_mov_b32_e32 v7, v3
	s_waitcnt lgkmcnt(0)
	ds_add_u64 v0, v[6:7]
	s_trap 2
.LBB4_13366:                            ;   in Loop: Header=BB4_13211 Depth=3
	s_or_b64 exec, exec, s[94:95]
	s_trap 2
	ds_read_b64 v[6:7], v0
	s_waitcnt lgkmcnt(0)
	buffer_load_dword v8, off, s[0:3], s33 offset:72 ; 4-byte Folded Reload
	buffer_load_dword v9, off, s[0:3], s33 offset:76 ; 4-byte Folded Reload
	;; [unrolled: 1-line block ×3, first 2 shown]
	s_waitcnt vmcnt(0)
	v_add_co_u32_e32 v8, vcc, v8, v10
	v_addc_co_u32_e32 v9, vcc, 0, v9, vcc
	buffer_store_dword v8, off, s[0:3], s33 offset:72 ; 4-byte Folded Spill
	s_nop 0
	buffer_store_dword v9, off, s[0:3], s33 offset:76 ; 4-byte Folded Spill
	v_cmp_lt_u64_e32 vcc, v[6:7], v[8:9]
	s_and_saveexec_b64 s[94:95], vcc
	s_cbranch_execz .LBB4_13375
; %bb.13367:                            ;   in Loop: Header=BB4_13211 Depth=3
	s_mov_b32 s47, 0
	s_mov_b64 s[30:31], 0
                                        ; implicit-def: $sgpr34_sgpr35
                                        ; implicit-def: $sgpr36_sgpr37
	s_branch .LBB4_13369
.LBB4_13368:                            ;   in Loop: Header=BB4_13369 Depth=4
	s_or_b64 exec, exec, s[48:49]
	s_and_b64 vcc, exec, vcc
	s_or_b64 s[30:31], vcc, s[30:31]
	s_andn2_b64 vcc, s[34:35], exec
	s_and_b64 s[34:35], s[36:37], exec
	s_or_b64 s[34:35], vcc, s[34:35]
	s_andn2_b64 exec, exec, s[30:31]
	s_cbranch_execz .LBB4_13373
.LBB4_13369:                            ;   Parent Loop BB4_47 Depth=1
                                        ;     Parent Loop BB4_13208 Depth=2
                                        ;       Parent Loop BB4_13211 Depth=3
                                        ; =>      This Inner Loop Header: Depth=4
	s_add_i32 s47, s47, 1
	s_cmpk_lg_i32 s47, 0x2710
	s_cselect_b64 s[38:39], -1, 0
	s_and_b64 vcc, exec, s[38:39]
	s_cbranch_vccz .LBB4_13371
; %bb.13370:                            ;   in Loop: Header=BB4_13369 Depth=4
	s_mov_b64 vcc, -1
	s_or_b64 s[36:37], s[36:37], exec
	s_and_saveexec_b64 s[48:49], s[38:39]
	s_cbranch_execz .LBB4_13368
	s_branch .LBB4_13372
.LBB4_13371:                            ;   in Loop: Header=BB4_13369 Depth=4
	s_trap 2
	ds_read_b64 v[6:7], v0
	s_andn2_b64 s[38:39], s[38:39], exec
	s_mov_b32 s47, 0
	s_waitcnt vmcnt(0) lgkmcnt(0)
	flat_load_dword v6, v[6:7] glc
	s_waitcnt vmcnt(0) lgkmcnt(0)
	buffer_wbinvl1_vol
	v_cmp_eq_u32_e32 vcc, 0, v6
	s_and_b64 vcc, vcc, exec
	s_or_b64 s[38:39], s[38:39], vcc
	s_mov_b64 vcc, -1
	s_or_b64 s[36:37], s[36:37], exec
	s_and_saveexec_b64 s[48:49], s[38:39]
	s_cbranch_execz .LBB4_13368
.LBB4_13372:                            ;   in Loop: Header=BB4_13369 Depth=4
	s_sleep 1
	s_trap 2
	ds_read_b64 v[6:7], v0
	s_waitcnt lgkmcnt(0)
	buffer_load_dword v8, off, s[0:3], s33 offset:72 ; 4-byte Folded Reload
	buffer_load_dword v9, off, s[0:3], s33 offset:76 ; 4-byte Folded Reload
	s_andn2_b64 s[36:37], s[36:37], exec
	s_waitcnt vmcnt(0)
	v_cmp_ge_u64_e32 vcc, v[6:7], v[8:9]
	s_orn2_b64 vcc, vcc, exec
	s_branch .LBB4_13368
.LBB4_13373:                            ;   in Loop: Header=BB4_13211 Depth=3
	s_or_b64 exec, exec, s[30:31]
	s_and_saveexec_b64 vcc, s[34:35]
	s_xor_b64 vcc, exec, vcc
	s_cbranch_execz .LBB4_13375
; %bb.13374:                            ;   in Loop: Header=BB4_13211 Depth=3
	v_mov_b32_e32 v6, 1
	ds_write_b32 v0, v6
	s_trap 2
.LBB4_13375:                            ;   in Loop: Header=BB4_13211 Depth=3
	s_or_b64 exec, exec, s[94:95]
	;;#ASMSTART
	s_wakeup
	;;#ASMEND
.LBB4_13376:                            ;   in Loop: Header=BB4_13211 Depth=3
	s_or_b64 exec, exec, s[40:41]
.LBB4_13377:                            ;   in Loop: Header=BB4_13211 Depth=3
	s_andn2_saveexec_b64 s[28:29], s[28:29]
	s_cbranch_execz .LBB4_13379
; %bb.13378:                            ;   in Loop: Header=BB4_13211 Depth=3
	;;#ASMSTART
	s_waitcnt lgkmcnt(0) vmcnt(0)
	;;#ASMEND
	s_waitcnt vmcnt(0) lgkmcnt(0)
	s_barrier
.LBB4_13379:                            ;   in Loop: Header=BB4_13211 Depth=3
	s_or_b64 exec, exec, s[28:29]
	v_and_b32_e32 v6, 16, v19
.LBB4_13380:                            ;   in Loop: Header=BB4_13211 Depth=3
	s_or_b64 exec, exec, s[26:27]
	v_cmp_ne_u32_e32 vcc, 0, v6
	s_xor_b64 s[26:27], s[12:13], -1
	s_and_b64 s[28:29], vcc, s[26:27]
	s_and_saveexec_b64 s[26:27], s[28:29]
	s_cbranch_execz .LBB4_13382
; %bb.13381:                            ;   in Loop: Header=BB4_13211 Depth=3
	buffer_load_dword v6, off, s[0:3], s33 offset:136 ; 4-byte Folded Reload
	buffer_load_dword v7, off, s[0:3], s33 offset:140 ; 4-byte Folded Reload
	v_mov_b32_e32 v8, 1
	s_waitcnt vmcnt(0)
	flat_store_dword v[6:7], v8
.LBB4_13382:                            ;   in Loop: Header=BB4_13211 Depth=3
	s_or_b64 exec, exec, s[26:27]
	v_and_b32_e32 v6, 48, v19
	v_cmp_ne_u32_e32 vcc, 0, v6
	s_and_saveexec_b64 s[26:27], vcc
	s_cbranch_execz .LBB4_13210
; %bb.13383:                            ;   in Loop: Header=BB4_13211 Depth=3
	buffer_load_dword v8, off, s[0:3], s33 offset:80 ; 4-byte Folded Reload
	buffer_load_dword v9, off, s[0:3], s33 offset:84 ; 4-byte Folded Reload
	buffer_load_dword v6, off, s[0:3], s33 offset:64 ; 4-byte Folded Reload
	buffer_load_dword v7, off, s[0:3], s33 offset:68 ; 4-byte Folded Reload
	s_waitcnt vmcnt(0)
	v_add_co_u32_e32 v8, vcc, 2, v8
	v_addc_co_u32_e32 v9, vcc, 0, v9, vcc
	buffer_store_dword v8, off, s[0:3], s33 offset:80 ; 4-byte Folded Spill
	s_nop 0
	buffer_store_dword v9, off, s[0:3], s33 offset:84 ; 4-byte Folded Spill
	flat_store_dwordx2 v[6:7], v[8:9]
	s_branch .LBB4_13210
.LBB4_13384:                            ;   in Loop: Header=BB4_13208 Depth=2
	s_or_b64 exec, exec, s[42:43]
	v_cmp_gt_i32_e32 vcc, 2, v6
	s_and_saveexec_b64 s[28:29], vcc
	s_cbranch_execz .LBB4_13460
.LBB4_13385:                            ;   in Loop: Header=BB4_13208 Depth=2
	v_cmp_eq_u32_e64 s[42:43], 0, v6
	s_mov_b64 s[40:41], 0
	s_branch .LBB4_13387
.LBB4_13386:                            ;   in Loop: Header=BB4_13387 Depth=3
	s_or_b64 exec, exec, s[26:27]
	v_add_u32_e32 v1, v12, v1
	s_mov_b64 s[42:43], 0
	s_andn2_b64 exec, exec, s[40:41]
	s_cbranch_execz .LBB4_13461
.LBB4_13387:                            ;   Parent Loop BB4_47 Depth=1
                                        ;     Parent Loop BB4_13208 Depth=2
                                        ; =>    This Loop Header: Depth=3
                                        ;         Child Loop BB4_13393 Depth 4
                                        ;         Child Loop BB4_13421 Depth 4
	;; [unrolled: 1-line block ×3, first 2 shown]
	v_sub_u32_e32 v2, v0, v1
	v_min_i32_e32 v12, v12, v2
	v_and_b32_e32 v2, 12, v19
	v_cmp_ne_u32_e32 vcc, 0, v2
	s_and_saveexec_b64 s[90:91], vcc
	s_cbranch_execz .LBB4_13413
; %bb.13388:                            ;   in Loop: Header=BB4_13387 Depth=3
	buffer_load_dword v6, off, s[0:3], s33 offset:56 ; 4-byte Folded Reload
	buffer_load_dword v7, off, s[0:3], s33 offset:60 ; 4-byte Folded Reload
	;; [unrolled: 1-line block ×4, first 2 shown]
	v_and_b32_e32 v2, 8, v19
	s_waitcnt vmcnt(0)
	v_add_co_u32_e32 v6, vcc, v6, v2
	v_addc_co_u32_e32 v7, vcc, 0, v7, vcc
	v_add_co_u32_e32 v8, vcc, 2, v8
	v_addc_co_u32_e32 v9, vcc, 0, v9, vcc
	v_cmp_lt_u64_e32 vcc, v[6:7], v[8:9]
	s_and_saveexec_b64 s[92:93], vcc
	s_cbranch_execz .LBB4_13400
; %bb.13389:                            ;   in Loop: Header=BB4_13387 Depth=3
	v_and_b32_e32 v4, 64, v19
	s_mov_b32 s45, 0
	v_cmp_eq_u32_e32 vcc, 0, v4
	s_mov_b64 s[94:95], 0
                                        ; implicit-def: $sgpr30_sgpr31
                                        ; implicit-def: $sgpr34_sgpr35
                                        ; implicit-def: $sgpr36_sgpr37
	s_branch .LBB4_13393
.LBB4_13390:                            ;   in Loop: Header=BB4_13393 Depth=4
	buffer_load_dword v6, off, s[0:3], s33 offset:56 ; 4-byte Folded Reload
	buffer_load_dword v7, off, s[0:3], s33 offset:60 ; 4-byte Folded Reload
	s_or_b64 s[50:51], s[50:51], exec
	s_waitcnt vmcnt(1)
	v_add_co_u32_e64 v6, s[26:27], v6, v2
	s_waitcnt vmcnt(0)
	v_addc_co_u32_e64 v7, s[26:27], 0, v7, s[26:27]
	v_cmp_ge_u64_e64 s[26:27], v[6:7], v[8:9]
	s_orn2_b64 s[48:49], s[26:27], exec
.LBB4_13391:                            ;   in Loop: Header=BB4_13393 Depth=4
	s_or_b64 exec, exec, s[54:55]
	s_andn2_b64 s[26:27], s[36:37], exec
	s_and_b64 s[36:37], s[50:51], exec
	s_or_b64 s[36:37], s[26:27], s[36:37]
	s_andn2_b64 s[26:27], s[34:35], exec
	s_and_b64 s[34:35], s[48:49], exec
	s_or_b64 s[34:35], s[26:27], s[34:35]
.LBB4_13392:                            ;   in Loop: Header=BB4_13393 Depth=4
	s_or_b64 exec, exec, s[38:39]
	s_and_b64 s[26:27], exec, s[34:35]
	s_or_b64 s[94:95], s[26:27], s[94:95]
	s_andn2_b64 s[26:27], s[30:31], exec
	s_and_b64 s[30:31], s[36:37], exec
	s_or_b64 s[30:31], s[26:27], s[30:31]
	s_andn2_b64 exec, exec, s[94:95]
	s_cbranch_execz .LBB4_13397
.LBB4_13393:                            ;   Parent Loop BB4_47 Depth=1
                                        ;     Parent Loop BB4_13208 Depth=2
                                        ;       Parent Loop BB4_13387 Depth=3
                                        ; =>      This Inner Loop Header: Depth=4
	s_sleep 1
	buffer_load_dword v6, off, s[0:3], s33 offset:64 ; 4-byte Folded Reload
	buffer_load_dword v7, off, s[0:3], s33 offset:68 ; 4-byte Folded Reload
	s_or_b64 s[36:37], s[36:37], exec
	s_or_b64 s[34:35], s[34:35], exec
                                        ; implicit-def: $vgpr4
	s_waitcnt vmcnt(0)
	flat_load_dwordx2 v[6:7], v[6:7] glc
	s_waitcnt vmcnt(0) lgkmcnt(0)
	buffer_store_dword v6, off, s[0:3], s33 offset:56 ; 4-byte Folded Spill
	s_nop 0
	buffer_store_dword v7, off, s[0:3], s33 offset:60 ; 4-byte Folded Spill
	s_and_saveexec_b64 s[38:39], vcc
	s_cbranch_execz .LBB4_13392
; %bb.13394:                            ;   in Loop: Header=BB4_13393 Depth=4
	s_cmpk_lt_i32 s45, 0x270f
	s_cselect_b64 s[52:53], -1, 0
	s_cmpk_gt_i32 s45, 0x270e
	s_mov_b64 s[48:49], -1
	s_cbranch_scc0 .LBB4_13396
; %bb.13395:                            ;   in Loop: Header=BB4_13393 Depth=4
	s_trap 2
	ds_read_b64 v[6:7], v0
	s_andn2_b64 s[52:53], s[52:53], exec
	s_mov_b32 s45, 0
	s_mov_b64 s[50:51], 0
	s_waitcnt vmcnt(0) lgkmcnt(0)
	flat_load_dword v4, v[6:7] glc
	s_waitcnt vmcnt(0) lgkmcnt(0)
	buffer_wbinvl1_vol
	v_cmp_eq_u32_e64 s[26:27], 0, v4
	s_and_b64 s[26:27], s[26:27], exec
	s_or_b64 s[52:53], s[52:53], s[26:27]
	s_and_saveexec_b64 s[54:55], s[52:53]
	s_cbranch_execz .LBB4_13391
	s_branch .LBB4_13390
.LBB4_13396:                            ;   in Loop: Header=BB4_13393 Depth=4
	s_add_i32 s45, s45, 1
	s_mov_b64 s[50:51], -1
                                        ; implicit-def: $vgpr4
	s_and_saveexec_b64 s[54:55], s[52:53]
	s_cbranch_execz .LBB4_13391
	s_branch .LBB4_13390
.LBB4_13397:                            ;   in Loop: Header=BB4_13387 Depth=3
	s_or_b64 exec, exec, s[94:95]
	s_xor_b64 s[26:27], s[30:31], -1
	s_and_saveexec_b64 s[94:95], s[26:27]
	s_xor_b64 s[26:27], exec, s[94:95]
	s_cbranch_execz .LBB4_13399
; %bb.13398:                            ;   in Loop: Header=BB4_13387 Depth=3
	v_or_b32_e32 v19, 64, v19
	ds_write_b32 v0, v4
	s_trap 2
.LBB4_13399:                            ;   in Loop: Header=BB4_13387 Depth=3
	s_or_b64 exec, exec, s[26:27]
.LBB4_13400:                            ;   in Loop: Header=BB4_13387 Depth=3
	s_or_b64 exec, exec, s[92:93]
	v_and_b32_e32 v4, 0x108, v19
	v_cmp_ne_u32_e32 vcc, s81, v4
	;;#ASMSTART
	s_wakeup
	;;#ASMEND
                                        ; implicit-def: $vgpr10_vgpr11
	s_and_saveexec_b64 s[26:27], vcc
	s_xor_b64 s[26:27], exec, s[26:27]
	s_cbranch_execz .LBB4_13402
; %bb.13401:                            ;   in Loop: Header=BB4_13387 Depth=3
	buffer_load_dword v6, off, s[0:3], s33 offset:80 ; 4-byte Folded Reload
	buffer_load_dword v7, off, s[0:3], s33 offset:84 ; 4-byte Folded Reload
	v_mov_b32_e32 v11, v3
	s_waitcnt vmcnt(0)
	v_and_b32_e32 v10, 7, v6
                                        ; implicit-def: $vgpr6_vgpr7
                                        ; kill: killed $vgpr6_vgpr7
.LBB4_13402:                            ;   in Loop: Header=BB4_13387 Depth=3
	s_andn2_saveexec_b64 s[26:27], s[26:27]
	s_cbranch_execz .LBB4_13404
; %bb.13403:                            ;   in Loop: Header=BB4_13387 Depth=3
	buffer_load_dword v6, off, s[0:3], s33 offset:80 ; 4-byte Folded Reload
	buffer_load_dword v7, off, s[0:3], s33 offset:84 ; 4-byte Folded Reload
	;; [unrolled: 1-line block ×6, first 2 shown]
	v_mov_b32_e32 v11, v3
	s_waitcnt vmcnt(0)
	v_and_b32_e32 v10, 7, v6
	v_mad_u64_u32 v[6:7], s[92:93], v10, 24, v[13:14]
	v_ashrrev_i32_e32 v13, 31, v12
	flat_store_dwordx2 v[6:7], v[12:13] offset:8
.LBB4_13404:                            ;   in Loop: Header=BB4_13387 Depth=3
	s_or_b64 exec, exec, s[26:27]
	v_and_b32_e32 v4, 0x100, v19
	v_cmp_ne_u32_e32 vcc, 0, v4
	s_mov_b64 s[26:27], -1
                                        ; implicit-def: $vgpr13_vgpr14
	s_and_saveexec_b64 s[92:93], vcc
	s_cbranch_execz .LBB4_13408
; %bb.13405:                            ;   in Loop: Header=BB4_13387 Depth=3
	buffer_load_dword v13, off, s[0:3], s33 offset:120 ; 4-byte Folded Reload
	buffer_load_dword v14, off, s[0:3], s33 offset:124 ; 4-byte Folded Reload
	;; [unrolled: 1-line block ×4, first 2 shown]
	s_waitcnt vmcnt(0)
	v_mad_u64_u32 v[48:49], s[26:27], v10, 24, v[13:14]
                                        ; implicit-def: $vgpr13_vgpr14
	v_mov_b32_e32 v4, v49
	v_mad_u64_u32 v[6:7], s[26:27], v11, 24, v[4:5]
	v_mov_b32_e32 v49, v6
	flat_load_dword v4, v[48:49]
	s_waitcnt vmcnt(0) lgkmcnt(0)
	v_cmp_ne_u32_e32 vcc, 1, v4
	v_cmp_eq_u32_e64 s[26:27], 1, v4
	s_and_saveexec_b64 s[94:95], s[26:27]
	s_cbranch_execz .LBB4_13407
; %bb.13406:                            ;   in Loop: Header=BB4_13387 Depth=3
	flat_load_dword v13, v[48:49] offset:4 glc
	s_waitcnt vmcnt(0) lgkmcnt(0)
	v_ashrrev_i32_e32 v14, 31, v13
.LBB4_13407:                            ;   in Loop: Header=BB4_13387 Depth=3
	s_or_b64 exec, exec, s[94:95]
	s_orn2_b64 s[26:27], vcc, exec
.LBB4_13408:                            ;   in Loop: Header=BB4_13387 Depth=3
	s_or_b64 exec, exec, s[92:93]
	s_and_saveexec_b64 s[92:93], s[26:27]
	s_cbranch_execz .LBB4_13410
; %bb.13409:                            ;   in Loop: Header=BB4_13387 Depth=3
	buffer_load_dword v7, off, s[0:3], s33 offset:152 ; 4-byte Folded Reload
	buffer_load_dword v6, off, s[0:3], s33 offset:172 ; 4-byte Folded Reload
	s_waitcnt vmcnt(0)
	v_mul_lo_u32 v4, v11, v7
	v_mul_lo_u32 v6, v10, v6
	v_mad_u64_u32 v[13:14], s[26:27], v10, v7, 0
	v_add3_u32 v14, v14, v6, v4
.LBB4_13410:                            ;   in Loop: Header=BB4_13387 Depth=3
	s_or_b64 exec, exec, s[92:93]
	buffer_load_dword v6, off, s[0:3], s33 offset:112 ; 4-byte Folded Reload
	buffer_load_dword v7, off, s[0:3], s33 offset:116 ; 4-byte Folded Reload
	v_cmp_eq_u32_e32 vcc, 0, v2
	v_mov_b32_e32 v2, 0xd0
	v_mov_b32_e32 v4, 0x88
	v_cndmask_b32_e32 v2, v2, v4, vcc
	v_add_u32_e32 v2, v0, v2
	s_waitcnt vmcnt(0)
	v_add_co_u32_e32 v6, vcc, v6, v13
	v_addc_co_u32_e32 v7, vcc, v7, v14, vcc
	ds_write_b64 v2, v[6:7] offset:584
	v_and_b32_e32 v2, 0x2000, v19
	v_cmp_ne_u32_e32 vcc, 0, v2
	s_and_saveexec_b64 s[26:27], vcc
	s_cbranch_execz .LBB4_13412
; %bb.13411:                            ;   in Loop: Header=BB4_13387 Depth=3
	ds_read_b64 v[6:7], v0 offset:872
	s_waitcnt lgkmcnt(0)
	v_add_co_u32_e32 v6, vcc, 1, v6
	v_addc_co_u32_e32 v7, vcc, 0, v7, vcc
	ds_write_b64 v0, v[6:7] offset:872
.LBB4_13412:                            ;   in Loop: Header=BB4_13387 Depth=3
	s_or_b64 exec, exec, s[26:27]
	buffer_store_dword v8, off, s[0:3], s33 offset:80 ; 4-byte Folded Spill
	s_nop 0
	buffer_store_dword v9, off, s[0:3], s33 offset:84 ; 4-byte Folded Spill
.LBB4_13413:                            ;   in Loop: Header=BB4_13387 Depth=3
	s_or_b64 exec, exec, s[90:91]
	s_xor_b64 s[26:27], s[42:43], -1
	s_and_b64 s[26:27], exec, s[26:27]
	s_or_b64 s[40:41], s[26:27], s[40:41]
	s_and_saveexec_b64 s[26:27], s[10:11]
	s_cbranch_execz .LBB4_13432
; %bb.13414:                            ;   in Loop: Header=BB4_13387 Depth=3
	s_and_saveexec_b64 s[42:43], s[58:59]
	s_xor_b64 s[42:43], exec, s[42:43]
	s_cbranch_execz .LBB4_13429
; %bb.13415:                            ;   in Loop: Header=BB4_13387 Depth=3
	s_and_saveexec_b64 s[90:91], s[16:17]
	s_cbranch_execz .LBB4_13428
; %bb.13416:                            ;   in Loop: Header=BB4_13387 Depth=3
	s_mov_b64 s[94:95], exec
	v_mbcnt_lo_u32_b32 v2, s94, 0
	v_mbcnt_hi_u32_b32 v2, s95, v2
	v_cmp_eq_u32_e32 vcc, 0, v2
	s_waitcnt vmcnt(0) lgkmcnt(0)
	buffer_wbinvl1_vol
	s_and_saveexec_b64 s[92:93], vcc
	s_cbranch_execz .LBB4_13418
; %bb.13417:                            ;   in Loop: Header=BB4_13387 Depth=3
	s_bcnt1_i32_b64 s45, s[94:95]
	v_mov_b32_e32 v6, s45
	v_mov_b32_e32 v7, v3
	ds_add_u64 v0, v[6:7]
	s_trap 2
.LBB4_13418:                            ;   in Loop: Header=BB4_13387 Depth=3
	s_or_b64 exec, exec, s[92:93]
	s_trap 2
	ds_read_b64 v[6:7], v0
	s_waitcnt lgkmcnt(0)
	buffer_load_dword v8, off, s[0:3], s33 offset:72 ; 4-byte Folded Reload
	buffer_load_dword v9, off, s[0:3], s33 offset:76 ; 4-byte Folded Reload
	;; [unrolled: 1-line block ×3, first 2 shown]
	s_waitcnt vmcnt(0)
	v_add_co_u32_e32 v8, vcc, v8, v2
	v_addc_co_u32_e32 v9, vcc, 0, v9, vcc
	buffer_store_dword v8, off, s[0:3], s33 offset:72 ; 4-byte Folded Spill
	s_nop 0
	buffer_store_dword v9, off, s[0:3], s33 offset:76 ; 4-byte Folded Spill
	v_cmp_lt_u64_e32 vcc, v[6:7], v[8:9]
	s_and_saveexec_b64 s[92:93], vcc
	s_cbranch_execz .LBB4_13427
; %bb.13419:                            ;   in Loop: Header=BB4_13387 Depth=3
	s_mov_b32 s45, 0
	s_mov_b64 s[94:95], 0
                                        ; implicit-def: $sgpr30_sgpr31
                                        ; implicit-def: $sgpr34_sgpr35
	s_branch .LBB4_13421
.LBB4_13420:                            ;   in Loop: Header=BB4_13421 Depth=4
	s_or_b64 exec, exec, s[38:39]
	s_and_b64 vcc, exec, vcc
	s_or_b64 s[94:95], vcc, s[94:95]
	s_andn2_b64 vcc, s[30:31], exec
	s_and_b64 s[30:31], s[34:35], exec
	s_or_b64 s[30:31], vcc, s[30:31]
	s_andn2_b64 exec, exec, s[94:95]
	s_cbranch_execz .LBB4_13425
.LBB4_13421:                            ;   Parent Loop BB4_47 Depth=1
                                        ;     Parent Loop BB4_13208 Depth=2
                                        ;       Parent Loop BB4_13387 Depth=3
                                        ; =>      This Inner Loop Header: Depth=4
	s_add_i32 s45, s45, 1
	s_cmpk_lg_i32 s45, 0x2710
	s_cselect_b64 s[36:37], -1, 0
	s_and_b64 vcc, exec, s[36:37]
	s_cbranch_vccz .LBB4_13423
; %bb.13422:                            ;   in Loop: Header=BB4_13421 Depth=4
	s_mov_b64 vcc, -1
	s_or_b64 s[34:35], s[34:35], exec
	s_and_saveexec_b64 s[38:39], s[36:37]
	s_cbranch_execz .LBB4_13420
	s_branch .LBB4_13424
.LBB4_13423:                            ;   in Loop: Header=BB4_13421 Depth=4
	s_trap 2
	ds_read_b64 v[6:7], v0
	s_andn2_b64 s[36:37], s[36:37], exec
	s_mov_b32 s45, 0
	s_waitcnt vmcnt(0) lgkmcnt(0)
	flat_load_dword v2, v[6:7] glc
	s_waitcnt vmcnt(0) lgkmcnt(0)
	buffer_wbinvl1_vol
	v_cmp_eq_u32_e32 vcc, 0, v2
	s_and_b64 vcc, vcc, exec
	s_or_b64 s[36:37], s[36:37], vcc
	s_mov_b64 vcc, -1
	s_or_b64 s[34:35], s[34:35], exec
	s_and_saveexec_b64 s[38:39], s[36:37]
	s_cbranch_execz .LBB4_13420
.LBB4_13424:                            ;   in Loop: Header=BB4_13421 Depth=4
	s_sleep 1
	s_trap 2
	ds_read_b64 v[6:7], v0
	s_waitcnt lgkmcnt(0)
	buffer_load_dword v8, off, s[0:3], s33 offset:72 ; 4-byte Folded Reload
	buffer_load_dword v9, off, s[0:3], s33 offset:76 ; 4-byte Folded Reload
	s_andn2_b64 s[34:35], s[34:35], exec
	s_waitcnt vmcnt(0)
	v_cmp_ge_u64_e32 vcc, v[6:7], v[8:9]
	s_orn2_b64 vcc, vcc, exec
	s_branch .LBB4_13420
.LBB4_13425:                            ;   in Loop: Header=BB4_13387 Depth=3
	s_or_b64 exec, exec, s[94:95]
	s_and_saveexec_b64 s[94:95], s[30:31]
	s_xor_b64 s[94:95], exec, s[94:95]
	s_cbranch_execz .LBB4_13427
; %bb.13426:                            ;   in Loop: Header=BB4_13387 Depth=3
	v_mov_b32_e32 v2, 1
	ds_write_b32 v0, v2
	s_trap 2
.LBB4_13427:                            ;   in Loop: Header=BB4_13387 Depth=3
	s_or_b64 exec, exec, s[92:93]
	;;#ASMSTART
	s_wakeup
	;;#ASMEND
.LBB4_13428:                            ;   in Loop: Header=BB4_13387 Depth=3
	s_or_b64 exec, exec, s[90:91]
.LBB4_13429:                            ;   in Loop: Header=BB4_13387 Depth=3
	s_andn2_saveexec_b64 s[42:43], s[42:43]
	s_cbranch_execz .LBB4_13431
; %bb.13430:                            ;   in Loop: Header=BB4_13387 Depth=3
	s_waitcnt vmcnt(0) lgkmcnt(0)
	buffer_wbinvl1_vol
	s_barrier
.LBB4_13431:                            ;   in Loop: Header=BB4_13387 Depth=3
	s_or_b64 exec, exec, s[42:43]
.LBB4_13432:                            ;   in Loop: Header=BB4_13387 Depth=3
	s_or_b64 exec, exec, s[26:27]
                                        ; implicit-def: $vgpr2
	s_and_saveexec_b64 s[26:27], s[24:25]
	s_xor_b64 s[26:27], exec, s[26:27]
	s_cbranch_execz .LBB4_13436
; %bb.13433:                            ;   in Loop: Header=BB4_13387 Depth=3
	s_trap 2
	ds_read_b32 v2, v0
	v_cmp_lt_i32_e32 vcc, 0, v12
	v_and_b32_e32 v4, 16, v19
	s_waitcnt lgkmcnt(0)
	v_readfirstlane_b32 s42, v2
	s_cmp_eq_u32 s42, 0
	s_cselect_b64 s[42:43], -1, 0
	s_and_b64 s[42:43], vcc, s[42:43]
	v_cmp_ne_u32_e32 vcc, 0, v4
	v_and_b32_e32 v2, 16, v19
	s_and_b64 s[90:91], vcc, s[42:43]
	s_and_saveexec_b64 s[42:43], s[90:91]
	s_cbranch_execz .LBB4_13435
; %bb.13434:                            ;   in Loop: Header=BB4_13387 Depth=3
	v_mov_b32_e32 v2, 1
	s_waitcnt vmcnt(0)
	buffer_wbinvl1_vol
.LBB4_13435:                            ;   in Loop: Header=BB4_13387 Depth=3
	s_or_b64 exec, exec, s[42:43]
	s_andn2_saveexec_b64 s[26:27], s[26:27]
	s_cbranch_execz .LBB4_13455
	s_branch .LBB4_13437
.LBB4_13436:                            ;   in Loop: Header=BB4_13387 Depth=3
	s_andn2_saveexec_b64 s[26:27], s[26:27]
	s_cbranch_execz .LBB4_13455
.LBB4_13437:                            ;   in Loop: Header=BB4_13387 Depth=3
	s_and_saveexec_b64 s[42:43], s[58:59]
	s_xor_b64 s[42:43], exec, s[42:43]
	s_cbranch_execz .LBB4_13452
; %bb.13438:                            ;   in Loop: Header=BB4_13387 Depth=3
	s_and_saveexec_b64 s[90:91], s[16:17]
	s_cbranch_execz .LBB4_13451
; %bb.13439:                            ;   in Loop: Header=BB4_13387 Depth=3
	s_mov_b64 s[94:95], exec
	v_mbcnt_lo_u32_b32 v2, s94, 0
	v_mbcnt_hi_u32_b32 v2, s95, v2
	v_cmp_eq_u32_e32 vcc, 0, v2
	;;#ASMSTART
	s_waitcnt lgkmcnt(0) vmcnt(0)
	;;#ASMEND
	s_and_saveexec_b64 s[92:93], vcc
	s_cbranch_execz .LBB4_13441
; %bb.13440:                            ;   in Loop: Header=BB4_13387 Depth=3
	s_bcnt1_i32_b64 s45, s[94:95]
	v_mov_b32_e32 v6, s45
	v_mov_b32_e32 v7, v3
	s_waitcnt lgkmcnt(0)
	ds_add_u64 v0, v[6:7]
	s_trap 2
.LBB4_13441:                            ;   in Loop: Header=BB4_13387 Depth=3
	s_or_b64 exec, exec, s[92:93]
	s_trap 2
	ds_read_b64 v[6:7], v0
	s_waitcnt lgkmcnt(0)
	buffer_load_dword v8, off, s[0:3], s33 offset:72 ; 4-byte Folded Reload
	buffer_load_dword v9, off, s[0:3], s33 offset:76 ; 4-byte Folded Reload
	buffer_load_dword v2, off, s[0:3], s33 offset:88 ; 4-byte Folded Reload
	s_waitcnt vmcnt(0)
	v_add_co_u32_e32 v8, vcc, v8, v2
	v_addc_co_u32_e32 v9, vcc, 0, v9, vcc
	buffer_store_dword v8, off, s[0:3], s33 offset:72 ; 4-byte Folded Spill
	s_nop 0
	buffer_store_dword v9, off, s[0:3], s33 offset:76 ; 4-byte Folded Spill
	v_cmp_lt_u64_e32 vcc, v[6:7], v[8:9]
	s_and_saveexec_b64 s[92:93], vcc
	s_cbranch_execz .LBB4_13450
; %bb.13442:                            ;   in Loop: Header=BB4_13387 Depth=3
	s_mov_b32 s45, 0
	s_mov_b64 s[94:95], 0
                                        ; implicit-def: $sgpr30_sgpr31
                                        ; implicit-def: $sgpr34_sgpr35
	s_branch .LBB4_13444
.LBB4_13443:                            ;   in Loop: Header=BB4_13444 Depth=4
	s_or_b64 exec, exec, s[38:39]
	s_and_b64 vcc, exec, vcc
	s_or_b64 s[94:95], vcc, s[94:95]
	s_andn2_b64 vcc, s[30:31], exec
	s_and_b64 s[30:31], s[34:35], exec
	s_or_b64 s[30:31], vcc, s[30:31]
	s_andn2_b64 exec, exec, s[94:95]
	s_cbranch_execz .LBB4_13448
.LBB4_13444:                            ;   Parent Loop BB4_47 Depth=1
                                        ;     Parent Loop BB4_13208 Depth=2
                                        ;       Parent Loop BB4_13387 Depth=3
                                        ; =>      This Inner Loop Header: Depth=4
	s_add_i32 s45, s45, 1
	s_cmpk_lg_i32 s45, 0x2710
	s_cselect_b64 s[36:37], -1, 0
	s_and_b64 vcc, exec, s[36:37]
	s_cbranch_vccz .LBB4_13446
; %bb.13445:                            ;   in Loop: Header=BB4_13444 Depth=4
	s_mov_b64 vcc, -1
	s_or_b64 s[34:35], s[34:35], exec
	s_and_saveexec_b64 s[38:39], s[36:37]
	s_cbranch_execz .LBB4_13443
	s_branch .LBB4_13447
.LBB4_13446:                            ;   in Loop: Header=BB4_13444 Depth=4
	s_trap 2
	ds_read_b64 v[6:7], v0
	s_andn2_b64 s[36:37], s[36:37], exec
	s_mov_b32 s45, 0
	s_waitcnt vmcnt(0) lgkmcnt(0)
	flat_load_dword v2, v[6:7] glc
	s_waitcnt vmcnt(0) lgkmcnt(0)
	buffer_wbinvl1_vol
	v_cmp_eq_u32_e32 vcc, 0, v2
	s_and_b64 vcc, vcc, exec
	s_or_b64 s[36:37], s[36:37], vcc
	s_mov_b64 vcc, -1
	s_or_b64 s[34:35], s[34:35], exec
	s_and_saveexec_b64 s[38:39], s[36:37]
	s_cbranch_execz .LBB4_13443
.LBB4_13447:                            ;   in Loop: Header=BB4_13444 Depth=4
	s_sleep 1
	s_trap 2
	ds_read_b64 v[6:7], v0
	s_waitcnt lgkmcnt(0)
	buffer_load_dword v8, off, s[0:3], s33 offset:72 ; 4-byte Folded Reload
	buffer_load_dword v9, off, s[0:3], s33 offset:76 ; 4-byte Folded Reload
	s_andn2_b64 s[34:35], s[34:35], exec
	s_waitcnt vmcnt(0)
	v_cmp_ge_u64_e32 vcc, v[6:7], v[8:9]
	s_orn2_b64 vcc, vcc, exec
	s_branch .LBB4_13443
.LBB4_13448:                            ;   in Loop: Header=BB4_13387 Depth=3
	s_or_b64 exec, exec, s[94:95]
	s_and_saveexec_b64 s[94:95], s[30:31]
	s_xor_b64 s[94:95], exec, s[94:95]
	s_cbranch_execz .LBB4_13450
; %bb.13449:                            ;   in Loop: Header=BB4_13387 Depth=3
	v_mov_b32_e32 v2, 1
	ds_write_b32 v0, v2
	s_trap 2
.LBB4_13450:                            ;   in Loop: Header=BB4_13387 Depth=3
	s_or_b64 exec, exec, s[92:93]
	;;#ASMSTART
	s_wakeup
	;;#ASMEND
.LBB4_13451:                            ;   in Loop: Header=BB4_13387 Depth=3
	s_or_b64 exec, exec, s[90:91]
.LBB4_13452:                            ;   in Loop: Header=BB4_13387 Depth=3
	s_andn2_saveexec_b64 s[42:43], s[42:43]
	s_cbranch_execz .LBB4_13454
; %bb.13453:                            ;   in Loop: Header=BB4_13387 Depth=3
	;;#ASMSTART
	s_waitcnt lgkmcnt(0) vmcnt(0)
	;;#ASMEND
	s_waitcnt vmcnt(0) lgkmcnt(0)
	s_barrier
.LBB4_13454:                            ;   in Loop: Header=BB4_13387 Depth=3
	s_or_b64 exec, exec, s[42:43]
	v_and_b32_e32 v2, 16, v19
.LBB4_13455:                            ;   in Loop: Header=BB4_13387 Depth=3
	s_or_b64 exec, exec, s[26:27]
	v_cmp_ne_u32_e32 vcc, 0, v2
	s_xor_b64 s[26:27], s[12:13], -1
	s_and_b64 s[42:43], vcc, s[26:27]
	s_and_saveexec_b64 s[26:27], s[42:43]
	s_cbranch_execz .LBB4_13457
; %bb.13456:                            ;   in Loop: Header=BB4_13387 Depth=3
	buffer_load_dword v6, off, s[0:3], s33 offset:136 ; 4-byte Folded Reload
	buffer_load_dword v7, off, s[0:3], s33 offset:140 ; 4-byte Folded Reload
	v_mov_b32_e32 v2, 1
	s_waitcnt vmcnt(0)
	flat_store_dword v[6:7], v2
.LBB4_13457:                            ;   in Loop: Header=BB4_13387 Depth=3
	s_or_b64 exec, exec, s[26:27]
	v_and_b32_e32 v2, 48, v19
	v_cmp_ne_u32_e32 vcc, 0, v2
	s_and_saveexec_b64 s[26:27], vcc
	s_cbranch_execz .LBB4_13386
; %bb.13458:                            ;   in Loop: Header=BB4_13387 Depth=3
	buffer_load_dword v8, off, s[0:3], s33 offset:80 ; 4-byte Folded Reload
	buffer_load_dword v9, off, s[0:3], s33 offset:84 ; 4-byte Folded Reload
	;; [unrolled: 1-line block ×4, first 2 shown]
	s_waitcnt vmcnt(0)
	v_add_co_u32_e32 v8, vcc, 2, v8
	v_addc_co_u32_e32 v9, vcc, 0, v9, vcc
	buffer_store_dword v8, off, s[0:3], s33 offset:80 ; 4-byte Folded Spill
	s_nop 0
	buffer_store_dword v9, off, s[0:3], s33 offset:84 ; 4-byte Folded Spill
	flat_store_dwordx2 v[6:7], v[8:9]
	s_branch .LBB4_13386
.LBB4_13459:                            ;   in Loop: Header=BB4_13208 Depth=2
	s_or_b64 exec, exec, s[90:91]
	s_or_b64 exec, exec, s[42:43]
	v_cmp_gt_i32_e32 vcc, 2, v6
	s_and_saveexec_b64 s[28:29], vcc
	s_cbranch_execnz .LBB4_13385
.LBB4_13460:                            ;   in Loop: Header=BB4_13208 Depth=2
	s_or_b64 exec, exec, s[28:29]
	s_add_i32 s26, s44, 1
	s_cmp_eq_u32 s44, s96
	s_cbranch_scc0 .LBB4_13462
	s_branch .LBB4_13463
.LBB4_13461:                            ;   in Loop: Header=BB4_13208 Depth=2
	s_or_b64 exec, exec, s[40:41]
	s_or_b64 exec, exec, s[28:29]
	s_add_i32 s26, s44, 1
	s_cmp_eq_u32 s44, s96
	s_cbranch_scc1 .LBB4_13463
.LBB4_13462:                            ;   in Loop: Header=BB4_13208 Depth=2
	s_mov_b32 s44, s26
	s_branch .LBB4_13208
.LBB4_13463:                            ;   in Loop: Header=BB4_47 Depth=1
	buffer_load_dword v6, off, s[0:3], s33 offset:348 ; 4-byte Folded Reload
	buffer_load_dword v7, off, s[0:3], s33 offset:352 ; 4-byte Folded Reload
	s_waitcnt vmcnt(0)
	v_mul_lo_u32 v1, v6, s46
	v_mul_lo_u32 v0, v7, s97
	v_mad_u64_u32 v[8:9], s[26:27], v6, s97, 0
	v_add3_u32 v9, v9, v1, v0
	buffer_load_dword v0, off, s[0:3], s33 offset:340 ; 4-byte Folded Reload
	buffer_load_dword v1, off, s[0:3], s33 offset:344 ; 4-byte Folded Reload
	s_waitcnt vmcnt(0)
	v_sub_co_u32_e32 v0, vcc, v0, v8
	v_subb_co_u32_e32 v1, vcc, v1, v9, vcc
	v_cmp_lt_i64_e32 vcc, v[6:7], v[0:1]
	v_mov_b32_e32 v7, 0
	v_cndmask_b32_e32 v2, v0, v6, vcc
	v_max_i32_e32 v0, 0, v2
	v_add_u32_e32 v1, 31, v0
	v_lshrrev_b32_e32 v1, 1, v1
	v_and_b32_e32 v1, 0x3ffffff0, v1
	v_cmp_lt_i32_e32 vcc, 0, v2
	v_max_i32_e32 v1, s87, v1
	s_and_b64 s[26:27], s[88:89], vcc
	v_mov_b32_e32 v2, 0
	s_and_saveexec_b64 s[28:29], s[26:27]
	s_cbranch_execz .LBB4_13601
; %bb.13464:                            ;   in Loop: Header=BB4_47 Depth=1
	buffer_load_dword v2, off, s[0:3], s33 offset:196 ; 4-byte Folded Reload
	s_mov_b32 s44, 1
	s_mov_b64 s[42:43], -1
	s_mov_b64 s[40:41], 0
	s_waitcnt vmcnt(0)
	v_add_co_u32_e32 v4, vcc, v8, v2
	buffer_load_dword v2, off, s[0:3], s33 offset:200 ; 4-byte Folded Reload
	s_waitcnt vmcnt(0)
	v_addc_co_u32_e32 v6, vcc, v9, v2, vcc
	v_mov_b32_e32 v2, 0
	s_branch .LBB4_13466
.LBB4_13465:                            ;   in Loop: Header=BB4_13466 Depth=2
	s_or_b64 exec, exec, s[26:27]
	v_add_u32_e32 v2, v1, v2
	v_cmp_ge_i32_e32 vcc, v2, v0
	s_xor_b64 s[26:27], s[42:43], -1
	s_or_b64 s[26:27], s[26:27], vcc
	s_and_b64 s[26:27], exec, s[26:27]
	s_or_b64 s[40:41], s[26:27], s[40:41]
	s_mov_b64 s[42:43], 0
	v_mov_b32_e32 v7, s44
	s_mov_b32 s44, 2
	s_andn2_b64 exec, exec, s[40:41]
	s_cbranch_execz .LBB4_13600
.LBB4_13466:                            ;   Parent Loop BB4_47 Depth=1
                                        ; =>  This Loop Header: Depth=2
                                        ;       Child Loop BB4_13474 Depth 3
                                        ;       Child Loop BB4_13498 Depth 3
	;; [unrolled: 1-line block ×9, first 2 shown]
	s_and_saveexec_b64 s[26:27], s[4:5]
	s_cbranch_execz .LBB4_13468
; %bb.13467:                            ;   in Loop: Header=BB4_13466 Depth=2
	s_trap 2
	ds_read_b128 v[7:10], v0
	v_ashrrev_i32_e32 v11, 31, v2
	s_waitcnt lgkmcnt(0)
	v_add_co_u32_e32 v7, vcc, v7, v4
	v_addc_co_u32_e32 v8, vcc, v8, v6, vcc
	v_add_co_u32_e32 v7, vcc, v7, v2
	v_addc_co_u32_e32 v8, vcc, v8, v11, vcc
	ds_write_b64 v0, v[7:8]
	v_add_co_u32_e32 v7, vcc, v9, v4
	v_addc_co_u32_e32 v8, vcc, v10, v6, vcc
	v_add_co_u32_e32 v7, vcc, v7, v2
	v_addc_co_u32_e32 v8, vcc, v8, v11, vcc
	v_cmp_ne_u64_e32 vcc, 0, v[9:10]
	v_cndmask_b32_e32 v8, 0, v8, vcc
	v_cndmask_b32_e32 v7, 0, v7, vcc
	ds_write_b64 v0, v[7:8]
.LBB4_13468:                            ;   in Loop: Header=BB4_13466 Depth=2
	s_or_b64 exec, exec, s[26:27]
	v_and_b32_e32 v7, 4, v19
	v_cmp_ne_u32_e32 vcc, 0, v7
	s_and_saveexec_b64 s[90:91], vcc
	s_cbranch_execz .LBB4_13490
; %bb.13469:                            ;   in Loop: Header=BB4_13466 Depth=2
	buffer_load_dword v8, off, s[0:3], s33 offset:80 ; 4-byte Folded Reload
	buffer_load_dword v9, off, s[0:3], s33 offset:84 ; 4-byte Folded Reload
	;; [unrolled: 1-line block ×4, first 2 shown]
	s_waitcnt vmcnt(0)
	v_add_co_u32_e32 v8, vcc, 2, v8
	v_addc_co_u32_e32 v9, vcc, 0, v9, vcc
	v_cmp_lt_u64_e32 vcc, v[10:11], v[8:9]
	s_and_saveexec_b64 s[92:93], vcc
	s_cbranch_execz .LBB4_13481
; %bb.13470:                            ;   in Loop: Header=BB4_13466 Depth=2
	v_and_b32_e32 v7, 64, v19
	s_mov_b32 s45, 0
	v_cmp_eq_u32_e32 vcc, 0, v7
	s_mov_b64 s[94:95], 0
                                        ; implicit-def: $sgpr30_sgpr31
                                        ; implicit-def: $sgpr34_sgpr35
                                        ; implicit-def: $sgpr36_sgpr37
	s_branch .LBB4_13474
.LBB4_13471:                            ;   in Loop: Header=BB4_13474 Depth=3
	buffer_load_dword v10, off, s[0:3], s33 offset:56 ; 4-byte Folded Reload
	buffer_load_dword v11, off, s[0:3], s33 offset:60 ; 4-byte Folded Reload
	s_or_b64 s[50:51], s[50:51], exec
	s_waitcnt vmcnt(0)
	v_cmp_ge_u64_e64 s[26:27], v[10:11], v[8:9]
	s_orn2_b64 s[48:49], s[26:27], exec
.LBB4_13472:                            ;   in Loop: Header=BB4_13474 Depth=3
	s_or_b64 exec, exec, s[54:55]
	s_andn2_b64 s[26:27], s[36:37], exec
	s_and_b64 s[36:37], s[50:51], exec
	s_or_b64 s[36:37], s[26:27], s[36:37]
	s_andn2_b64 s[26:27], s[34:35], exec
	s_and_b64 s[34:35], s[48:49], exec
	s_or_b64 s[34:35], s[26:27], s[34:35]
.LBB4_13473:                            ;   in Loop: Header=BB4_13474 Depth=3
	s_or_b64 exec, exec, s[38:39]
	s_and_b64 s[26:27], exec, s[34:35]
	s_or_b64 s[94:95], s[26:27], s[94:95]
	s_andn2_b64 s[26:27], s[30:31], exec
	s_and_b64 s[30:31], s[36:37], exec
	s_or_b64 s[30:31], s[26:27], s[30:31]
	s_andn2_b64 exec, exec, s[94:95]
	s_cbranch_execz .LBB4_13478
.LBB4_13474:                            ;   Parent Loop BB4_47 Depth=1
                                        ;     Parent Loop BB4_13466 Depth=2
                                        ; =>    This Inner Loop Header: Depth=3
	s_sleep 1
	buffer_load_dword v10, off, s[0:3], s33 offset:64 ; 4-byte Folded Reload
	buffer_load_dword v11, off, s[0:3], s33 offset:68 ; 4-byte Folded Reload
	s_or_b64 s[36:37], s[36:37], exec
	s_or_b64 s[34:35], s[34:35], exec
                                        ; implicit-def: $vgpr7
	s_waitcnt vmcnt(0)
	flat_load_dwordx2 v[10:11], v[10:11] glc
	s_waitcnt vmcnt(0) lgkmcnt(0)
	buffer_store_dword v10, off, s[0:3], s33 offset:56 ; 4-byte Folded Spill
	s_nop 0
	buffer_store_dword v11, off, s[0:3], s33 offset:60 ; 4-byte Folded Spill
	s_and_saveexec_b64 s[38:39], vcc
	s_cbranch_execz .LBB4_13473
; %bb.13475:                            ;   in Loop: Header=BB4_13474 Depth=3
	s_cmpk_lt_i32 s45, 0x270f
	s_cselect_b64 s[52:53], -1, 0
	s_cmpk_gt_i32 s45, 0x270e
	s_mov_b64 s[48:49], -1
	s_cbranch_scc0 .LBB4_13477
; %bb.13476:                            ;   in Loop: Header=BB4_13474 Depth=3
	s_trap 2
	ds_read_b64 v[10:11], v0
	s_andn2_b64 s[52:53], s[52:53], exec
	s_mov_b32 s45, 0
	s_mov_b64 s[50:51], 0
	s_waitcnt vmcnt(0) lgkmcnt(0)
	flat_load_dword v7, v[10:11] glc
	s_waitcnt vmcnt(0) lgkmcnt(0)
	buffer_wbinvl1_vol
	v_cmp_eq_u32_e64 s[26:27], 0, v7
	s_and_b64 s[26:27], s[26:27], exec
	s_or_b64 s[52:53], s[52:53], s[26:27]
	s_and_saveexec_b64 s[54:55], s[52:53]
	s_cbranch_execz .LBB4_13472
	s_branch .LBB4_13471
.LBB4_13477:                            ;   in Loop: Header=BB4_13474 Depth=3
	s_add_i32 s45, s45, 1
	s_mov_b64 s[50:51], -1
                                        ; implicit-def: $vgpr7
	s_and_saveexec_b64 s[54:55], s[52:53]
	s_cbranch_execz .LBB4_13472
	s_branch .LBB4_13471
.LBB4_13478:                            ;   in Loop: Header=BB4_13466 Depth=2
	s_or_b64 exec, exec, s[94:95]
	s_xor_b64 s[26:27], s[30:31], -1
	s_and_saveexec_b64 s[94:95], s[26:27]
	s_xor_b64 s[26:27], exec, s[94:95]
	s_cbranch_execz .LBB4_13480
; %bb.13479:                            ;   in Loop: Header=BB4_13466 Depth=2
	v_or_b32_e32 v19, 64, v19
	ds_write_b32 v0, v7
	s_trap 2
.LBB4_13480:                            ;   in Loop: Header=BB4_13466 Depth=2
	s_or_b64 exec, exec, s[26:27]
.LBB4_13481:                            ;   in Loop: Header=BB4_13466 Depth=2
	s_or_b64 exec, exec, s[92:93]
	;;#ASMSTART
	s_wakeup
	;;#ASMEND
	buffer_load_dword v10, off, s[0:3], s33 offset:80 ; 4-byte Folded Reload
	buffer_load_dword v11, off, s[0:3], s33 offset:84 ; 4-byte Folded Reload
	v_and_b32_e32 v7, 0x100, v19
	v_cmp_ne_u32_e32 vcc, 0, v7
	s_mov_b64 s[26:27], -1
	s_waitcnt vmcnt(0)
	v_and_b32_e32 v7, 7, v10
                                        ; implicit-def: $vgpr10_vgpr11
	s_and_saveexec_b64 s[92:93], vcc
	s_cbranch_execz .LBB4_13485
; %bb.13482:                            ;   in Loop: Header=BB4_13466 Depth=2
	buffer_load_dword v10, off, s[0:3], s33 offset:120 ; 4-byte Folded Reload
	buffer_load_dword v11, off, s[0:3], s33 offset:124 ; 4-byte Folded Reload
	;; [unrolled: 1-line block ×4, first 2 shown]
	s_waitcnt vmcnt(0)
	v_mad_u64_u32 v[12:13], s[26:27], v7, 24, v[10:11]
	flat_load_dword v10, v[12:13]
	s_waitcnt vmcnt(0) lgkmcnt(0)
	v_cmp_ne_u32_e32 vcc, 1, v10
	v_cmp_eq_u32_e64 s[26:27], 1, v10
                                        ; implicit-def: $vgpr10_vgpr11
	s_and_saveexec_b64 s[94:95], s[26:27]
	s_cbranch_execz .LBB4_13484
; %bb.13483:                            ;   in Loop: Header=BB4_13466 Depth=2
	flat_load_dword v10, v[12:13] offset:4 glc
	s_waitcnt vmcnt(0) lgkmcnt(0)
	v_ashrrev_i32_e32 v11, 31, v10
.LBB4_13484:                            ;   in Loop: Header=BB4_13466 Depth=2
	s_or_b64 exec, exec, s[94:95]
	s_orn2_b64 s[26:27], vcc, exec
.LBB4_13485:                            ;   in Loop: Header=BB4_13466 Depth=2
	s_or_b64 exec, exec, s[92:93]
	s_and_saveexec_b64 s[92:93], s[26:27]
	s_cbranch_execz .LBB4_13487
; %bb.13486:                            ;   in Loop: Header=BB4_13466 Depth=2
	buffer_load_dword v10, off, s[0:3], s33 offset:152 ; 4-byte Folded Reload
	s_waitcnt vmcnt(0)
	v_mad_i64_i32 v[10:11], s[26:27], v7, v10, 0
.LBB4_13487:                            ;   in Loop: Header=BB4_13466 Depth=2
	s_or_b64 exec, exec, s[92:93]
	buffer_load_dword v12, off, s[0:3], s33 offset:112 ; 4-byte Folded Reload
	buffer_load_dword v13, off, s[0:3], s33 offset:116 ; 4-byte Folded Reload
	v_and_b32_e32 v7, 0x2000, v19
	s_waitcnt vmcnt(0)
	v_add_co_u32_e32 v10, vcc, v12, v10
	v_addc_co_u32_e32 v11, vcc, v13, v11, vcc
	v_cmp_ne_u32_e32 vcc, 0, v7
	ds_write_b64 v0, v[10:11] offset:720
	s_and_saveexec_b64 s[26:27], vcc
	s_cbranch_execz .LBB4_13489
; %bb.13488:                            ;   in Loop: Header=BB4_13466 Depth=2
	ds_read_b64 v[10:11], v0 offset:872
	s_waitcnt lgkmcnt(0)
	v_add_co_u32_e32 v10, vcc, 1, v10
	v_addc_co_u32_e32 v11, vcc, 0, v11, vcc
	ds_write_b64 v0, v[10:11] offset:872
.LBB4_13489:                            ;   in Loop: Header=BB4_13466 Depth=2
	s_or_b64 exec, exec, s[26:27]
	buffer_store_dword v8, off, s[0:3], s33 offset:80 ; 4-byte Folded Spill
	s_nop 0
	buffer_store_dword v9, off, s[0:3], s33 offset:84 ; 4-byte Folded Spill
.LBB4_13490:                            ;   in Loop: Header=BB4_13466 Depth=2
	s_or_b64 exec, exec, s[90:91]
	s_and_saveexec_b64 s[26:27], s[10:11]
	s_cbranch_execz .LBB4_13509
; %bb.13491:                            ;   in Loop: Header=BB4_13466 Depth=2
	s_and_saveexec_b64 s[90:91], s[58:59]
	s_xor_b64 s[90:91], exec, s[90:91]
	s_cbranch_execz .LBB4_13506
; %bb.13492:                            ;   in Loop: Header=BB4_13466 Depth=2
	s_and_saveexec_b64 s[92:93], s[16:17]
	s_cbranch_execz .LBB4_13505
; %bb.13493:                            ;   in Loop: Header=BB4_13466 Depth=2
	s_mov_b64 s[30:31], exec
	v_mbcnt_lo_u32_b32 v7, s30, 0
	v_mbcnt_hi_u32_b32 v7, s31, v7
	v_cmp_eq_u32_e32 vcc, 0, v7
	s_waitcnt vmcnt(0) lgkmcnt(0)
	buffer_wbinvl1_vol
	s_and_saveexec_b64 s[94:95], vcc
	s_cbranch_execz .LBB4_13495
; %bb.13494:                            ;   in Loop: Header=BB4_13466 Depth=2
	s_bcnt1_i32_b64 s45, s[30:31]
	v_mov_b32_e32 v7, s45
	v_mov_b32_e32 v8, v3
	ds_add_u64 v0, v[7:8]
	s_trap 2
.LBB4_13495:                            ;   in Loop: Header=BB4_13466 Depth=2
	s_or_b64 exec, exec, s[94:95]
	s_trap 2
	ds_read_b64 v[7:8], v0
	s_waitcnt lgkmcnt(0)
	buffer_load_dword v9, off, s[0:3], s33 offset:72 ; 4-byte Folded Reload
	buffer_load_dword v10, off, s[0:3], s33 offset:76 ; 4-byte Folded Reload
	;; [unrolled: 1-line block ×3, first 2 shown]
	s_waitcnt vmcnt(0)
	v_add_co_u32_e32 v9, vcc, v9, v11
	v_addc_co_u32_e32 v10, vcc, 0, v10, vcc
	buffer_store_dword v9, off, s[0:3], s33 offset:72 ; 4-byte Folded Spill
	s_nop 0
	buffer_store_dword v10, off, s[0:3], s33 offset:76 ; 4-byte Folded Spill
	v_cmp_lt_u64_e32 vcc, v[7:8], v[9:10]
	s_and_saveexec_b64 s[94:95], vcc
	s_cbranch_execz .LBB4_13504
; %bb.13496:                            ;   in Loop: Header=BB4_13466 Depth=2
	s_mov_b32 s45, 0
	s_mov_b64 s[30:31], 0
                                        ; implicit-def: $sgpr34_sgpr35
                                        ; implicit-def: $sgpr36_sgpr37
	s_branch .LBB4_13498
.LBB4_13497:                            ;   in Loop: Header=BB4_13498 Depth=3
	s_or_b64 exec, exec, s[48:49]
	s_and_b64 vcc, exec, vcc
	s_or_b64 s[30:31], vcc, s[30:31]
	s_andn2_b64 vcc, s[34:35], exec
	s_and_b64 s[34:35], s[36:37], exec
	s_or_b64 s[34:35], vcc, s[34:35]
	s_andn2_b64 exec, exec, s[30:31]
	s_cbranch_execz .LBB4_13502
.LBB4_13498:                            ;   Parent Loop BB4_47 Depth=1
                                        ;     Parent Loop BB4_13466 Depth=2
                                        ; =>    This Inner Loop Header: Depth=3
	s_add_i32 s45, s45, 1
	s_cmpk_lg_i32 s45, 0x2710
	s_cselect_b64 s[38:39], -1, 0
	s_and_b64 vcc, exec, s[38:39]
	s_cbranch_vccz .LBB4_13500
; %bb.13499:                            ;   in Loop: Header=BB4_13498 Depth=3
	s_mov_b64 vcc, -1
	s_or_b64 s[36:37], s[36:37], exec
	s_and_saveexec_b64 s[48:49], s[38:39]
	s_cbranch_execz .LBB4_13497
	s_branch .LBB4_13501
.LBB4_13500:                            ;   in Loop: Header=BB4_13498 Depth=3
	s_trap 2
	ds_read_b64 v[7:8], v0
	s_andn2_b64 s[38:39], s[38:39], exec
	s_mov_b32 s45, 0
	s_waitcnt vmcnt(0) lgkmcnt(0)
	flat_load_dword v7, v[7:8] glc
	s_waitcnt vmcnt(0) lgkmcnt(0)
	buffer_wbinvl1_vol
	v_cmp_eq_u32_e32 vcc, 0, v7
	s_and_b64 vcc, vcc, exec
	s_or_b64 s[38:39], s[38:39], vcc
	s_mov_b64 vcc, -1
	s_or_b64 s[36:37], s[36:37], exec
	s_and_saveexec_b64 s[48:49], s[38:39]
	s_cbranch_execz .LBB4_13497
.LBB4_13501:                            ;   in Loop: Header=BB4_13498 Depth=3
	s_sleep 1
	s_trap 2
	ds_read_b64 v[7:8], v0
	s_waitcnt lgkmcnt(0)
	buffer_load_dword v9, off, s[0:3], s33 offset:72 ; 4-byte Folded Reload
	buffer_load_dword v10, off, s[0:3], s33 offset:76 ; 4-byte Folded Reload
	s_andn2_b64 s[36:37], s[36:37], exec
	s_waitcnt vmcnt(0)
	v_cmp_ge_u64_e32 vcc, v[7:8], v[9:10]
	s_orn2_b64 vcc, vcc, exec
	s_branch .LBB4_13497
.LBB4_13502:                            ;   in Loop: Header=BB4_13466 Depth=2
	s_or_b64 exec, exec, s[30:31]
	s_and_saveexec_b64 vcc, s[34:35]
	s_xor_b64 vcc, exec, vcc
	s_cbranch_execz .LBB4_13504
; %bb.13503:                            ;   in Loop: Header=BB4_13466 Depth=2
	v_mov_b32_e32 v7, 1
	ds_write_b32 v0, v7
	s_trap 2
.LBB4_13504:                            ;   in Loop: Header=BB4_13466 Depth=2
	s_or_b64 exec, exec, s[94:95]
	;;#ASMSTART
	s_wakeup
	;;#ASMEND
.LBB4_13505:                            ;   in Loop: Header=BB4_13466 Depth=2
	s_or_b64 exec, exec, s[92:93]
.LBB4_13506:                            ;   in Loop: Header=BB4_13466 Depth=2
	s_andn2_saveexec_b64 s[90:91], s[90:91]
	s_cbranch_execz .LBB4_13508
; %bb.13507:                            ;   in Loop: Header=BB4_13466 Depth=2
	s_waitcnt vmcnt(0) lgkmcnt(0)
	buffer_wbinvl1_vol
	s_barrier
.LBB4_13508:                            ;   in Loop: Header=BB4_13466 Depth=2
	s_or_b64 exec, exec, s[90:91]
.LBB4_13509:                            ;   in Loop: Header=BB4_13466 Depth=2
	s_or_b64 exec, exec, s[26:27]
	s_trap 2
	ds_read_b32 v7, v0
	v_and_b32_e32 v8, 0x4000, v19
	v_cmp_ne_u32_e32 vcc, 0, v8
	s_xor_b64 s[26:27], s[6:7], -1
	s_and_b64 s[90:91], s[26:27], vcc
	s_and_saveexec_b64 s[26:27], s[90:91]
	s_cbranch_execz .LBB4_13528
; %bb.13510:                            ;   in Loop: Header=BB4_13466 Depth=2
	s_and_saveexec_b64 s[90:91], s[58:59]
	s_xor_b64 s[90:91], exec, s[90:91]
	s_cbranch_execz .LBB4_13525
; %bb.13511:                            ;   in Loop: Header=BB4_13466 Depth=2
	s_and_saveexec_b64 s[92:93], s[16:17]
	s_cbranch_execz .LBB4_13524
; %bb.13512:                            ;   in Loop: Header=BB4_13466 Depth=2
	s_mov_b64 s[30:31], exec
	v_mbcnt_lo_u32_b32 v8, s30, 0
	v_mbcnt_hi_u32_b32 v8, s31, v8
	v_cmp_eq_u32_e32 vcc, 0, v8
	s_waitcnt vmcnt(0) lgkmcnt(0)
	buffer_wbinvl1_vol
	s_and_saveexec_b64 s[94:95], vcc
	s_cbranch_execz .LBB4_13514
; %bb.13513:                            ;   in Loop: Header=BB4_13466 Depth=2
	s_bcnt1_i32_b64 s45, s[30:31]
	v_mov_b32_e32 v8, s45
	v_mov_b32_e32 v9, v3
	ds_add_u64 v0, v[8:9]
	s_trap 2
.LBB4_13514:                            ;   in Loop: Header=BB4_13466 Depth=2
	s_or_b64 exec, exec, s[94:95]
	s_trap 2
	ds_read_b64 v[8:9], v0
	s_waitcnt lgkmcnt(0)
	buffer_load_dword v10, off, s[0:3], s33 offset:72 ; 4-byte Folded Reload
	buffer_load_dword v11, off, s[0:3], s33 offset:76 ; 4-byte Folded Reload
	;; [unrolled: 1-line block ×3, first 2 shown]
	s_waitcnt vmcnt(0)
	v_add_co_u32_e32 v10, vcc, v10, v12
	v_addc_co_u32_e32 v11, vcc, 0, v11, vcc
	buffer_store_dword v10, off, s[0:3], s33 offset:72 ; 4-byte Folded Spill
	s_nop 0
	buffer_store_dword v11, off, s[0:3], s33 offset:76 ; 4-byte Folded Spill
	v_cmp_lt_u64_e32 vcc, v[8:9], v[10:11]
	s_and_saveexec_b64 s[94:95], vcc
	s_cbranch_execz .LBB4_13523
; %bb.13515:                            ;   in Loop: Header=BB4_13466 Depth=2
	s_mov_b32 s45, 0
	s_mov_b64 s[30:31], 0
                                        ; implicit-def: $sgpr34_sgpr35
                                        ; implicit-def: $sgpr36_sgpr37
	s_branch .LBB4_13517
.LBB4_13516:                            ;   in Loop: Header=BB4_13517 Depth=3
	s_or_b64 exec, exec, s[48:49]
	s_and_b64 vcc, exec, vcc
	s_or_b64 s[30:31], vcc, s[30:31]
	s_andn2_b64 vcc, s[34:35], exec
	s_and_b64 s[34:35], s[36:37], exec
	s_or_b64 s[34:35], vcc, s[34:35]
	s_andn2_b64 exec, exec, s[30:31]
	s_cbranch_execz .LBB4_13521
.LBB4_13517:                            ;   Parent Loop BB4_47 Depth=1
                                        ;     Parent Loop BB4_13466 Depth=2
                                        ; =>    This Inner Loop Header: Depth=3
	s_add_i32 s45, s45, 1
	s_cmpk_lg_i32 s45, 0x2710
	s_cselect_b64 s[38:39], -1, 0
	s_and_b64 vcc, exec, s[38:39]
	s_cbranch_vccz .LBB4_13519
; %bb.13518:                            ;   in Loop: Header=BB4_13517 Depth=3
	s_mov_b64 vcc, -1
	s_or_b64 s[36:37], s[36:37], exec
	s_and_saveexec_b64 s[48:49], s[38:39]
	s_cbranch_execz .LBB4_13516
	s_branch .LBB4_13520
.LBB4_13519:                            ;   in Loop: Header=BB4_13517 Depth=3
	s_trap 2
	ds_read_b64 v[8:9], v0
	s_andn2_b64 s[38:39], s[38:39], exec
	s_mov_b32 s45, 0
	s_waitcnt vmcnt(0) lgkmcnt(0)
	flat_load_dword v8, v[8:9] glc
	s_waitcnt vmcnt(0) lgkmcnt(0)
	buffer_wbinvl1_vol
	v_cmp_eq_u32_e32 vcc, 0, v8
	s_and_b64 vcc, vcc, exec
	s_or_b64 s[38:39], s[38:39], vcc
	s_mov_b64 vcc, -1
	s_or_b64 s[36:37], s[36:37], exec
	s_and_saveexec_b64 s[48:49], s[38:39]
	s_cbranch_execz .LBB4_13516
.LBB4_13520:                            ;   in Loop: Header=BB4_13517 Depth=3
	s_sleep 1
	s_trap 2
	ds_read_b64 v[8:9], v0
	s_waitcnt lgkmcnt(0)
	buffer_load_dword v10, off, s[0:3], s33 offset:72 ; 4-byte Folded Reload
	buffer_load_dword v11, off, s[0:3], s33 offset:76 ; 4-byte Folded Reload
	s_andn2_b64 s[36:37], s[36:37], exec
	s_waitcnt vmcnt(0)
	v_cmp_ge_u64_e32 vcc, v[8:9], v[10:11]
	s_orn2_b64 vcc, vcc, exec
	s_branch .LBB4_13516
.LBB4_13521:                            ;   in Loop: Header=BB4_13466 Depth=2
	s_or_b64 exec, exec, s[30:31]
	s_and_saveexec_b64 vcc, s[34:35]
	s_xor_b64 vcc, exec, vcc
	s_cbranch_execz .LBB4_13523
; %bb.13522:                            ;   in Loop: Header=BB4_13466 Depth=2
	v_mov_b32_e32 v8, 1
	ds_write_b32 v0, v8
	s_trap 2
.LBB4_13523:                            ;   in Loop: Header=BB4_13466 Depth=2
	s_or_b64 exec, exec, s[94:95]
	;;#ASMSTART
	s_wakeup
	;;#ASMEND
.LBB4_13524:                            ;   in Loop: Header=BB4_13466 Depth=2
	s_or_b64 exec, exec, s[92:93]
.LBB4_13525:                            ;   in Loop: Header=BB4_13466 Depth=2
	s_andn2_saveexec_b64 s[90:91], s[90:91]
	s_cbranch_execz .LBB4_13527
; %bb.13526:                            ;   in Loop: Header=BB4_13466 Depth=2
	s_waitcnt vmcnt(0) lgkmcnt(0)
	buffer_wbinvl1_vol
	s_barrier
.LBB4_13527:                            ;   in Loop: Header=BB4_13466 Depth=2
	s_or_b64 exec, exec, s[90:91]
.LBB4_13528:                            ;   in Loop: Header=BB4_13466 Depth=2
	s_or_b64 exec, exec, s[26:27]
	v_sub_u32_e32 v8, v0, v2
	v_min_i32_e32 v1, v1, v8
	s_trap 2
	ds_read_b64 v[8:9], v0
	s_waitcnt lgkmcnt(0)
	v_cmp_eq_u64_e32 vcc, 0, v[8:9]
	s_cbranch_vccnz .LBB4_13536
; %bb.13529:                            ;   in Loop: Header=BB4_13466 Depth=2
	s_trap 2
	ds_read_b64 v[10:11], v0
	s_waitcnt lgkmcnt(0)
	v_cmp_eq_u64_e32 vcc, 0, v[10:11]
	s_cbranch_vccnz .LBB4_13536
; %bb.13530:                            ;   in Loop: Header=BB4_13466 Depth=2
	s_mov_b64 s[26:27], -1
	s_and_saveexec_b64 s[90:91], s[20:21]
	s_cbranch_execz .LBB4_13532
; %bb.13531:                            ;   in Loop: Header=BB4_13466 Depth=2
	ds_read_b32 v12, v0 offset:720
	s_waitcnt lgkmcnt(0)
	v_and_b32_e32 v12, 15, v12
	v_cmp_eq_u32_e32 vcc, 0, v12
	s_orn2_b64 s[26:27], vcc, exec
.LBB4_13532:                            ;   in Loop: Header=BB4_13466 Depth=2
	s_or_b64 exec, exec, s[90:91]
	s_and_saveexec_b64 s[90:91], s[18:19]
	s_cbranch_execz .LBB4_13534
; %bb.13533:                            ;   in Loop: Header=BB4_13466 Depth=2
	ds_read_b32 v12, v0 offset:784
	s_waitcnt lgkmcnt(0)
	v_and_b32_e32 v12, 15, v12
	v_cmp_eq_u32_e32 vcc, 0, v12
	s_and_b64 s[92:93], s[26:27], vcc
	s_andn2_b64 s[26:27], s[26:27], exec
	s_and_b64 s[92:93], s[92:93], exec
	s_or_b64 s[26:27], s[26:27], s[92:93]
.LBB4_13534:                            ;   in Loop: Header=BB4_13466 Depth=2
	s_or_b64 exec, exec, s[90:91]
	buffer_load_dword v14, off, s[0:3], s33 offset:176 ; 4-byte Folded Reload
	v_cmp_eq_u32_e32 vcc, 0, v7
	s_xor_b64 s[26:27], s[26:27], -1
	v_cndmask_b32_e32 v7, 0, v1, vcc
	v_cndmask_b32_e64 v12, 0, 1, s[26:27]
	s_mov_b64 s[92:93], -1
	v_cmp_ne_u32_e32 vcc, 0, v12
	v_mov_b32_e32 v12, 0
	v_mov_b32_e32 v13, v7
	s_cbranch_vccz .LBB4_13541
; %bb.13535:                            ;   in Loop: Header=BB4_13466 Depth=2
	s_and_saveexec_b64 s[26:27], s[92:93]
	s_cbranch_execnz .LBB4_13552
	s_branch .LBB4_13560
.LBB4_13536:                            ;   in Loop: Header=BB4_13466 Depth=2
	s_mov_b64 s[26:27], 0
	s_and_saveexec_b64 s[90:91], s[10:11]
	s_cbranch_execnz .LBB4_13561
.LBB4_13537:                            ;   in Loop: Header=BB4_13466 Depth=2
	s_or_b64 exec, exec, s[90:91]
	s_and_saveexec_b64 s[90:91], s[24:25]
	s_xor_b64 s[90:91], exec, s[90:91]
	s_cbranch_execz .LBB4_13579
.LBB4_13538:                            ;   in Loop: Header=BB4_13466 Depth=2
	v_and_b32_e32 v7, 16, v19
	v_cmp_ne_u32_e32 vcc, 0, v7
	s_and_b64 s[92:93], vcc, s[26:27]
	s_and_saveexec_b64 s[26:27], s[92:93]
	s_cbranch_execz .LBB4_13540
; %bb.13539:                            ;   in Loop: Header=BB4_13466 Depth=2
	s_waitcnt vmcnt(0) lgkmcnt(0)
	buffer_wbinvl1_vol
.LBB4_13540:                            ;   in Loop: Header=BB4_13466 Depth=2
	s_or_b64 exec, exec, s[26:27]
	s_andn2_saveexec_b64 s[26:27], s[90:91]
	s_cbranch_execz .LBB4_13598
	s_branch .LBB4_13580
.LBB4_13541:                            ;   in Loop: Header=BB4_13466 Depth=2
	v_ashrrev_i32_e32 v12, 31, v7
	v_lshrrev_b32_e32 v12, 20, v12
	v_add_u32_e32 v12, v7, v12
	s_waitcnt vmcnt(0)
	v_ashrrev_i32_e32 v17, 12, v12
	buffer_load_dword v12, off, s[0:3], s33 offset:212 ; 4-byte Folded Reload
	s_waitcnt vmcnt(0)
	v_sub_u32_e32 v16, v17, v12
	v_cmp_lt_i32_e32 vcc, 0, v16
	s_and_saveexec_b64 s[26:27], vcc
	s_cbranch_execz .LBB4_13545
; %bb.13542:                            ;   in Loop: Header=BB4_13466 Depth=2
	buffer_load_dword v18, off, s[0:3], s33 offset:88 ; 4-byte Folded Reload
	buffer_load_dword v22, off, s[0:3], s33 offset:332 ; 4-byte Folded Reload
	;; [unrolled: 1-line block ×3, first 2 shown]
	v_mov_b32_e32 v13, v11
	v_mov_b32_e32 v15, v9
	s_mov_b64 s[90:91], 0
	v_mov_b32_e32 v12, v10
	v_mov_b32_e32 v14, v8
.LBB4_13543:                            ;   Parent Loop BB4_47 Depth=1
                                        ;     Parent Loop BB4_13466 Depth=2
                                        ; =>    This Inner Loop Header: Depth=3
	s_waitcnt vmcnt(0)
	v_add_co_u32_e32 v20, vcc, v23, v14
	v_addc_co_u32_e32 v21, vcc, 0, v15, vcc
	global_load_dwordx4 v[24:27], v[20:21], off glc slc
	global_load_dwordx4 v[28:31], v[20:21], off offset:1024 glc slc
	global_load_dwordx4 v[34:37], v[20:21], off offset:2048 glc slc
	;; [unrolled: 1-line block ×3, first 2 shown]
	v_add_co_u32_e32 v20, vcc, v23, v12
	v_addc_co_u32_e32 v21, vcc, 0, v13, vcc
	v_add_co_u32_e32 v14, vcc, v14, v22
	v_addc_co_u32_e32 v15, vcc, 0, v15, vcc
	v_add_co_u32_e32 v12, vcc, v12, v22
	v_sub_u32_e32 v16, v16, v18
	v_addc_co_u32_e32 v13, vcc, 0, v13, vcc
	v_cmp_gt_i32_e32 vcc, 1, v16
	s_or_b64 s[90:91], vcc, s[90:91]
	s_waitcnt vmcnt(3)
	global_store_dwordx4 v[20:21], v[24:27], off glc slc
	s_waitcnt vmcnt(3)
	global_store_dwordx4 v[20:21], v[28:31], off offset:1024 glc slc
	s_waitcnt vmcnt(3)
	global_store_dwordx4 v[20:21], v[34:37], off offset:2048 glc slc
	s_waitcnt vmcnt(3)
	global_store_dwordx4 v[20:21], v[48:51], off offset:3072 glc slc
	s_andn2_b64 exec, exec, s[90:91]
	s_cbranch_execnz .LBB4_13543
; %bb.13544:                            ;   in Loop: Header=BB4_13466 Depth=2
	s_or_b64 exec, exec, s[90:91]
.LBB4_13545:                            ;   in Loop: Header=BB4_13466 Depth=2
	s_or_b64 exec, exec, s[26:27]
	v_lshlrev_b32_e32 v15, 12, v17
	v_cmp_ne_u32_e32 vcc, v7, v15
	s_mov_b64 s[92:93], 0
	v_mov_b32_e32 v12, 0
                                        ; implicit-def: $vgpr13
                                        ; implicit-def: $vgpr14
	s_and_saveexec_b64 s[90:91], vcc
	s_cbranch_execz .LBB4_13551
; %bb.13546:                            ;   in Loop: Header=BB4_13466 Depth=2
	buffer_load_dword v14, off, s[0:3], s33 offset:336 ; 4-byte Folded Reload
	v_lshlrev_b32_e32 v12, 6, v16
	v_sub_u32_e32 v13, v7, v15
	s_waitcnt vmcnt(0)
	v_sub_u32_e32 v12, v14, v12
	v_ashrrev_i32_e32 v14, 31, v12
	v_lshrrev_b32_e32 v14, 26, v14
	v_add_u32_e32 v14, v12, v14
	v_ashrrev_i32_e32 v16, 6, v14
	v_and_b32_e32 v14, 0xffffffc0, v14
	v_sub_u32_e32 v14, v12, v14
	v_lshlrev_b32_e32 v12, 4, v14
	v_lshl_add_u32 v18, v16, 10, v12
	v_ashrrev_i32_e32 v12, 31, v13
	v_lshrrev_b32_e32 v12, 22, v12
	v_add_u32_e32 v12, v13, v12
	v_ashrrev_i32_e32 v20, 10, v12
	v_and_b32_e32 v12, 0xfffffc00, v12
	v_sub_u32_e32 v17, v13, v18
	v_sub_u32_e32 v13, v13, v12
	v_cmp_lt_i32_e32 vcc, 15, v13
	v_addc_co_u32_e64 v20, s[26:27], 0, v20, vcc
	v_sub_u32_e32 v16, v20, v16
	v_cmp_lt_i32_e64 s[26:27], 15, v17
	s_and_saveexec_b64 s[92:93], s[26:27]
	s_cbranch_execz .LBB4_13550
; %bb.13547:                            ;   in Loop: Header=BB4_13466 Depth=2
	buffer_load_dword v23, off, s[0:3], s33 offset:88 ; 4-byte Folded Reload
	buffer_load_dword v28, off, s[0:3], s33 offset:92 ; 4-byte Folded Reload
	v_add_u32_e32 v18, v18, v15
	v_ashrrev_i32_e32 v20, 31, v18
	s_mov_b64 s[94:95], 0
.LBB4_13548:                            ;   Parent Loop BB4_47 Depth=1
                                        ;     Parent Loop BB4_13466 Depth=2
                                        ; =>    This Inner Loop Header: Depth=3
	v_add_co_u32_e64 v21, s[26:27], v8, v18
	v_addc_co_u32_e64 v22, s[26:27], v9, v20, s[26:27]
	global_load_dwordx4 v[24:27], v[21:22], off glc slc
	v_add_co_u32_e64 v21, s[26:27], v10, v18
	v_addc_co_u32_e64 v22, s[26:27], v11, v20, s[26:27]
	s_waitcnt vmcnt(1)
	v_add_co_u32_e64 v18, s[26:27], v18, v28
	v_sub_u32_e32 v17, v17, v28
	v_addc_co_u32_e64 v20, s[26:27], 0, v20, s[26:27]
	v_cmp_gt_i32_e64 s[26:27], 16, v17
	v_sub_u32_e32 v16, v16, v23
	s_or_b64 s[94:95], s[26:27], s[94:95]
	s_waitcnt vmcnt(0)
	global_store_dwordx4 v[21:22], v[24:27], off glc slc
	s_andn2_b64 exec, exec, s[94:95]
	s_cbranch_execnz .LBB4_13548
; %bb.13549:                            ;   in Loop: Header=BB4_13466 Depth=2
	s_or_b64 exec, exec, s[94:95]
.LBB4_13550:                            ;   in Loop: Header=BB4_13466 Depth=2
	s_or_b64 exec, exec, s[92:93]
	v_and_b32_e32 v17, 15, v7
	v_sub_u32_e32 v18, v13, v17
	v_cndmask_b32_e32 v18, 0, v18, vcc
	v_add3_u32 v12, v12, v15, v18
	buffer_load_dword v15, off, s[0:3], s33 offset:88 ; 4-byte Folded Reload
	v_cndmask_b32_e32 v13, v13, v17, vcc
	v_cmp_lt_i32_e32 vcc, 0, v16
	s_waitcnt vmcnt(0)
	v_cndmask_b32_e32 v15, 0, v15, vcc
	v_sub_u32_e32 v15, v15, v16
	v_cmp_ne_u32_e32 vcc, 0, v13
	v_lshl_add_u32 v14, v15, 6, v14
	s_and_b64 s[92:93], vcc, exec
.LBB4_13551:                            ;   in Loop: Header=BB4_13466 Depth=2
	s_or_b64 exec, exec, s[90:91]
	s_and_saveexec_b64 s[26:27], s[92:93]
	s_cbranch_execz .LBB4_13560
.LBB4_13552:                            ;   in Loop: Header=BB4_13466 Depth=2
	s_waitcnt vmcnt(0)
	v_ashrrev_i32_e32 v15, 31, v14
	v_ashrrev_i32_e32 v16, 31, v13
	v_lshrrev_b32_e32 v15, 26, v15
	v_lshrrev_b32_e32 v16, 22, v16
	v_add_u32_e32 v18, v14, v15
	v_add_u32_e32 v16, v13, v16
	v_ashrrev_i32_e32 v15, 6, v18
	v_ashrrev_i32_e32 v17, 10, v16
	v_sub_u32_e32 v16, v17, v15
	v_cmp_lt_i32_e32 vcc, 0, v16
	s_and_saveexec_b64 s[90:91], vcc
	s_cbranch_execz .LBB4_13556
; %bb.13553:                            ;   in Loop: Header=BB4_13466 Depth=2
	buffer_load_dword v39, off, s[0:3], s33 offset:88 ; 4-byte Folded Reload
	buffer_load_dword v48, off, s[0:3], s33 offset:92 ; 4-byte Folded Reload
	v_and_b32_e32 v18, 0xffffffc0, v18
	v_sub_u32_e32 v18, v14, v18
	v_lshlrev_b32_e32 v20, 10, v15
	v_add3_u32 v18, v12, v18, v20
	v_ashrrev_i32_e32 v20, 31, v18
	s_mov_b64 s[92:93], 0
.LBB4_13554:                            ;   Parent Loop BB4_47 Depth=1
                                        ;     Parent Loop BB4_13466 Depth=2
                                        ; =>    This Inner Loop Header: Depth=3
	v_add_co_u32_e32 v21, vcc, v18, v8
	v_addc_co_u32_e32 v22, vcc, v20, v9, vcc
	flat_load_ubyte v23, v[21:22] glc slc
	flat_load_ubyte v24, v[21:22] offset:64 glc slc
	flat_load_ubyte v25, v[21:22] offset:128 glc slc
	;; [unrolled: 1-line block ×15, first 2 shown]
	v_add_co_u32_e32 v21, vcc, v18, v10
	v_addc_co_u32_e32 v22, vcc, v20, v11, vcc
	s_waitcnt vmcnt(0)
	v_add_co_u32_e32 v8, vcc, v8, v48
	v_addc_co_u32_e32 v9, vcc, 0, v9, vcc
	v_add_co_u32_e32 v10, vcc, v10, v48
	v_sub_u32_e32 v16, v16, v39
	v_addc_co_u32_e32 v11, vcc, 0, v11, vcc
	v_cmp_gt_i32_e32 vcc, 1, v16
	s_or_b64 s[92:93], vcc, s[92:93]
	s_waitcnt lgkmcnt(0)
	flat_store_byte v[21:22], v23 glc slc
	flat_store_byte v[21:22], v24 offset:64 glc slc
	flat_store_byte v[21:22], v25 offset:128 glc slc
	;; [unrolled: 1-line block ×15, first 2 shown]
	s_andn2_b64 exec, exec, s[92:93]
	s_cbranch_execnz .LBB4_13554
; %bb.13555:                            ;   in Loop: Header=BB4_13466 Depth=2
	s_or_b64 exec, exec, s[92:93]
.LBB4_13556:                            ;   in Loop: Header=BB4_13466 Depth=2
	s_or_b64 exec, exec, s[90:91]
	v_lshlrev_b32_e32 v8, 10, v17
	buffer_load_dword v17, off, s[0:3], s33 offset:104 ; 4-byte Folded Reload
	v_cmp_ne_u32_e32 vcc, v13, v8
	s_and_b64 s[90:91], exec, vcc
	s_mov_b64 exec, s[90:91]
	s_cbranch_execz .LBB4_13560
; %bb.13557:                            ;   in Loop: Header=BB4_13466 Depth=2
	v_lshlrev_b32_e32 v9, 6, v15
	v_sub_u32_e32 v9, v14, v9
	v_lshlrev_b32_e32 v10, 6, v16
	v_sub_u32_e32 v9, v9, v10
	v_add_u32_e32 v8, v8, v9
	v_sub_u32_e32 v10, v13, v8
	v_cmp_lt_i32_e32 vcc, 0, v10
	s_and_b64 exec, exec, vcc
	s_cbranch_execz .LBB4_13560
; %bb.13558:                            ;   in Loop: Header=BB4_13466 Depth=2
	v_add_u32_e32 v11, v8, v12
	s_trap 2
	ds_read_b64 v[8:9], v0
	v_ashrrev_i32_e32 v12, 31, v11
	s_mov_b64 s[90:91], 0
.LBB4_13559:                            ;   Parent Loop BB4_47 Depth=1
                                        ;     Parent Loop BB4_13466 Depth=2
                                        ; =>    This Inner Loop Header: Depth=3
	s_waitcnt lgkmcnt(0)
	v_add_co_u32_e32 v13, vcc, v8, v11
	v_addc_co_u32_e32 v14, vcc, v9, v12, vcc
	flat_load_ubyte v15, v[13:14] glc slc
	s_waitcnt vmcnt(0)
	v_add_co_u32_e32 v11, vcc, v11, v17
	v_sub_u32_e32 v10, v10, v17
	v_addc_co_u32_e32 v12, vcc, 0, v12, vcc
	v_cmp_gt_i32_e32 vcc, 1, v10
	s_or_b64 s[90:91], vcc, s[90:91]
	s_waitcnt lgkmcnt(0)
	flat_store_byte v[13:14], v15 glc slc
	s_andn2_b64 exec, exec, s[90:91]
	s_cbranch_execnz .LBB4_13559
.LBB4_13560:                            ;   in Loop: Header=BB4_13466 Depth=2
	s_or_b64 exec, exec, s[26:27]
	v_cmp_lt_i32_e64 s[26:27], 0, v7
	s_and_saveexec_b64 s[90:91], s[10:11]
	s_cbranch_execz .LBB4_13537
.LBB4_13561:                            ;   in Loop: Header=BB4_13466 Depth=2
	s_and_saveexec_b64 s[92:93], s[58:59]
	s_xor_b64 s[92:93], exec, s[92:93]
	s_cbranch_execz .LBB4_13576
; %bb.13562:                            ;   in Loop: Header=BB4_13466 Depth=2
	s_and_saveexec_b64 s[94:95], s[16:17]
	s_cbranch_execz .LBB4_13575
; %bb.13563:                            ;   in Loop: Header=BB4_13466 Depth=2
	s_mov_b64 s[34:35], exec
	v_mbcnt_lo_u32_b32 v7, s34, 0
	v_mbcnt_hi_u32_b32 v7, s35, v7
	v_cmp_eq_u32_e32 vcc, 0, v7
	s_waitcnt vmcnt(0) lgkmcnt(0)
	buffer_wbinvl1_vol
	s_and_saveexec_b64 s[30:31], vcc
	s_cbranch_execz .LBB4_13565
; %bb.13564:                            ;   in Loop: Header=BB4_13466 Depth=2
	s_bcnt1_i32_b64 s45, s[34:35]
	v_mov_b32_e32 v7, s45
	v_mov_b32_e32 v8, v3
	ds_add_u64 v0, v[7:8]
	s_trap 2
.LBB4_13565:                            ;   in Loop: Header=BB4_13466 Depth=2
	s_or_b64 exec, exec, s[30:31]
	s_trap 2
	ds_read_b64 v[7:8], v0
	s_waitcnt lgkmcnt(0)
	buffer_load_dword v9, off, s[0:3], s33 offset:72 ; 4-byte Folded Reload
	buffer_load_dword v10, off, s[0:3], s33 offset:76 ; 4-byte Folded Reload
	;; [unrolled: 1-line block ×3, first 2 shown]
	s_waitcnt vmcnt(0)
	v_add_co_u32_e32 v9, vcc, v9, v11
	v_addc_co_u32_e32 v10, vcc, 0, v10, vcc
	buffer_store_dword v9, off, s[0:3], s33 offset:72 ; 4-byte Folded Spill
	s_nop 0
	buffer_store_dword v10, off, s[0:3], s33 offset:76 ; 4-byte Folded Spill
	v_cmp_lt_u64_e32 vcc, v[7:8], v[9:10]
	s_and_saveexec_b64 s[30:31], vcc
	s_cbranch_execz .LBB4_13574
; %bb.13566:                            ;   in Loop: Header=BB4_13466 Depth=2
	s_mov_b32 s45, 0
	s_mov_b64 s[34:35], 0
                                        ; implicit-def: $sgpr36_sgpr37
                                        ; implicit-def: $sgpr38_sgpr39
	s_branch .LBB4_13568
.LBB4_13567:                            ;   in Loop: Header=BB4_13568 Depth=3
	s_or_b64 exec, exec, s[50:51]
	s_and_b64 vcc, exec, vcc
	s_or_b64 s[34:35], vcc, s[34:35]
	s_andn2_b64 vcc, s[36:37], exec
	s_and_b64 s[36:37], s[38:39], exec
	s_or_b64 s[36:37], vcc, s[36:37]
	s_andn2_b64 exec, exec, s[34:35]
	s_cbranch_execz .LBB4_13572
.LBB4_13568:                            ;   Parent Loop BB4_47 Depth=1
                                        ;     Parent Loop BB4_13466 Depth=2
                                        ; =>    This Inner Loop Header: Depth=3
	s_add_i32 s45, s45, 1
	s_cmpk_lg_i32 s45, 0x2710
	s_cselect_b64 s[48:49], -1, 0
	s_and_b64 vcc, exec, s[48:49]
	s_cbranch_vccz .LBB4_13570
; %bb.13569:                            ;   in Loop: Header=BB4_13568 Depth=3
	s_mov_b64 vcc, -1
	s_or_b64 s[38:39], s[38:39], exec
	s_and_saveexec_b64 s[50:51], s[48:49]
	s_cbranch_execz .LBB4_13567
	s_branch .LBB4_13571
.LBB4_13570:                            ;   in Loop: Header=BB4_13568 Depth=3
	s_trap 2
	ds_read_b64 v[7:8], v0
	s_andn2_b64 s[48:49], s[48:49], exec
	s_mov_b32 s45, 0
	s_waitcnt vmcnt(0) lgkmcnt(0)
	flat_load_dword v7, v[7:8] glc
	s_waitcnt vmcnt(0) lgkmcnt(0)
	buffer_wbinvl1_vol
	v_cmp_eq_u32_e32 vcc, 0, v7
	s_and_b64 vcc, vcc, exec
	s_or_b64 s[48:49], s[48:49], vcc
	s_mov_b64 vcc, -1
	s_or_b64 s[38:39], s[38:39], exec
	s_and_saveexec_b64 s[50:51], s[48:49]
	s_cbranch_execz .LBB4_13567
.LBB4_13571:                            ;   in Loop: Header=BB4_13568 Depth=3
	s_sleep 1
	s_trap 2
	ds_read_b64 v[7:8], v0
	s_waitcnt lgkmcnt(0)
	buffer_load_dword v9, off, s[0:3], s33 offset:72 ; 4-byte Folded Reload
	buffer_load_dword v10, off, s[0:3], s33 offset:76 ; 4-byte Folded Reload
	s_andn2_b64 s[38:39], s[38:39], exec
	s_waitcnt vmcnt(0)
	v_cmp_ge_u64_e32 vcc, v[7:8], v[9:10]
	s_orn2_b64 vcc, vcc, exec
	s_branch .LBB4_13567
.LBB4_13572:                            ;   in Loop: Header=BB4_13466 Depth=2
	s_or_b64 exec, exec, s[34:35]
	s_and_saveexec_b64 vcc, s[36:37]
	s_xor_b64 vcc, exec, vcc
	s_cbranch_execz .LBB4_13574
; %bb.13573:                            ;   in Loop: Header=BB4_13466 Depth=2
	v_mov_b32_e32 v7, 1
	ds_write_b32 v0, v7
	s_trap 2
.LBB4_13574:                            ;   in Loop: Header=BB4_13466 Depth=2
	s_or_b64 exec, exec, s[30:31]
	;;#ASMSTART
	s_wakeup
	;;#ASMEND
.LBB4_13575:                            ;   in Loop: Header=BB4_13466 Depth=2
	s_or_b64 exec, exec, s[94:95]
.LBB4_13576:                            ;   in Loop: Header=BB4_13466 Depth=2
	s_andn2_saveexec_b64 s[92:93], s[92:93]
	s_cbranch_execz .LBB4_13578
; %bb.13577:                            ;   in Loop: Header=BB4_13466 Depth=2
	s_waitcnt vmcnt(0) lgkmcnt(0)
	buffer_wbinvl1_vol
	s_barrier
.LBB4_13578:                            ;   in Loop: Header=BB4_13466 Depth=2
	s_or_b64 exec, exec, s[92:93]
	s_or_b64 exec, exec, s[90:91]
	s_and_saveexec_b64 s[90:91], s[24:25]
	s_xor_b64 s[90:91], exec, s[90:91]
	s_cbranch_execnz .LBB4_13538
.LBB4_13579:                            ;   in Loop: Header=BB4_13466 Depth=2
	s_andn2_saveexec_b64 s[26:27], s[90:91]
	s_cbranch_execz .LBB4_13598
.LBB4_13580:                            ;   in Loop: Header=BB4_13466 Depth=2
	s_and_saveexec_b64 s[90:91], s[58:59]
	s_xor_b64 s[90:91], exec, s[90:91]
	s_cbranch_execz .LBB4_13595
; %bb.13581:                            ;   in Loop: Header=BB4_13466 Depth=2
	s_and_saveexec_b64 s[92:93], s[16:17]
	s_cbranch_execz .LBB4_13594
; %bb.13582:                            ;   in Loop: Header=BB4_13466 Depth=2
	s_mov_b64 s[30:31], exec
	v_mbcnt_lo_u32_b32 v7, s30, 0
	v_mbcnt_hi_u32_b32 v7, s31, v7
	v_cmp_eq_u32_e32 vcc, 0, v7
	;;#ASMSTART
	s_waitcnt lgkmcnt(0) vmcnt(0)
	;;#ASMEND
	s_and_saveexec_b64 s[94:95], vcc
	s_cbranch_execz .LBB4_13584
; %bb.13583:                            ;   in Loop: Header=BB4_13466 Depth=2
	s_bcnt1_i32_b64 s45, s[30:31]
	v_mov_b32_e32 v7, s45
	v_mov_b32_e32 v8, v3
	s_waitcnt lgkmcnt(0)
	ds_add_u64 v0, v[7:8]
	s_trap 2
.LBB4_13584:                            ;   in Loop: Header=BB4_13466 Depth=2
	s_or_b64 exec, exec, s[94:95]
	s_trap 2
	ds_read_b64 v[7:8], v0
	s_waitcnt lgkmcnt(0)
	buffer_load_dword v9, off, s[0:3], s33 offset:72 ; 4-byte Folded Reload
	buffer_load_dword v10, off, s[0:3], s33 offset:76 ; 4-byte Folded Reload
	;; [unrolled: 1-line block ×3, first 2 shown]
	s_waitcnt vmcnt(0)
	v_add_co_u32_e32 v9, vcc, v9, v11
	v_addc_co_u32_e32 v10, vcc, 0, v10, vcc
	buffer_store_dword v9, off, s[0:3], s33 offset:72 ; 4-byte Folded Spill
	s_nop 0
	buffer_store_dword v10, off, s[0:3], s33 offset:76 ; 4-byte Folded Spill
	v_cmp_lt_u64_e32 vcc, v[7:8], v[9:10]
	s_and_saveexec_b64 s[94:95], vcc
	s_cbranch_execz .LBB4_13593
; %bb.13585:                            ;   in Loop: Header=BB4_13466 Depth=2
	s_mov_b32 s45, 0
	s_mov_b64 s[30:31], 0
                                        ; implicit-def: $sgpr34_sgpr35
                                        ; implicit-def: $sgpr36_sgpr37
	s_branch .LBB4_13587
.LBB4_13586:                            ;   in Loop: Header=BB4_13587 Depth=3
	s_or_b64 exec, exec, s[48:49]
	s_and_b64 vcc, exec, vcc
	s_or_b64 s[30:31], vcc, s[30:31]
	s_andn2_b64 vcc, s[34:35], exec
	s_and_b64 s[34:35], s[36:37], exec
	s_or_b64 s[34:35], vcc, s[34:35]
	s_andn2_b64 exec, exec, s[30:31]
	s_cbranch_execz .LBB4_13591
.LBB4_13587:                            ;   Parent Loop BB4_47 Depth=1
                                        ;     Parent Loop BB4_13466 Depth=2
                                        ; =>    This Inner Loop Header: Depth=3
	s_add_i32 s45, s45, 1
	s_cmpk_lg_i32 s45, 0x2710
	s_cselect_b64 s[38:39], -1, 0
	s_and_b64 vcc, exec, s[38:39]
	s_cbranch_vccz .LBB4_13589
; %bb.13588:                            ;   in Loop: Header=BB4_13587 Depth=3
	s_mov_b64 vcc, -1
	s_or_b64 s[36:37], s[36:37], exec
	s_and_saveexec_b64 s[48:49], s[38:39]
	s_cbranch_execz .LBB4_13586
	s_branch .LBB4_13590
.LBB4_13589:                            ;   in Loop: Header=BB4_13587 Depth=3
	s_trap 2
	ds_read_b64 v[7:8], v0
	s_andn2_b64 s[38:39], s[38:39], exec
	s_mov_b32 s45, 0
	s_waitcnt vmcnt(0) lgkmcnt(0)
	flat_load_dword v7, v[7:8] glc
	s_waitcnt vmcnt(0) lgkmcnt(0)
	buffer_wbinvl1_vol
	v_cmp_eq_u32_e32 vcc, 0, v7
	s_and_b64 vcc, vcc, exec
	s_or_b64 s[38:39], s[38:39], vcc
	s_mov_b64 vcc, -1
	s_or_b64 s[36:37], s[36:37], exec
	s_and_saveexec_b64 s[48:49], s[38:39]
	s_cbranch_execz .LBB4_13586
.LBB4_13590:                            ;   in Loop: Header=BB4_13587 Depth=3
	s_sleep 1
	s_trap 2
	ds_read_b64 v[7:8], v0
	s_waitcnt lgkmcnt(0)
	buffer_load_dword v9, off, s[0:3], s33 offset:72 ; 4-byte Folded Reload
	buffer_load_dword v10, off, s[0:3], s33 offset:76 ; 4-byte Folded Reload
	s_andn2_b64 s[36:37], s[36:37], exec
	s_waitcnt vmcnt(0)
	v_cmp_ge_u64_e32 vcc, v[7:8], v[9:10]
	s_orn2_b64 vcc, vcc, exec
	s_branch .LBB4_13586
.LBB4_13591:                            ;   in Loop: Header=BB4_13466 Depth=2
	s_or_b64 exec, exec, s[30:31]
	s_and_saveexec_b64 vcc, s[34:35]
	s_xor_b64 vcc, exec, vcc
	s_cbranch_execz .LBB4_13593
; %bb.13592:                            ;   in Loop: Header=BB4_13466 Depth=2
	v_mov_b32_e32 v7, 1
	ds_write_b32 v0, v7
	s_trap 2
.LBB4_13593:                            ;   in Loop: Header=BB4_13466 Depth=2
	s_or_b64 exec, exec, s[94:95]
	;;#ASMSTART
	s_wakeup
	;;#ASMEND
.LBB4_13594:                            ;   in Loop: Header=BB4_13466 Depth=2
	s_or_b64 exec, exec, s[92:93]
.LBB4_13595:                            ;   in Loop: Header=BB4_13466 Depth=2
	s_andn2_saveexec_b64 s[90:91], s[90:91]
	s_cbranch_execz .LBB4_13597
; %bb.13596:                            ;   in Loop: Header=BB4_13466 Depth=2
	;;#ASMSTART
	s_waitcnt lgkmcnt(0) vmcnt(0)
	;;#ASMEND
	s_waitcnt vmcnt(0) lgkmcnt(0)
	s_barrier
.LBB4_13597:                            ;   in Loop: Header=BB4_13466 Depth=2
	s_or_b64 exec, exec, s[90:91]
.LBB4_13598:                            ;   in Loop: Header=BB4_13466 Depth=2
	s_or_b64 exec, exec, s[26:27]
	v_and_b32_e32 v7, 32, v19
	v_cmp_ne_u32_e32 vcc, 0, v7
	s_and_saveexec_b64 s[26:27], vcc
	s_cbranch_execz .LBB4_13465
; %bb.13599:                            ;   in Loop: Header=BB4_13466 Depth=2
	buffer_load_dword v9, off, s[0:3], s33 offset:80 ; 4-byte Folded Reload
	buffer_load_dword v10, off, s[0:3], s33 offset:84 ; 4-byte Folded Reload
	;; [unrolled: 1-line block ×4, first 2 shown]
	s_waitcnt vmcnt(0)
	v_add_co_u32_e32 v9, vcc, 2, v9
	v_addc_co_u32_e32 v10, vcc, 0, v10, vcc
	buffer_store_dword v9, off, s[0:3], s33 offset:80 ; 4-byte Folded Spill
	s_nop 0
	buffer_store_dword v10, off, s[0:3], s33 offset:84 ; 4-byte Folded Spill
	flat_store_dwordx2 v[7:8], v[9:10]
	s_branch .LBB4_13465
.LBB4_13600:                            ;   in Loop: Header=BB4_47 Depth=1
	s_or_b64 exec, exec, s[40:41]
.LBB4_13601:                            ;   in Loop: Header=BB4_47 Depth=1
	s_or_b64 exec, exec, s[28:29]
	v_cmp_gt_i32_e32 vcc, 2, v7
	s_and_saveexec_b64 s[28:29], vcc
	s_cbranch_execnz .LBB4_13602
; %bb.13736:                            ;   in Loop: Header=BB4_47 Depth=1
	s_getpc_b64 s[98:99]
.Lpost_getpc19:
	s_add_u32 s98, s98, (.LBB4_46-.Lpost_getpc19)&4294967295
	s_addc_u32 s99, s99, (.LBB4_46-.Lpost_getpc19)>>32
	s_setpc_b64 s[98:99]
.LBB4_13602:                            ;   in Loop: Header=BB4_47 Depth=1
	v_cmp_eq_u32_e64 s[42:43], 0, v7
	s_mov_b64 s[40:41], 0
	s_branch .LBB4_13604
.LBB4_13603:                            ;   in Loop: Header=BB4_13604 Depth=2
	s_or_b64 exec, exec, s[26:27]
	v_add_u32_e32 v2, v1, v2
	s_mov_b64 s[42:43], 0
	s_andn2_b64 exec, exec, s[40:41]
	s_cbranch_execnz .LBB4_13604
; %bb.13738:                            ;   in Loop: Header=BB4_47 Depth=1
	s_getpc_b64 s[98:99]
.Lpost_getpc20:
	s_add_u32 s98, s98, (.LBB4_45-.Lpost_getpc20)&4294967295
	s_addc_u32 s99, s99, (.LBB4_45-.Lpost_getpc20)>>32
	s_setpc_b64 s[98:99]
.LBB4_13604:                            ;   Parent Loop BB4_47 Depth=1
                                        ; =>  This Loop Header: Depth=2
                                        ;       Child Loop BB4_13610 Depth 3
                                        ;       Child Loop BB4_13634 Depth 3
	;; [unrolled: 1-line block ×3, first 2 shown]
	v_and_b32_e32 v4, 4, v19
	v_cmp_ne_u32_e32 vcc, 0, v4
	s_and_saveexec_b64 s[90:91], vcc
	s_cbranch_execz .LBB4_13626
; %bb.13605:                            ;   in Loop: Header=BB4_13604 Depth=2
	buffer_load_dword v6, off, s[0:3], s33 offset:80 ; 4-byte Folded Reload
	buffer_load_dword v7, off, s[0:3], s33 offset:84 ; 4-byte Folded Reload
	s_waitcnt vmcnt(0)
	v_add_co_u32_e32 v8, vcc, 2, v6
	v_addc_co_u32_e32 v9, vcc, 0, v7, vcc
	buffer_load_dword v6, off, s[0:3], s33 offset:56 ; 4-byte Folded Reload
	buffer_load_dword v7, off, s[0:3], s33 offset:60 ; 4-byte Folded Reload
	s_waitcnt vmcnt(0)
	v_cmp_lt_u64_e32 vcc, v[6:7], v[8:9]
	s_and_saveexec_b64 s[92:93], vcc
	s_cbranch_execz .LBB4_13617
; %bb.13606:                            ;   in Loop: Header=BB4_13604 Depth=2
	v_and_b32_e32 v4, 64, v19
	s_mov_b32 s44, 0
	v_cmp_eq_u32_e32 vcc, 0, v4
	s_mov_b64 s[94:95], 0
                                        ; implicit-def: $sgpr30_sgpr31
                                        ; implicit-def: $sgpr34_sgpr35
                                        ; implicit-def: $sgpr36_sgpr37
	s_branch .LBB4_13610
.LBB4_13607:                            ;   in Loop: Header=BB4_13610 Depth=3
	buffer_load_dword v6, off, s[0:3], s33 offset:56 ; 4-byte Folded Reload
	buffer_load_dword v7, off, s[0:3], s33 offset:60 ; 4-byte Folded Reload
	s_or_b64 s[50:51], s[50:51], exec
	s_waitcnt vmcnt(0)
	v_cmp_ge_u64_e64 s[26:27], v[6:7], v[8:9]
	s_orn2_b64 s[48:49], s[26:27], exec
.LBB4_13608:                            ;   in Loop: Header=BB4_13610 Depth=3
	s_or_b64 exec, exec, s[54:55]
	s_andn2_b64 s[26:27], s[36:37], exec
	s_and_b64 s[36:37], s[50:51], exec
	s_or_b64 s[36:37], s[26:27], s[36:37]
	s_andn2_b64 s[26:27], s[34:35], exec
	s_and_b64 s[34:35], s[48:49], exec
	s_or_b64 s[34:35], s[26:27], s[34:35]
.LBB4_13609:                            ;   in Loop: Header=BB4_13610 Depth=3
	s_or_b64 exec, exec, s[38:39]
	s_and_b64 s[26:27], exec, s[34:35]
	s_or_b64 s[94:95], s[26:27], s[94:95]
	s_andn2_b64 s[26:27], s[30:31], exec
	s_and_b64 s[30:31], s[36:37], exec
	s_or_b64 s[30:31], s[26:27], s[30:31]
	s_andn2_b64 exec, exec, s[94:95]
	s_cbranch_execz .LBB4_13614
.LBB4_13610:                            ;   Parent Loop BB4_47 Depth=1
                                        ;     Parent Loop BB4_13604 Depth=2
                                        ; =>    This Inner Loop Header: Depth=3
	s_sleep 1
	buffer_load_dword v6, off, s[0:3], s33 offset:64 ; 4-byte Folded Reload
	buffer_load_dword v7, off, s[0:3], s33 offset:68 ; 4-byte Folded Reload
	s_or_b64 s[36:37], s[36:37], exec
	s_or_b64 s[34:35], s[34:35], exec
                                        ; implicit-def: $vgpr4
	s_waitcnt vmcnt(0)
	flat_load_dwordx2 v[6:7], v[6:7] glc
	s_waitcnt vmcnt(0) lgkmcnt(0)
	buffer_store_dword v6, off, s[0:3], s33 offset:56 ; 4-byte Folded Spill
	s_nop 0
	buffer_store_dword v7, off, s[0:3], s33 offset:60 ; 4-byte Folded Spill
	s_and_saveexec_b64 s[38:39], vcc
	s_cbranch_execz .LBB4_13609
; %bb.13611:                            ;   in Loop: Header=BB4_13610 Depth=3
	s_cmpk_lt_i32 s44, 0x270f
	s_cselect_b64 s[52:53], -1, 0
	s_cmpk_gt_i32 s44, 0x270e
	s_mov_b64 s[48:49], -1
	s_cbranch_scc0 .LBB4_13613
; %bb.13612:                            ;   in Loop: Header=BB4_13610 Depth=3
	s_trap 2
	ds_read_b64 v[6:7], v0
	s_andn2_b64 s[52:53], s[52:53], exec
	s_mov_b32 s44, 0
	s_mov_b64 s[50:51], 0
	s_waitcnt vmcnt(0) lgkmcnt(0)
	flat_load_dword v4, v[6:7] glc
	s_waitcnt vmcnt(0) lgkmcnt(0)
	buffer_wbinvl1_vol
	v_cmp_eq_u32_e64 s[26:27], 0, v4
	s_and_b64 s[26:27], s[26:27], exec
	s_or_b64 s[52:53], s[52:53], s[26:27]
	s_and_saveexec_b64 s[54:55], s[52:53]
	s_cbranch_execz .LBB4_13608
	s_branch .LBB4_13607
.LBB4_13613:                            ;   in Loop: Header=BB4_13610 Depth=3
	s_add_i32 s44, s44, 1
	s_mov_b64 s[50:51], -1
                                        ; implicit-def: $vgpr4
	s_and_saveexec_b64 s[54:55], s[52:53]
	s_cbranch_execz .LBB4_13608
	s_branch .LBB4_13607
.LBB4_13614:                            ;   in Loop: Header=BB4_13604 Depth=2
	s_or_b64 exec, exec, s[94:95]
	s_xor_b64 s[26:27], s[30:31], -1
	s_and_saveexec_b64 s[44:45], s[26:27]
	s_xor_b64 s[26:27], exec, s[44:45]
	s_cbranch_execz .LBB4_13616
; %bb.13615:                            ;   in Loop: Header=BB4_13604 Depth=2
	v_or_b32_e32 v19, 64, v19
	ds_write_b32 v0, v4
	s_trap 2
.LBB4_13616:                            ;   in Loop: Header=BB4_13604 Depth=2
	s_or_b64 exec, exec, s[26:27]
.LBB4_13617:                            ;   in Loop: Header=BB4_13604 Depth=2
	s_or_b64 exec, exec, s[92:93]
	;;#ASMSTART
	s_wakeup
	;;#ASMEND
	buffer_load_dword v6, off, s[0:3], s33 offset:80 ; 4-byte Folded Reload
	buffer_load_dword v7, off, s[0:3], s33 offset:84 ; 4-byte Folded Reload
	v_and_b32_e32 v4, 0x100, v19
	v_cmp_ne_u32_e32 vcc, 0, v4
	s_mov_b64 s[26:27], -1
                                        ; implicit-def: $vgpr10_vgpr11
	s_waitcnt vmcnt(0)
	v_and_b32_e32 v4, 7, v6
	s_and_saveexec_b64 s[92:93], vcc
	s_cbranch_execz .LBB4_13621
; %bb.13618:                            ;   in Loop: Header=BB4_13604 Depth=2
	buffer_load_dword v10, off, s[0:3], s33 offset:120 ; 4-byte Folded Reload
	buffer_load_dword v11, off, s[0:3], s33 offset:124 ; 4-byte Folded Reload
	buffer_load_dword v12, off, s[0:3], s33 offset:128 ; 4-byte Folded Reload
	buffer_load_dword v13, off, s[0:3], s33 offset:132 ; 4-byte Folded Reload
	s_waitcnt vmcnt(0)
	v_mad_u64_u32 v[12:13], s[26:27], v4, 24, v[10:11]
                                        ; implicit-def: $vgpr10_vgpr11
	flat_load_dword v6, v[12:13]
	s_waitcnt vmcnt(0) lgkmcnt(0)
	v_cmp_ne_u32_e32 vcc, 1, v6
	v_cmp_eq_u32_e64 s[26:27], 1, v6
	s_and_saveexec_b64 s[94:95], s[26:27]
	s_cbranch_execz .LBB4_13620
; %bb.13619:                            ;   in Loop: Header=BB4_13604 Depth=2
	flat_load_dword v10, v[12:13] offset:4 glc
	s_waitcnt vmcnt(0) lgkmcnt(0)
	v_ashrrev_i32_e32 v11, 31, v10
.LBB4_13620:                            ;   in Loop: Header=BB4_13604 Depth=2
	s_or_b64 exec, exec, s[94:95]
	s_orn2_b64 s[26:27], vcc, exec
.LBB4_13621:                            ;   in Loop: Header=BB4_13604 Depth=2
	s_or_b64 exec, exec, s[92:93]
	s_and_saveexec_b64 s[92:93], s[26:27]
	s_cbranch_execz .LBB4_13623
; %bb.13622:                            ;   in Loop: Header=BB4_13604 Depth=2
	buffer_load_dword v6, off, s[0:3], s33 offset:152 ; 4-byte Folded Reload
	s_waitcnt vmcnt(0)
	v_mad_i64_i32 v[10:11], s[26:27], v4, v6, 0
.LBB4_13623:                            ;   in Loop: Header=BB4_13604 Depth=2
	s_or_b64 exec, exec, s[92:93]
	buffer_load_dword v6, off, s[0:3], s33 offset:112 ; 4-byte Folded Reload
	buffer_load_dword v7, off, s[0:3], s33 offset:116 ; 4-byte Folded Reload
	v_and_b32_e32 v4, 0x2000, v19
	s_waitcnt vmcnt(0)
	v_add_co_u32_e32 v6, vcc, v6, v10
	v_addc_co_u32_e32 v7, vcc, v7, v11, vcc
	v_cmp_ne_u32_e32 vcc, 0, v4
	ds_write_b64 v0, v[6:7] offset:720
	s_and_saveexec_b64 s[26:27], vcc
	s_cbranch_execz .LBB4_13625
; %bb.13624:                            ;   in Loop: Header=BB4_13604 Depth=2
	ds_read_b64 v[6:7], v0 offset:872
	s_waitcnt lgkmcnt(0)
	v_add_co_u32_e32 v6, vcc, 1, v6
	v_addc_co_u32_e32 v7, vcc, 0, v7, vcc
	ds_write_b64 v0, v[6:7] offset:872
.LBB4_13625:                            ;   in Loop: Header=BB4_13604 Depth=2
	s_or_b64 exec, exec, s[26:27]
	buffer_store_dword v8, off, s[0:3], s33 offset:80 ; 4-byte Folded Spill
	s_nop 0
	buffer_store_dword v9, off, s[0:3], s33 offset:84 ; 4-byte Folded Spill
.LBB4_13626:                            ;   in Loop: Header=BB4_13604 Depth=2
	s_or_b64 exec, exec, s[90:91]
	s_xor_b64 s[26:27], s[42:43], -1
	s_and_b64 s[26:27], exec, s[26:27]
	s_or_b64 s[40:41], s[26:27], s[40:41]
	s_and_saveexec_b64 s[26:27], s[10:11]
	s_cbranch_execz .LBB4_13645
; %bb.13627:                            ;   in Loop: Header=BB4_13604 Depth=2
	s_and_saveexec_b64 s[42:43], s[58:59]
	s_xor_b64 s[42:43], exec, s[42:43]
	s_cbranch_execz .LBB4_13642
; %bb.13628:                            ;   in Loop: Header=BB4_13604 Depth=2
	s_and_saveexec_b64 s[90:91], s[16:17]
	s_cbranch_execz .LBB4_13641
; %bb.13629:                            ;   in Loop: Header=BB4_13604 Depth=2
	s_mov_b64 s[94:95], exec
	v_mbcnt_lo_u32_b32 v4, s94, 0
	v_mbcnt_hi_u32_b32 v4, s95, v4
	v_cmp_eq_u32_e32 vcc, 0, v4
	s_waitcnt vmcnt(0) lgkmcnt(0)
	buffer_wbinvl1_vol
	s_and_saveexec_b64 s[92:93], vcc
	s_cbranch_execz .LBB4_13631
; %bb.13630:                            ;   in Loop: Header=BB4_13604 Depth=2
	s_bcnt1_i32_b64 s44, s[94:95]
	v_mov_b32_e32 v6, s44
	v_mov_b32_e32 v7, v3
	ds_add_u64 v0, v[6:7]
	s_trap 2
.LBB4_13631:                            ;   in Loop: Header=BB4_13604 Depth=2
	s_or_b64 exec, exec, s[92:93]
	s_trap 2
	ds_read_b64 v[6:7], v0
	s_waitcnt lgkmcnt(0)
	buffer_load_dword v8, off, s[0:3], s33 offset:72 ; 4-byte Folded Reload
	buffer_load_dword v9, off, s[0:3], s33 offset:76 ; 4-byte Folded Reload
	;; [unrolled: 1-line block ×3, first 2 shown]
	s_waitcnt vmcnt(0)
	v_add_co_u32_e32 v8, vcc, v8, v4
	v_addc_co_u32_e32 v9, vcc, 0, v9, vcc
	buffer_store_dword v8, off, s[0:3], s33 offset:72 ; 4-byte Folded Spill
	s_nop 0
	buffer_store_dword v9, off, s[0:3], s33 offset:76 ; 4-byte Folded Spill
	v_cmp_lt_u64_e32 vcc, v[6:7], v[8:9]
	s_and_saveexec_b64 s[92:93], vcc
	s_cbranch_execz .LBB4_13640
; %bb.13632:                            ;   in Loop: Header=BB4_13604 Depth=2
	s_mov_b32 s44, 0
	s_mov_b64 s[94:95], 0
                                        ; implicit-def: $sgpr30_sgpr31
                                        ; implicit-def: $sgpr34_sgpr35
	s_branch .LBB4_13634
.LBB4_13633:                            ;   in Loop: Header=BB4_13634 Depth=3
	s_or_b64 exec, exec, s[38:39]
	s_and_b64 vcc, exec, vcc
	s_or_b64 s[94:95], vcc, s[94:95]
	s_andn2_b64 vcc, s[30:31], exec
	s_and_b64 s[30:31], s[34:35], exec
	s_or_b64 s[30:31], vcc, s[30:31]
	s_andn2_b64 exec, exec, s[94:95]
	s_cbranch_execz .LBB4_13638
.LBB4_13634:                            ;   Parent Loop BB4_47 Depth=1
                                        ;     Parent Loop BB4_13604 Depth=2
                                        ; =>    This Inner Loop Header: Depth=3
	s_add_i32 s44, s44, 1
	s_cmpk_lg_i32 s44, 0x2710
	s_cselect_b64 s[36:37], -1, 0
	s_and_b64 vcc, exec, s[36:37]
	s_cbranch_vccz .LBB4_13636
; %bb.13635:                            ;   in Loop: Header=BB4_13634 Depth=3
	s_mov_b64 vcc, -1
	s_or_b64 s[34:35], s[34:35], exec
	s_and_saveexec_b64 s[38:39], s[36:37]
	s_cbranch_execz .LBB4_13633
	s_branch .LBB4_13637
.LBB4_13636:                            ;   in Loop: Header=BB4_13634 Depth=3
	s_trap 2
	ds_read_b64 v[6:7], v0
	s_andn2_b64 s[36:37], s[36:37], exec
	s_mov_b32 s44, 0
	s_waitcnt vmcnt(0) lgkmcnt(0)
	flat_load_dword v4, v[6:7] glc
	s_waitcnt vmcnt(0) lgkmcnt(0)
	buffer_wbinvl1_vol
	v_cmp_eq_u32_e32 vcc, 0, v4
	s_and_b64 vcc, vcc, exec
	s_or_b64 s[36:37], s[36:37], vcc
	s_mov_b64 vcc, -1
	s_or_b64 s[34:35], s[34:35], exec
	s_and_saveexec_b64 s[38:39], s[36:37]
	s_cbranch_execz .LBB4_13633
.LBB4_13637:                            ;   in Loop: Header=BB4_13634 Depth=3
	s_sleep 1
	s_trap 2
	ds_read_b64 v[6:7], v0
	s_waitcnt lgkmcnt(0)
	buffer_load_dword v8, off, s[0:3], s33 offset:72 ; 4-byte Folded Reload
	buffer_load_dword v9, off, s[0:3], s33 offset:76 ; 4-byte Folded Reload
	s_andn2_b64 s[34:35], s[34:35], exec
	s_waitcnt vmcnt(0)
	v_cmp_ge_u64_e32 vcc, v[6:7], v[8:9]
	s_orn2_b64 vcc, vcc, exec
	s_branch .LBB4_13633
.LBB4_13638:                            ;   in Loop: Header=BB4_13604 Depth=2
	s_or_b64 exec, exec, s[94:95]
	s_and_saveexec_b64 s[44:45], s[30:31]
	s_xor_b64 s[44:45], exec, s[44:45]
	s_cbranch_execz .LBB4_13640
; %bb.13639:                            ;   in Loop: Header=BB4_13604 Depth=2
	v_mov_b32_e32 v4, 1
	ds_write_b32 v0, v4
	s_trap 2
.LBB4_13640:                            ;   in Loop: Header=BB4_13604 Depth=2
	s_or_b64 exec, exec, s[92:93]
	;;#ASMSTART
	s_wakeup
	;;#ASMEND
.LBB4_13641:                            ;   in Loop: Header=BB4_13604 Depth=2
	s_or_b64 exec, exec, s[90:91]
.LBB4_13642:                            ;   in Loop: Header=BB4_13604 Depth=2
	s_andn2_saveexec_b64 s[42:43], s[42:43]
	s_cbranch_execz .LBB4_13644
; %bb.13643:                            ;   in Loop: Header=BB4_13604 Depth=2
	s_waitcnt vmcnt(0) lgkmcnt(0)
	buffer_wbinvl1_vol
	s_barrier
.LBB4_13644:                            ;   in Loop: Header=BB4_13604 Depth=2
	s_or_b64 exec, exec, s[42:43]
.LBB4_13645:                            ;   in Loop: Header=BB4_13604 Depth=2
	s_or_b64 exec, exec, s[26:27]
	v_sub_u32_e32 v4, v0, v2
	v_min_i32_e32 v1, v1, v4
	s_and_saveexec_b64 s[26:27], s[24:25]
	s_xor_b64 s[26:27], exec, s[26:27]
	s_cbranch_execz .LBB4_13649
; %bb.13646:                            ;   in Loop: Header=BB4_13604 Depth=2
	s_trap 2
	ds_read_b32 v4, v0
	v_cmp_lt_i32_e32 vcc, 0, v1
	s_waitcnt lgkmcnt(0)
	v_readfirstlane_b32 s42, v4
	s_cmp_eq_u32 s42, 0
	s_cselect_b64 s[42:43], -1, 0
	v_and_b32_e32 v4, 16, v19
	s_and_b64 s[42:43], vcc, s[42:43]
	v_cmp_ne_u32_e32 vcc, 0, v4
	s_and_b64 s[44:45], vcc, s[42:43]
	s_and_saveexec_b64 s[42:43], s[44:45]
	s_cbranch_execz .LBB4_13648
; %bb.13647:                            ;   in Loop: Header=BB4_13604 Depth=2
	s_waitcnt vmcnt(0)
	buffer_wbinvl1_vol
.LBB4_13648:                            ;   in Loop: Header=BB4_13604 Depth=2
	s_or_b64 exec, exec, s[42:43]
.LBB4_13649:                            ;   in Loop: Header=BB4_13604 Depth=2
	s_andn2_saveexec_b64 s[26:27], s[26:27]
	s_cbranch_execz .LBB4_13668
; %bb.13650:                            ;   in Loop: Header=BB4_13604 Depth=2
	s_and_saveexec_b64 s[42:43], s[58:59]
	s_xor_b64 s[42:43], exec, s[42:43]
	s_cbranch_execz .LBB4_13665
; %bb.13651:                            ;   in Loop: Header=BB4_13604 Depth=2
	s_and_saveexec_b64 s[90:91], s[16:17]
	s_cbranch_execz .LBB4_13664
; %bb.13652:                            ;   in Loop: Header=BB4_13604 Depth=2
	s_mov_b64 s[94:95], exec
	v_mbcnt_lo_u32_b32 v4, s94, 0
	v_mbcnt_hi_u32_b32 v4, s95, v4
	v_cmp_eq_u32_e32 vcc, 0, v4
	;;#ASMSTART
	s_waitcnt lgkmcnt(0) vmcnt(0)
	;;#ASMEND
	s_and_saveexec_b64 s[92:93], vcc
	s_cbranch_execz .LBB4_13654
; %bb.13653:                            ;   in Loop: Header=BB4_13604 Depth=2
	s_bcnt1_i32_b64 s44, s[94:95]
	v_mov_b32_e32 v6, s44
	v_mov_b32_e32 v7, v3
	s_waitcnt lgkmcnt(0)
	ds_add_u64 v0, v[6:7]
	s_trap 2
.LBB4_13654:                            ;   in Loop: Header=BB4_13604 Depth=2
	s_or_b64 exec, exec, s[92:93]
	s_trap 2
	ds_read_b64 v[6:7], v0
	s_waitcnt lgkmcnt(0)
	buffer_load_dword v8, off, s[0:3], s33 offset:72 ; 4-byte Folded Reload
	buffer_load_dword v9, off, s[0:3], s33 offset:76 ; 4-byte Folded Reload
	;; [unrolled: 1-line block ×3, first 2 shown]
	s_waitcnt vmcnt(0)
	v_add_co_u32_e32 v8, vcc, v8, v4
	v_addc_co_u32_e32 v9, vcc, 0, v9, vcc
	buffer_store_dword v8, off, s[0:3], s33 offset:72 ; 4-byte Folded Spill
	s_nop 0
	buffer_store_dword v9, off, s[0:3], s33 offset:76 ; 4-byte Folded Spill
	v_cmp_lt_u64_e32 vcc, v[6:7], v[8:9]
	s_and_saveexec_b64 s[92:93], vcc
	s_cbranch_execz .LBB4_13663
; %bb.13655:                            ;   in Loop: Header=BB4_13604 Depth=2
	s_mov_b32 s44, 0
	s_mov_b64 s[94:95], 0
                                        ; implicit-def: $sgpr30_sgpr31
                                        ; implicit-def: $sgpr34_sgpr35
	s_branch .LBB4_13657
.LBB4_13656:                            ;   in Loop: Header=BB4_13657 Depth=3
	s_or_b64 exec, exec, s[38:39]
	s_and_b64 vcc, exec, vcc
	s_or_b64 s[94:95], vcc, s[94:95]
	s_andn2_b64 vcc, s[30:31], exec
	s_and_b64 s[30:31], s[34:35], exec
	s_or_b64 s[30:31], vcc, s[30:31]
	s_andn2_b64 exec, exec, s[94:95]
	s_cbranch_execz .LBB4_13661
.LBB4_13657:                            ;   Parent Loop BB4_47 Depth=1
                                        ;     Parent Loop BB4_13604 Depth=2
                                        ; =>    This Inner Loop Header: Depth=3
	s_add_i32 s44, s44, 1
	s_cmpk_lg_i32 s44, 0x2710
	s_cselect_b64 s[36:37], -1, 0
	s_and_b64 vcc, exec, s[36:37]
	s_cbranch_vccz .LBB4_13659
; %bb.13658:                            ;   in Loop: Header=BB4_13657 Depth=3
	s_mov_b64 vcc, -1
	s_or_b64 s[34:35], s[34:35], exec
	s_and_saveexec_b64 s[38:39], s[36:37]
	s_cbranch_execz .LBB4_13656
	s_branch .LBB4_13660
.LBB4_13659:                            ;   in Loop: Header=BB4_13657 Depth=3
	s_trap 2
	ds_read_b64 v[6:7], v0
	s_andn2_b64 s[36:37], s[36:37], exec
	s_mov_b32 s44, 0
	s_waitcnt vmcnt(0) lgkmcnt(0)
	flat_load_dword v4, v[6:7] glc
	s_waitcnt vmcnt(0) lgkmcnt(0)
	buffer_wbinvl1_vol
	v_cmp_eq_u32_e32 vcc, 0, v4
	s_and_b64 vcc, vcc, exec
	s_or_b64 s[36:37], s[36:37], vcc
	s_mov_b64 vcc, -1
	s_or_b64 s[34:35], s[34:35], exec
	s_and_saveexec_b64 s[38:39], s[36:37]
	s_cbranch_execz .LBB4_13656
.LBB4_13660:                            ;   in Loop: Header=BB4_13657 Depth=3
	s_sleep 1
	s_trap 2
	ds_read_b64 v[6:7], v0
	s_waitcnt lgkmcnt(0)
	buffer_load_dword v8, off, s[0:3], s33 offset:72 ; 4-byte Folded Reload
	buffer_load_dword v9, off, s[0:3], s33 offset:76 ; 4-byte Folded Reload
	s_andn2_b64 s[34:35], s[34:35], exec
	s_waitcnt vmcnt(0)
	v_cmp_ge_u64_e32 vcc, v[6:7], v[8:9]
	s_orn2_b64 vcc, vcc, exec
	s_branch .LBB4_13656
.LBB4_13661:                            ;   in Loop: Header=BB4_13604 Depth=2
	s_or_b64 exec, exec, s[94:95]
	s_and_saveexec_b64 s[44:45], s[30:31]
	s_xor_b64 s[44:45], exec, s[44:45]
	s_cbranch_execz .LBB4_13663
; %bb.13662:                            ;   in Loop: Header=BB4_13604 Depth=2
	v_mov_b32_e32 v4, 1
	ds_write_b32 v0, v4
	s_trap 2
.LBB4_13663:                            ;   in Loop: Header=BB4_13604 Depth=2
	s_or_b64 exec, exec, s[92:93]
	;;#ASMSTART
	s_wakeup
	;;#ASMEND
.LBB4_13664:                            ;   in Loop: Header=BB4_13604 Depth=2
	s_or_b64 exec, exec, s[90:91]
.LBB4_13665:                            ;   in Loop: Header=BB4_13604 Depth=2
	s_andn2_saveexec_b64 s[42:43], s[42:43]
	s_cbranch_execz .LBB4_13667
; %bb.13666:                            ;   in Loop: Header=BB4_13604 Depth=2
	;;#ASMSTART
	s_waitcnt lgkmcnt(0) vmcnt(0)
	;;#ASMEND
	s_waitcnt vmcnt(0) lgkmcnt(0)
	s_barrier
.LBB4_13667:                            ;   in Loop: Header=BB4_13604 Depth=2
	s_or_b64 exec, exec, s[42:43]
.LBB4_13668:                            ;   in Loop: Header=BB4_13604 Depth=2
	s_or_b64 exec, exec, s[26:27]
	v_and_b32_e32 v4, 32, v19
	v_cmp_ne_u32_e32 vcc, 0, v4
	s_and_saveexec_b64 s[26:27], vcc
	s_cbranch_execz .LBB4_13603
; %bb.13669:                            ;   in Loop: Header=BB4_13604 Depth=2
	buffer_load_dword v8, off, s[0:3], s33 offset:80 ; 4-byte Folded Reload
	buffer_load_dword v9, off, s[0:3], s33 offset:84 ; 4-byte Folded Reload
	;; [unrolled: 1-line block ×4, first 2 shown]
	s_waitcnt vmcnt(0)
	v_add_co_u32_e32 v8, vcc, 2, v8
	v_addc_co_u32_e32 v9, vcc, 0, v9, vcc
	buffer_store_dword v8, off, s[0:3], s33 offset:80 ; 4-byte Folded Spill
	s_nop 0
	buffer_store_dword v9, off, s[0:3], s33 offset:84 ; 4-byte Folded Spill
	flat_store_dwordx2 v[6:7], v[8:9]
	s_branch .LBB4_13603
.LBB4_13670:
	s_or_b64 exec, exec, s[60:61]
	v_readlane_b32 s28, v62, 2
	v_readlane_b32 s29, v62, 3
.LBB4_13671:
	v_readlane_b32 s4, v62, 0
	v_readlane_b32 s5, v62, 1
	s_or_b64 exec, exec, s[4:5]
	v_and_b32_e32 v0, 0x800, v19
	v_cmp_eq_u32_e32 vcc, 0, v0
	s_and_saveexec_b64 s[6:7], vcc
	s_cbranch_execz .LBB4_13704
; %bb.13672:
	v_and_b32_e32 v0, 48, v19
	v_cmp_ne_u32_e32 vcc, 0, v0
	s_and_saveexec_b64 s[4:5], vcc
	s_cbranch_execz .LBB4_13674
; %bb.13673:
	buffer_load_dword v0, off, s[0:3], s33 offset:432 ; 4-byte Folded Reload
	buffer_load_dword v1, off, s[0:3], s33 offset:436 ; 4-byte Folded Reload
	;; [unrolled: 1-line block ×4, first 2 shown]
	s_waitcnt vmcnt(0)
	flat_store_dwordx2 v[0:1], v[2:3] offset:104
.LBB4_13674:
	s_or_b64 exec, exec, s[4:5]
	s_movk_i32 s4, 0x88
	v_and_b32_e32 v0, 0x88, v19
	v_cmp_eq_u32_e32 vcc, s4, v0
	s_and_saveexec_b64 s[10:11], vcc
	s_cbranch_execz .LBB4_13684
; %bb.13675:
	buffer_load_dword v0, off, s[0:3], s33 offset:80 ; 4-byte Folded Reload
	buffer_load_dword v1, off, s[0:3], s33 offset:84 ; 4-byte Folded Reload
	;; [unrolled: 1-line block ×6, first 2 shown]
	s_waitcnt vmcnt(0)
	v_and_b32_e32 v4, 64, v19
	s_mov_b32 s22, 0
	v_add_u32_e32 v0, 6, v0
	v_and_b32_e32 v0, 7, v0
	v_mad_u64_u32 v[2:3], s[4:5], v0, 24, v[1:2]
	v_cmp_eq_u32_e64 s[4:5], 0, v4
	flat_load_dwordx2 v[0:1], v[2:3] offset:8 glc
	s_waitcnt vmcnt(0) lgkmcnt(0)
	v_cmp_ne_u64_e32 vcc, -1, v[0:1]
	s_and_b64 s[4:5], vcc, s[4:5]
	s_and_b64 exec, exec, s[4:5]
	s_cbranch_execz .LBB4_13684
; %bb.13676:
	s_mov_b64 s[4:5], 0
                                        ; implicit-def: $sgpr12_sgpr13
                                        ; implicit-def: $sgpr14_sgpr15
	s_branch .LBB4_13679
.LBB4_13677:                            ;   in Loop: Header=BB4_13679 Depth=1
	flat_load_dwordx2 v[4:5], v[2:3] offset:8 glc
	s_waitcnt vmcnt(0)
	s_andn2_b64 s[14:15], s[14:15], exec
	s_waitcnt lgkmcnt(0)
	v_cmp_eq_u64_e32 vcc, -1, v[4:5]
	s_orn2_b64 s[18:19], vcc, exec
.LBB4_13678:                            ;   in Loop: Header=BB4_13679 Depth=1
	s_or_b64 exec, exec, s[20:21]
	s_and_b64 s[16:17], exec, s[18:19]
	s_or_b64 s[4:5], s[16:17], s[4:5]
	s_andn2_b64 s[12:13], s[12:13], exec
	s_and_b64 s[16:17], s[14:15], exec
	s_or_b64 s[12:13], s[12:13], s[16:17]
	s_andn2_b64 exec, exec, s[4:5]
	s_cbranch_execz .LBB4_13682
.LBB4_13679:                            ; =>This Inner Loop Header: Depth=1
	s_cmpk_lt_i32 s22, 0x270f
	s_cselect_b64 s[16:17], -1, 0
	s_and_b64 vcc, exec, s[16:17]
	s_cbranch_vccnz .LBB4_13681
; %bb.13680:                            ;   in Loop: Header=BB4_13679 Depth=1
	s_trap 2
	ds_read_b64 v[0:1], v0
	s_andn2_b64 s[16:17], s[16:17], exec
	s_mov_b32 s22, 0
	s_waitcnt lgkmcnt(0)
	flat_load_dword v0, v[0:1] glc
	s_waitcnt vmcnt(0) lgkmcnt(0)
	buffer_wbinvl1_vol
	v_cmp_eq_u32_e32 vcc, 0, v0
	s_and_b64 s[18:19], vcc, exec
	s_or_b64 s[16:17], s[16:17], s[18:19]
	s_mov_b64 s[18:19], -1
	s_or_b64 s[14:15], s[14:15], exec
	s_and_saveexec_b64 s[20:21], s[16:17]
	s_cbranch_execz .LBB4_13678
	s_branch .LBB4_13677
.LBB4_13681:                            ;   in Loop: Header=BB4_13679 Depth=1
	s_add_i32 s22, s22, 1
                                        ; implicit-def: $vgpr0
	s_mov_b64 s[18:19], -1
	s_or_b64 s[14:15], s[14:15], exec
	s_and_saveexec_b64 s[20:21], s[16:17]
	s_cbranch_execz .LBB4_13678
	s_branch .LBB4_13677
.LBB4_13682:
	s_or_b64 exec, exec, s[4:5]
	s_and_saveexec_b64 s[4:5], s[12:13]
	s_xor_b64 s[4:5], exec, s[4:5]
	s_cbranch_execz .LBB4_13684
; %bb.13683:
	ds_write_b32 v0, v0
	s_trap 2
.LBB4_13684:
	s_or_b64 exec, exec, s[10:11]
	v_and_b32_e32 v0, 0x2000, v19
	v_cmp_ne_u32_e32 vcc, 0, v0
	s_and_saveexec_b64 s[4:5], vcc
	s_cbranch_execz .LBB4_13686
; %bb.13685:
	s_trap 2
	ds_read_b64 v[0:1], v0
	buffer_load_dword v2, off, s[0:3], s33 offset:448 ; 4-byte Folded Reload
	buffer_load_dword v3, off, s[0:3], s33 offset:452 ; 4-byte Folded Reload
	s_waitcnt vmcnt(0) lgkmcnt(0)
	flat_store_dwordx2 v[2:3], v[0:1] offset:16
.LBB4_13686:
	s_or_b64 exec, exec, s[4:5]
	buffer_load_dword v0, off, s[0:3], s33 offset:428 ; 4-byte Folded Reload
	s_waitcnt vmcnt(0)
	v_cmp_ne_u32_e32 vcc, 64, v0
	s_and_b64 exec, exec, vcc
	s_cbranch_execz .LBB4_13704
; %bb.13687:
	buffer_load_dword v0, off, s[0:3], s33 offset:428 ; 4-byte Folded Reload
	buffer_load_dword v1, off, s[0:3], s33 offset:444 ; 4-byte Folded Reload
	s_waitcnt vmcnt(0)
	v_cmp_ne_u32_sdwa s[4:5], v0, v1 src0_sel:DWORD src1_sel:WORD_0
	s_and_saveexec_b64 s[10:11], s[4:5]
	s_xor_b64 s[4:5], exec, s[10:11]
	s_cbranch_execz .LBB4_13702
; %bb.13688:
	buffer_load_dword v0, off, s[0:3], s33 offset:440 ; 4-byte Folded Reload
	s_waitcnt vmcnt(0)
	v_and_b32_e32 v0, 63, v0
	v_cmp_eq_u32_e32 vcc, 0, v0
	s_and_saveexec_b64 s[10:11], vcc
	s_cbranch_execz .LBB4_13701
; %bb.13689:
	s_mov_b64 s[14:15], exec
	v_mbcnt_lo_u32_b32 v0, s14, 0
	v_mbcnt_hi_u32_b32 v0, s15, v0
	v_cmp_eq_u32_e32 vcc, 0, v0
	s_waitcnt lgkmcnt(0)
	buffer_wbinvl1_vol
	s_and_saveexec_b64 s[12:13], vcc
	s_cbranch_execz .LBB4_13691
; %bb.13690:
	s_bcnt1_i32_b64 s14, s[14:15]
	v_mov_b32_e32 v0, s14
	v_mov_b32_e32 v1, 0
	ds_add_u64 v0, v[0:1]
	s_trap 2
.LBB4_13691:
	s_or_b64 exec, exec, s[12:13]
	buffer_load_dword v0, off, s[0:3], s33 offset:428 ; 4-byte Folded Reload
	s_trap 2
	s_waitcnt vmcnt(0)
	v_lshrrev_b32_e32 v0, 6, v0
	ds_read_b64 v[2:3], v0
	s_waitcnt lgkmcnt(0)
	buffer_load_dword v4, off, s[0:3], s33 offset:72 ; 4-byte Folded Reload
	buffer_load_dword v5, off, s[0:3], s33 offset:76 ; 4-byte Folded Reload
	s_waitcnt vmcnt(1)
	v_add_co_u32_e32 v0, vcc, v4, v0
	s_waitcnt vmcnt(0)
	v_addc_co_u32_e32 v1, vcc, 0, v5, vcc
	v_cmp_lt_u64_e32 vcc, v[2:3], v[0:1]
	s_and_saveexec_b64 s[12:13], vcc
	s_cbranch_execz .LBB4_13700
; %bb.13692:
	s_mov_b32 s26, 0
	s_mov_b64 s[14:15], 0
                                        ; implicit-def: $sgpr16_sgpr17
                                        ; implicit-def: $sgpr18_sgpr19
	s_branch .LBB4_13694
.LBB4_13693:                            ;   in Loop: Header=BB4_13694 Depth=1
	s_or_b64 exec, exec, s[22:23]
	s_and_b64 s[20:21], exec, s[24:25]
	s_or_b64 s[14:15], s[20:21], s[14:15]
	s_andn2_b64 s[16:17], s[16:17], exec
	s_and_b64 s[20:21], s[18:19], exec
	s_or_b64 s[16:17], s[16:17], s[20:21]
	s_andn2_b64 exec, exec, s[14:15]
	s_cbranch_execz .LBB4_13698
.LBB4_13694:                            ; =>This Inner Loop Header: Depth=1
	s_add_i32 s26, s26, 1
	s_cmpk_lg_i32 s26, 0x2710
	s_cselect_b64 s[20:21], -1, 0
	s_and_b64 vcc, exec, s[20:21]
	s_cbranch_vccz .LBB4_13696
; %bb.13695:                            ;   in Loop: Header=BB4_13694 Depth=1
	s_mov_b64 s[24:25], -1
	s_or_b64 s[18:19], s[18:19], exec
	s_and_saveexec_b64 s[22:23], s[20:21]
	s_cbranch_execz .LBB4_13693
	s_branch .LBB4_13697
.LBB4_13696:                            ;   in Loop: Header=BB4_13694 Depth=1
	s_trap 2
	ds_read_b64 v[2:3], v0
	s_andn2_b64 s[20:21], s[20:21], exec
	s_mov_b32 s26, 0
	s_waitcnt lgkmcnt(0)
	flat_load_dword v2, v[2:3] glc
	s_waitcnt vmcnt(0) lgkmcnt(0)
	buffer_wbinvl1_vol
	v_cmp_eq_u32_e32 vcc, 0, v2
	s_and_b64 s[22:23], vcc, exec
	s_or_b64 s[20:21], s[20:21], s[22:23]
	s_mov_b64 s[24:25], -1
	s_or_b64 s[18:19], s[18:19], exec
	s_and_saveexec_b64 s[22:23], s[20:21]
	s_cbranch_execz .LBB4_13693
.LBB4_13697:                            ;   in Loop: Header=BB4_13694 Depth=1
	s_sleep 1
	s_trap 2
	ds_read_b64 v[2:3], v0
	s_waitcnt lgkmcnt(0)
	s_andn2_b64 s[18:19], s[18:19], exec
	v_cmp_ge_u64_e32 vcc, v[2:3], v[0:1]
	s_orn2_b64 s[24:25], vcc, exec
	s_branch .LBB4_13693
.LBB4_13698:
	s_or_b64 exec, exec, s[14:15]
	s_and_saveexec_b64 s[14:15], s[16:17]
	s_xor_b64 s[14:15], exec, s[14:15]
	s_cbranch_execz .LBB4_13700
; %bb.13699:
	v_mov_b32_e32 v0, 1
	ds_write_b32 v0, v0
	s_trap 2
.LBB4_13700:
	s_or_b64 exec, exec, s[12:13]
	;;#ASMSTART
	s_wakeup
	;;#ASMEND
.LBB4_13701:
	s_or_b64 exec, exec, s[10:11]
.LBB4_13702:
	s_andn2_saveexec_b64 s[4:5], s[4:5]
	s_cbranch_execz .LBB4_13704
; %bb.13703:
	s_waitcnt lgkmcnt(0)
	buffer_wbinvl1_vol
	s_barrier
.LBB4_13704:
	s_or_b64 exec, exec, s[6:7]
.LBB4_13705:
	s_andn2_saveexec_b64 s[26:27], s[28:29]
	s_cbranch_execz .LBB4_13707
; %bb.13706:
	s_getpc_b64 s[4:5]
	s_add_u32 s4, s4, __PRETTY_FUNCTION__._ZN10PrimitivesI14__hip_fp8_e4m313FuncPreMulSumIS0_E12FanSymmetricILi1EELi0E11ProtoSimpleILi2ELi2ELi0ELi2ELi0ELi0EELi0ELb0ELi0ELi0ELi0EEC2EiiPKiS9_PKvPvmhhhP15ncclDevWorkCollP14ncclDevWorkP2pii@rel32@lo+4
	s_addc_u32 s5, s5, __PRETTY_FUNCTION__._ZN10PrimitivesI14__hip_fp8_e4m313FuncPreMulSumIS0_E12FanSymmetricILi1EELi0E11ProtoSimpleILi2ELi2ELi0ELi2ELi0ELi0EELi0ELb0ELi0ELi0ELi0EEC2EiiPKiS9_PKvPvmhhhP15ncclDevWorkCollP14ncclDevWorkP2pii@rel32@hi+12
	s_getpc_b64 s[6:7]
	s_add_u32 s6, s6, __assert_fail@rel32@lo+4
	s_addc_u32 s7, s7, __assert_fail@rel32@hi+12
	v_mov_b32_e32 v0, s4
	v_mov_b32_e32 v1, s5
	s_swappc_b64 s[30:31], s[6:7]
	; divergent unreachable
.LBB4_13707:
	s_or_b64 exec, exec, s[26:27]
	buffer_load_dword v61, off, s[0:3], s33 ; 4-byte Folded Reload
	buffer_load_dword v60, off, s[0:3], s33 offset:4 ; 4-byte Folded Reload
	buffer_load_dword v59, off, s[0:3], s33 offset:8 ; 4-byte Folded Reload
	buffer_load_dword v58, off, s[0:3], s33 offset:12 ; 4-byte Folded Reload
	buffer_load_dword v57, off, s[0:3], s33 offset:16 ; 4-byte Folded Reload
	buffer_load_dword v56, off, s[0:3], s33 offset:20 ; 4-byte Folded Reload
	buffer_load_dword v47, off, s[0:3], s33 offset:24 ; 4-byte Folded Reload
	buffer_load_dword v46, off, s[0:3], s33 offset:28 ; 4-byte Folded Reload
	buffer_load_dword v45, off, s[0:3], s33 offset:32 ; 4-byte Folded Reload
	buffer_load_dword v44, off, s[0:3], s33 offset:36 ; 4-byte Folded Reload
	buffer_load_dword v43, off, s[0:3], s33 offset:40 ; 4-byte Folded Reload
	buffer_load_dword v42, off, s[0:3], s33 offset:44 ; 4-byte Folded Reload
	buffer_load_dword v41, off, s[0:3], s33 offset:48 ; 4-byte Folded Reload
	buffer_load_dword v40, off, s[0:3], s33 offset:52 ; 4-byte Folded Reload
	v_readlane_b32 s30, v63, 32
	v_readlane_b32 s31, v63, 33
	;; [unrolled: 1-line block ×34, first 2 shown]
	s_mov_b32 s32, s33
	v_readlane_b32 s4, v63, 34
	s_or_saveexec_b64 s[6:7], -1
	buffer_load_dword v63, off, s[0:3], s33 offset:456 ; 4-byte Folded Reload
	buffer_load_dword v62, off, s[0:3], s33 offset:460 ; 4-byte Folded Reload
	s_mov_b64 exec, s[6:7]
	s_mov_b32 s33, s4
	s_waitcnt vmcnt(0) lgkmcnt(0)
	s_setpc_b64 s[30:31]
.Lfunc_end4:
	.size	_ZN12_GLOBAL__N_17runRingI14__hip_fp8_e4m313FuncPreMulSumIS1_E11ProtoSimpleILi2ELi2ELi0ELi2ELi0ELi0EELi0ELi0ELi2ELi0EEEviiP15ncclDevWorkColl, .Lfunc_end4-_ZN12_GLOBAL__N_17runRingI14__hip_fp8_e4m313FuncPreMulSumIS1_E11ProtoSimpleILi2ELi2ELi0ELi2ELi0ELi0EELi0ELi0ELi2ELi0EEEviiP15ncclDevWorkColl
                                        ; -- End function
	.set .L_ZN12_GLOBAL__N_17runRingI14__hip_fp8_e4m313FuncPreMulSumIS1_E11ProtoSimpleILi2ELi2ELi0ELi2ELi0ELi0EELi0ELi0ELi2ELi0EEEviiP15ncclDevWorkColl.num_vgpr, max(64, .L__assert_fail.num_vgpr)
	.set .L_ZN12_GLOBAL__N_17runRingI14__hip_fp8_e4m313FuncPreMulSumIS1_E11ProtoSimpleILi2ELi2ELi0ELi2ELi0ELi0EELi0ELi0ELi2ELi0EEEviiP15ncclDevWorkColl.num_agpr, max(0, .L__assert_fail.num_agpr)
	.set .L_ZN12_GLOBAL__N_17runRingI14__hip_fp8_e4m313FuncPreMulSumIS1_E11ProtoSimpleILi2ELi2ELi0ELi2ELi0ELi0EELi0ELi0ELi2ELi0EEEviiP15ncclDevWorkColl.numbered_sgpr, max(100, .L__assert_fail.numbered_sgpr)
	.set .L_ZN12_GLOBAL__N_17runRingI14__hip_fp8_e4m313FuncPreMulSumIS1_E11ProtoSimpleILi2ELi2ELi0ELi2ELi0ELi0EELi0ELi0ELi2ELi0EEEviiP15ncclDevWorkColl.num_named_barrier, max(0, .L__assert_fail.num_named_barrier)
	.set .L_ZN12_GLOBAL__N_17runRingI14__hip_fp8_e4m313FuncPreMulSumIS1_E11ProtoSimpleILi2ELi2ELi0ELi2ELi0ELi0EELi0ELi0ELi2ELi0EEEviiP15ncclDevWorkColl.private_seg_size, 480+max(.L__assert_fail.private_seg_size)
	.set .L_ZN12_GLOBAL__N_17runRingI14__hip_fp8_e4m313FuncPreMulSumIS1_E11ProtoSimpleILi2ELi2ELi0ELi2ELi0ELi0EELi0ELi0ELi2ELi0EEEviiP15ncclDevWorkColl.uses_vcc, or(1, .L__assert_fail.uses_vcc)
	.set .L_ZN12_GLOBAL__N_17runRingI14__hip_fp8_e4m313FuncPreMulSumIS1_E11ProtoSimpleILi2ELi2ELi0ELi2ELi0ELi0EELi0ELi0ELi2ELi0EEEviiP15ncclDevWorkColl.uses_flat_scratch, or(0, .L__assert_fail.uses_flat_scratch)
	.set .L_ZN12_GLOBAL__N_17runRingI14__hip_fp8_e4m313FuncPreMulSumIS1_E11ProtoSimpleILi2ELi2ELi0ELi2ELi0ELi0EELi0ELi0ELi2ELi0EEEviiP15ncclDevWorkColl.has_dyn_sized_stack, or(0, .L__assert_fail.has_dyn_sized_stack)
	.set .L_ZN12_GLOBAL__N_17runRingI14__hip_fp8_e4m313FuncPreMulSumIS1_E11ProtoSimpleILi2ELi2ELi0ELi2ELi0ELi0EELi0ELi0ELi2ELi0EEEviiP15ncclDevWorkColl.has_recursion, or(1, .L__assert_fail.has_recursion)
	.set .L_ZN12_GLOBAL__N_17runRingI14__hip_fp8_e4m313FuncPreMulSumIS1_E11ProtoSimpleILi2ELi2ELi0ELi2ELi0ELi0EELi0ELi0ELi2ELi0EEEviiP15ncclDevWorkColl.has_indirect_call, or(0, .L__assert_fail.has_indirect_call)
	.section	.AMDGPU.csdata,"",@progbits
; Function info:
; codeLenInByte = 393124
; TotalNumSgprs: 104
; NumVgprs: 64
; ScratchSize: 544
; MemoryBound: 1
	.text
	.p2align	2                               ; -- Begin function _Z56ncclDevFunc_AllReduce_RING_SIMPLE_PreMulSum_f8e4m3_0_0_2v
	.type	_Z56ncclDevFunc_AllReduce_RING_SIMPLE_PreMulSum_f8e4m3_0_0_2v,@function
_Z56ncclDevFunc_AllReduce_RING_SIMPLE_PreMulSum_f8e4m3_0_0_2v: ; @_Z56ncclDevFunc_AllReduce_RING_SIMPLE_PreMulSum_f8e4m3_0_0_2v
; %bb.0:
	s_waitcnt vmcnt(0) expcnt(0) lgkmcnt(0)
	s_mov_b32 s4, s33
	s_mov_b32 s33, s32
	s_or_saveexec_b64 s[6:7], -1
	buffer_store_dword v43, off, s[0:3], s33 offset:20 ; 4-byte Folded Spill
	buffer_store_dword v44, off, s[0:3], s33 offset:24 ; 4-byte Folded Spill
	s_mov_b64 exec, s[6:7]
	v_writelane_b32 v44, s4, 38
	v_writelane_b32 v44, s100, 36
	;; [unrolled: 1-line block ×3, first 2 shown]
	s_addk_i32 s32, 0x800
	buffer_store_dword v40, off, s[0:3], s33 offset:12 ; 4-byte Folded Spill
	buffer_store_dword v41, off, s[0:3], s33 offset:8 ; 4-byte Folded Spill
	;; [unrolled: 1-line block ×3, first 2 shown]
	buffer_store_dword v62, off, s[0:3], s33 ; 4-byte Folded Spill
	v_writelane_b32 v44, s34, 0
	v_writelane_b32 v44, s35, 1
	;; [unrolled: 1-line block ×36, first 2 shown]
	s_trap 2
	ds_read_b32 v0, v0
	v_mov_b32_e32 v40, v31
                                        ; implicit-def: $vgpr43 : SGPR spill to VGPR lane
	v_and_b32_e32 v41, 0x3ff, v40
	v_writelane_b32 v43, s12, 0
	v_writelane_b32 v43, s8, 1
	s_waitcnt lgkmcnt(0)
	v_cmp_lt_i32_e32 vcc, v41, v0
	v_writelane_b32 v43, s9, 2
	s_and_saveexec_b64 s[4:5], vcc
	s_cbranch_execz .LBB5_5
; %bb.1:
	v_readlane_b32 s8, v43, 1
	v_readlane_b32 s9, v43, 2
	s_load_dword s6, s[8:9], 0x0
	v_readlane_b32 s7, v43, 0
	v_mov_b32_e32 v1, 0
	s_mov_b32 s10, 0
	v_mov_b32_e32 v4, v41
	s_waitcnt lgkmcnt(0)
	s_cmp_lt_u32 s7, s6
	s_cselect_b32 s6, 12, 18
	s_add_u32 s6, s8, s6
	s_addc_u32 s7, s9, 0
	global_load_ushort v1, v1, s[6:7]
	s_trap 2
	ds_read_b32 v2, v0
	s_mov_b64 s[6:7], 0
                                        ; implicit-def: $vgpr3
	s_waitcnt vmcnt(0) lgkmcnt(0)
	v_mul_lo_u32 v2, v2, v1
	s_branch .LBB5_3
.LBB5_2:                                ;   in Loop: Header=BB5_3 Depth=1
	s_or_b64 exec, exec, s[8:9]
	v_add_u32_e32 v4, v4, v1
	v_cmp_ge_i32_e32 vcc, v4, v0
	s_or_b64 s[6:7], vcc, s[6:7]
	v_add_u32_e32 v3, v3, v2
	s_andn2_b64 exec, exec, s[6:7]
	s_cbranch_execz .LBB5_5
.LBB5_3:                                ; =>This Inner Loop Header: Depth=1
	ds_read_b32 v5, v3
	s_waitcnt lgkmcnt(0)
	v_and_b32_e32 v5, 0x1000000, v5
	v_cmp_ne_u32_e32 vcc, 0, v5
	s_and_saveexec_b64 s[8:9], vcc
	s_cbranch_execz .LBB5_2
; %bb.4:                                ;   in Loop: Header=BB5_3 Depth=1
	ds_read_b64 v[5:6], v3 offset:104
	s_waitcnt lgkmcnt(0)
	flat_load_ubyte v5, v[5:6]
	v_mov_b32_e32 v6, s10
	s_waitcnt vmcnt(0) lgkmcnt(0)
	v_and_b32_e32 v5, 0xffff, v5
	ds_write_b64 v3, v[5:6] offset:104
	s_branch .LBB5_2
.LBB5_5:
	s_or_b64 exec, exec, s[4:5]
	s_waitcnt vmcnt(0) lgkmcnt(0)
	s_barrier
	s_trap 2
	ds_read_b32 v0, v0
	s_waitcnt lgkmcnt(0)
	v_cmp_gt_i32_e32 vcc, 1, v0
	s_cbranch_vccnz .LBB5_13
; %bb.6:
	s_mov_b32 s6, 0
	v_mov_b32_e32 v42, 6
	s_branch .LBB5_8
.LBB5_7:                                ;   in Loop: Header=BB5_8 Depth=1
	s_or_b64 exec, exec, s[8:9]
	s_trap 2
	ds_read_b32 v0, v0
	s_add_i32 s6, s6, 1
	s_waitcnt lgkmcnt(0)
	v_cmp_lt_i32_e32 vcc, s6, v0
	s_cbranch_vccz .LBB5_13
.LBB5_8:                                ; =>This Inner Loop Header: Depth=1
	s_trap 2
	ds_read_b32 v0, v0
	s_cmp_eq_u32 s6, 0
	s_cbranch_scc1 .LBB5_11
; %bb.9:                                ;   in Loop: Header=BB5_8 Depth=1
	s_trap 2
	s_waitcnt lgkmcnt(0)
	ds_read_b32 v1, v0
	s_waitcnt lgkmcnt(0)
	v_xor_b32_e32 v1, v1, v0
	v_and_b32_e32 v1, 0xff0000, v1
	v_cmp_eq_u32_e32 vcc, 0, v1
	s_cbranch_vccnz .LBB5_11
; %bb.10:                               ;   in Loop: Header=BB5_8 Depth=1
	s_barrier
	ds_read_b32 v0, v0
.LBB5_11:                               ;   in Loop: Header=BB5_8 Depth=1
	s_waitcnt lgkmcnt(0)
	v_lshlrev_b32_sdwa v1, v42, v0 dst_sel:DWORD dst_unused:UNUSED_PAD src0_sel:DWORD src1_sel:BYTE_2
	v_cmp_lt_u32_e32 vcc, v41, v1
	s_and_saveexec_b64 s[8:9], vcc
	s_cbranch_execz .LBB5_7
; %bb.12:                               ;   in Loop: Header=BB5_8 Depth=1
	v_writelane_b32 v43, s6, 3
	v_writelane_b32 v43, s8, 4
	s_mov_b64 s[4:5], src_shared_base
	s_getpc_b64 s[6:7]
	s_add_u32 s6, s6, _ZN12_GLOBAL__N_17runRingI14__hip_fp8_e4m313FuncPreMulSumIS1_E11ProtoSimpleILi2ELi2ELi0ELi2ELi0ELi0EELi0ELi0ELi2ELi0EEEviiP15ncclDevWorkColl@rel32@lo+4
	s_addc_u32 s7, s7, _ZN12_GLOBAL__N_17runRingI14__hip_fp8_e4m313FuncPreMulSumIS1_E11ProtoSimpleILi2ELi2ELi0ELi2ELi0ELi0EELi0ELi0ELi2ELi0EEEviiP15ncclDevWorkColl@rel32@hi+12
	v_writelane_b32 v43, s9, 5
	s_or_saveexec_b64 s[100:101], -1
	buffer_store_dword v43, off, s[0:3], s33 offset:16 ; 4-byte Folded Spill
	s_mov_b64 exec, s[100:101]
	v_readlane_b32 s8, v43, 1
	v_readlane_b32 s9, v43, 2
	;; [unrolled: 1-line block ×3, first 2 shown]
	v_mov_b32_e32 v31, v40
	v_mov_b32_e32 v0, v41
	;; [unrolled: 1-line block ×3, first 2 shown]
	s_swappc_b64 s[30:31], s[6:7]
	s_or_saveexec_b64 s[100:101], -1
	buffer_load_dword v43, off, s[0:3], s33 offset:16 ; 4-byte Folded Reload
	s_mov_b64 exec, s[100:101]
	s_waitcnt vmcnt(0)
	v_readlane_b32 s8, v43, 4
	v_readlane_b32 s9, v43, 5
	;; [unrolled: 1-line block ×3, first 2 shown]
	s_branch .LBB5_7
.LBB5_13:
	buffer_load_dword v62, off, s[0:3], s33 ; 4-byte Folded Reload
	buffer_load_dword v42, off, s[0:3], s33 offset:4 ; 4-byte Folded Reload
	buffer_load_dword v41, off, s[0:3], s33 offset:8 ; 4-byte Folded Reload
	;; [unrolled: 1-line block ×3, first 2 shown]
	v_readlane_b32 s30, v44, 34
	v_readlane_b32 s31, v44, 35
	;; [unrolled: 1-line block ×36, first 2 shown]
	s_mov_b32 s32, s33
	v_readlane_b32 s4, v44, 38
	v_readlane_b32 s100, v44, 36
	v_readlane_b32 s101, v44, 37
	s_or_saveexec_b64 s[6:7], -1
	buffer_load_dword v43, off, s[0:3], s33 offset:20 ; 4-byte Folded Reload
	buffer_load_dword v44, off, s[0:3], s33 offset:24 ; 4-byte Folded Reload
	s_mov_b64 exec, s[6:7]
	s_mov_b32 s33, s4
	s_waitcnt vmcnt(0)
	s_setpc_b64 s[30:31]
.Lfunc_end5:
	.size	_Z56ncclDevFunc_AllReduce_RING_SIMPLE_PreMulSum_f8e4m3_0_0_2v, .Lfunc_end5-_Z56ncclDevFunc_AllReduce_RING_SIMPLE_PreMulSum_f8e4m3_0_0_2v
                                        ; -- End function
	.set .L_Z56ncclDevFunc_AllReduce_RING_SIMPLE_PreMulSum_f8e4m3_0_0_2v.num_vgpr, max(63, .L_ZN12_GLOBAL__N_17runRingI14__hip_fp8_e4m313FuncPreMulSumIS1_E11ProtoSimpleILi2ELi2ELi0ELi2ELi0ELi0EELi0ELi0ELi2ELi0EEEviiP15ncclDevWorkColl.num_vgpr)
	.set .L_Z56ncclDevFunc_AllReduce_RING_SIMPLE_PreMulSum_f8e4m3_0_0_2v.num_agpr, max(0, .L_ZN12_GLOBAL__N_17runRingI14__hip_fp8_e4m313FuncPreMulSumIS1_E11ProtoSimpleILi2ELi2ELi0ELi2ELi0ELi0EELi0ELi0ELi2ELi0EEEviiP15ncclDevWorkColl.num_agpr)
	.set .L_Z56ncclDevFunc_AllReduce_RING_SIMPLE_PreMulSum_f8e4m3_0_0_2v.numbered_sgpr, max(102, .L_ZN12_GLOBAL__N_17runRingI14__hip_fp8_e4m313FuncPreMulSumIS1_E11ProtoSimpleILi2ELi2ELi0ELi2ELi0ELi0EELi0ELi0ELi2ELi0EEEviiP15ncclDevWorkColl.numbered_sgpr)
	.set .L_Z56ncclDevFunc_AllReduce_RING_SIMPLE_PreMulSum_f8e4m3_0_0_2v.num_named_barrier, max(0, .L_ZN12_GLOBAL__N_17runRingI14__hip_fp8_e4m313FuncPreMulSumIS1_E11ProtoSimpleILi2ELi2ELi0ELi2ELi0ELi0EELi0ELi0ELi2ELi0EEEviiP15ncclDevWorkColl.num_named_barrier)
	.set .L_Z56ncclDevFunc_AllReduce_RING_SIMPLE_PreMulSum_f8e4m3_0_0_2v.private_seg_size, 32+max(.L_ZN12_GLOBAL__N_17runRingI14__hip_fp8_e4m313FuncPreMulSumIS1_E11ProtoSimpleILi2ELi2ELi0ELi2ELi0ELi0EELi0ELi0ELi2ELi0EEEviiP15ncclDevWorkColl.private_seg_size)
	.set .L_Z56ncclDevFunc_AllReduce_RING_SIMPLE_PreMulSum_f8e4m3_0_0_2v.uses_vcc, or(1, .L_ZN12_GLOBAL__N_17runRingI14__hip_fp8_e4m313FuncPreMulSumIS1_E11ProtoSimpleILi2ELi2ELi0ELi2ELi0ELi0EELi0ELi0ELi2ELi0EEEviiP15ncclDevWorkColl.uses_vcc)
	.set .L_Z56ncclDevFunc_AllReduce_RING_SIMPLE_PreMulSum_f8e4m3_0_0_2v.uses_flat_scratch, or(0, .L_ZN12_GLOBAL__N_17runRingI14__hip_fp8_e4m313FuncPreMulSumIS1_E11ProtoSimpleILi2ELi2ELi0ELi2ELi0ELi0EELi0ELi0ELi2ELi0EEEviiP15ncclDevWorkColl.uses_flat_scratch)
	.set .L_Z56ncclDevFunc_AllReduce_RING_SIMPLE_PreMulSum_f8e4m3_0_0_2v.has_dyn_sized_stack, or(0, .L_ZN12_GLOBAL__N_17runRingI14__hip_fp8_e4m313FuncPreMulSumIS1_E11ProtoSimpleILi2ELi2ELi0ELi2ELi0ELi0EELi0ELi0ELi2ELi0EEEviiP15ncclDevWorkColl.has_dyn_sized_stack)
	.set .L_Z56ncclDevFunc_AllReduce_RING_SIMPLE_PreMulSum_f8e4m3_0_0_2v.has_recursion, or(1, .L_ZN12_GLOBAL__N_17runRingI14__hip_fp8_e4m313FuncPreMulSumIS1_E11ProtoSimpleILi2ELi2ELi0ELi2ELi0ELi0EELi0ELi0ELi2ELi0EEEviiP15ncclDevWorkColl.has_recursion)
	.set .L_Z56ncclDevFunc_AllReduce_RING_SIMPLE_PreMulSum_f8e4m3_0_0_2v.has_indirect_call, or(0, .L_ZN12_GLOBAL__N_17runRingI14__hip_fp8_e4m313FuncPreMulSumIS1_E11ProtoSimpleILi2ELi2ELi0ELi2ELi0ELi0EELi0ELi0ELi2ELi0EEEviiP15ncclDevWorkColl.has_indirect_call)
	.section	.AMDGPU.csdata,"",@progbits
; Function info:
; codeLenInByte = 1372
; TotalNumSgprs: 106
; NumVgprs: 64
; ScratchSize: 576
; MemoryBound: 0
	.text
	.p2align	2                               ; -- Begin function _ZN12_GLOBAL__N_17runRingI14__hip_fp8_e4m313FuncPreMulSumIS1_E11ProtoSimpleILi2ELi2ELi0ELi4ELi0ELi0EELi0ELi0ELi4ELi0EEEviiP15ncclDevWorkColl
	.type	_ZN12_GLOBAL__N_17runRingI14__hip_fp8_e4m313FuncPreMulSumIS1_E11ProtoSimpleILi2ELi2ELi0ELi4ELi0ELi0EELi0ELi0ELi4ELi0EEEviiP15ncclDevWorkColl,@function
_ZN12_GLOBAL__N_17runRingI14__hip_fp8_e4m313FuncPreMulSumIS1_E11ProtoSimpleILi2ELi2ELi0ELi4ELi0ELi0EELi0ELi0ELi4ELi0EEEviiP15ncclDevWorkColl: ; @_ZN12_GLOBAL__N_17runRingI14__hip_fp8_e4m313FuncPreMulSumIS1_E11ProtoSimpleILi2ELi2ELi0ELi4ELi0ELi0EELi0ELi0ELi4ELi0EEEviiP15ncclDevWorkColl
; %bb.0:
	s_waitcnt vmcnt(0) expcnt(0) lgkmcnt(0)
	s_mov_b32 s4, s33
	s_mov_b32 s33, s32
	s_or_saveexec_b64 s[6:7], -1
	buffer_store_dword v63, off, s[0:3], s33 offset:704 ; 4-byte Folded Spill
	buffer_store_dword v62, off, s[0:3], s33 offset:708 ; 4-byte Folded Spill
	s_mov_b64 exec, s[6:7]
	v_writelane_b32 v63, s4, 34
	s_add_i32 s32, s32, 0xb400
	buffer_store_dword v40, off, s[0:3], s33 offset:52 ; 4-byte Folded Spill
	buffer_store_dword v41, off, s[0:3], s33 offset:48 ; 4-byte Folded Spill
	;; [unrolled: 1-line block ×13, first 2 shown]
	buffer_store_dword v61, off, s[0:3], s33 ; 4-byte Folded Spill
	v_writelane_b32 v63, s34, 0
	v_writelane_b32 v63, s35, 1
	;; [unrolled: 1-line block ×34, first 2 shown]
	v_mov_b32_e32 v19, v1
	buffer_store_dword v0, off, s[0:3], s33 offset:392 ; 4-byte Folded Spill
	s_trap 2
	flat_load_dword v1, v[2:3]
	ds_read_b32 v4, v0
                                        ; implicit-def: $vgpr5_vgpr6
	s_mov_b64 s[28:29], s[8:9]
                                        ; kill: killed $vgpr5_vgpr6
                                        ; implicit-def: $vgpr5_vgpr6
                                        ; implicit-def: $vgpr14_vgpr15
	buffer_store_dword v5, off, s[0:3], s33 offset:644 ; 4-byte Folded Spill
	s_nop 0
	buffer_store_dword v6, off, s[0:3], s33 offset:648 ; 4-byte Folded Spill
	buffer_store_dword v7, off, s[0:3], s33 offset:652 ; 4-byte Folded Spill
	;; [unrolled: 1-line block ×3, first 2 shown]
	s_waitcnt lgkmcnt(0)
	v_readfirstlane_b32 s66, v4
	s_waitcnt vmcnt(0)
	v_cmp_ne_u32_sdwa s[4:5], v4, v1 src0_sel:DWORD src1_sel:BYTE_0
	s_and_saveexec_b64 s[6:7], s[4:5]
	s_xor_b64 s[4:5], exec, s[6:7]
	s_cbranch_execz .LBB6_6
; %bb.1:
                                        ; implicit-def: $vgpr5_vgpr6
	v_not_b32_sdwa v0, v1 dst_sel:DWORD dst_unused:UNUSED_PAD src0_sel:BYTE_0
	v_cmp_ne_u32_sdwa s[6:7], v4, v1 src0_sel:DWORD src1_sel:BYTE_1
                                        ; kill: killed $vgpr5_vgpr6
                                        ; implicit-def: $vgpr5_vgpr6
                                        ; implicit-def: $vgpr14_vgpr15
	buffer_store_dword v5, off, s[0:3], s33 offset:644 ; 4-byte Folded Spill
	s_nop 0
	buffer_store_dword v6, off, s[0:3], s33 offset:648 ; 4-byte Folded Spill
	buffer_store_dword v7, off, s[0:3], s33 offset:652 ; 4-byte Folded Spill
	;; [unrolled: 1-line block ×3, first 2 shown]
	s_and_saveexec_b64 s[8:9], s[6:7]
	s_xor_b64 s[6:7], exec, s[8:9]
	s_cbranch_execz .LBB6_3
; %bb.2:
	flat_load_dwordx4 v[5:8], v[2:3] offset:72
	flat_load_dwordx2 v[9:10], v[2:3] offset:96
	v_add_u32_e32 v0, v4, v0
	v_ashrrev_i32_e32 v1, 31, v0
	s_waitcnt vmcnt(0) lgkmcnt(0)
	v_mul_lo_u32 v1, v7, v1
	v_mad_u64_u32 v[4:5], s[8:9], v7, v0, v[5:6]
	v_mul_lo_u32 v0, v8, v0
	v_lshrrev_b64 v[14:15], 12, v[9:10]
	v_add3_u32 v5, v0, v5, v1
	v_mov_b32_e32 v0, v7
	v_mov_b32_e32 v1, v8
	buffer_store_dword v4, off, s[0:3], s33 offset:660 ; 4-byte Folded Spill
	s_nop 0
	buffer_store_dword v5, off, s[0:3], s33 offset:664 ; 4-byte Folded Spill
	buffer_store_dword v0, off, s[0:3], s33 offset:644 ; 4-byte Folded Spill
	s_nop 0
	buffer_store_dword v1, off, s[0:3], s33 offset:648 ; 4-byte Folded Spill
	buffer_store_dword v2, off, s[0:3], s33 offset:652 ; 4-byte Folded Spill
	;; [unrolled: 1-line block ×3, first 2 shown]
                                        ; implicit-def: $vgpr1
                                        ; implicit-def: $vgpr0
.LBB6_3:
	s_andn2_saveexec_b64 s[6:7], s[6:7]
	s_cbranch_execz .LBB6_5
; %bb.4:
	flat_load_dwordx4 v[4:7], v[2:3] offset:72
	flat_load_dwordx4 v[8:11], v[2:3] offset:88
	v_add_u32_sdwa v0, v1, v0 dst_sel:DWORD dst_unused:UNUSED_PAD src0_sel:BYTE_1 src1_sel:DWORD
	v_ashrrev_i32_e32 v1, 31, v0
	s_waitcnt vmcnt(0) lgkmcnt(0)
	v_mul_lo_u32 v1, v6, v1
	v_mad_u64_u32 v[4:5], s[8:9], v6, v0, v[4:5]
	v_mul_lo_u32 v0, v7, v0
	v_lshrrev_b32_e32 v14, 1, v11
	v_add3_u32 v5, v0, v5, v1
	v_mov_b32_e32 v0, v8
	v_mov_b32_e32 v1, v9
	buffer_store_dword v4, off, s[0:3], s33 offset:660 ; 4-byte Folded Spill
	s_nop 0
	buffer_store_dword v5, off, s[0:3], s33 offset:664 ; 4-byte Folded Spill
	buffer_store_dword v0, off, s[0:3], s33 offset:644 ; 4-byte Folded Spill
	s_nop 0
	buffer_store_dword v1, off, s[0:3], s33 offset:648 ; 4-byte Folded Spill
	buffer_store_dword v2, off, s[0:3], s33 offset:652 ; 4-byte Folded Spill
	;; [unrolled: 1-line block ×3, first 2 shown]
.LBB6_5:
	s_or_b64 exec, exec, s[6:7]
.LBB6_6:
	s_andn2_saveexec_b64 s[4:5], s[4:5]
	s_cbranch_execz .LBB6_8
; %bb.7:
	flat_load_dwordx2 v[0:1], v[2:3] offset:96
	flat_load_dwordx2 v[4:5], v[2:3] offset:72
	s_waitcnt vmcnt(0) lgkmcnt(0)
	buffer_store_dword v4, off, s[0:3], s33 offset:644 ; 4-byte Folded Spill
	s_nop 0
	buffer_store_dword v5, off, s[0:3], s33 offset:648 ; 4-byte Folded Spill
	buffer_store_dword v6, off, s[0:3], s33 offset:652 ; 4-byte Folded Spill
	;; [unrolled: 1-line block ×3, first 2 shown]
	v_lshlrev_b64 v[14:15], 9, v[0:1]
	v_mov_b32_e32 v0, 0
	v_mov_b32_e32 v1, 0
	buffer_store_dword v0, off, s[0:3], s33 offset:660 ; 4-byte Folded Spill
	s_nop 0
	buffer_store_dword v1, off, s[0:3], s33 offset:664 ; 4-byte Folded Spill
.LBB6_8:
	s_or_b64 exec, exec, s[4:5]
	s_trap 2
	ds_read_b64 v[0:1], v0
	s_waitcnt lgkmcnt(0)
	v_cmp_ne_u32_e32 vcc, -1, v0
	v_cndmask_b32_e64 v0, 0, 1, vcc
	v_cmp_ne_u32_e32 vcc, -1, v1
	v_addc_co_u32_e64 v1, s[4:5], 0, v0, vcc
	v_lshlrev_b32_e32 v4, 1, v1
	v_cmp_le_u32_e64 s[4:5], v4, v19
	s_and_saveexec_b64 s[6:7], s[4:5]
	s_xor_b64 s[6:7], exec, s[6:7]
                                        ; implicit-def: $vgpr62 : SGPR spill to VGPR lane
	v_writelane_b32 v62, s6, 0
	v_writelane_b32 v62, s7, 1
	s_cbranch_execnz .LBB6_9
; %bb.23131:
	s_getpc_b64 s[98:99]
.Lpost_getpc29:
	s_add_u32 s98, s98, (.LBB6_23112-.Lpost_getpc29)&4294967295
	s_addc_u32 s99, s99, (.LBB6_23112-.Lpost_getpc29)>>32
	s_setpc_b64 s[98:99]
.LBB6_9:
	flat_load_dwordx4 v[10:13], v[2:3] offset:16
	flat_load_dwordx2 v[15:16], v[2:3] offset:104
	flat_load_ushort v7, v[2:3] offset:8
	flat_load_dword v6, v[2:3] offset:4
	s_trap 2
	s_load_dword s4, s[28:29], 0x0
	v_mov_b32_e32 v4, 0
	s_waitcnt lgkmcnt(0)
	s_cmp_lt_u32 s12, s4
	s_cselect_b32 s4, 12, 18
	s_add_u32 s4, s28, s4
	s_addc_u32 s5, s29, 0
	global_load_ushort v4, v4, s[4:5]
	s_waitcnt vmcnt(0)
	buffer_store_dword v4, off, s[0:3], s33 offset:684 ; 4-byte Folded Spill
	ds_read_b32 v4, v0
	s_waitcnt lgkmcnt(0)
	v_readfirstlane_b32 s9, v4
	buffer_load_dword v4, off, s[0:3], s33 offset:392 ; 4-byte Folded Reload
	s_waitcnt vmcnt(0)
	v_cmp_ge_u32_e64 s[4:5], v4, v0
	v_mov_b32_e32 v4, 4
	s_and_saveexec_b64 s[6:7], s[4:5]
	s_cbranch_execz .LBB6_19
; %bb.10:
	buffer_load_dword v4, off, s[0:3], s33 offset:392 ; 4-byte Folded Reload
	s_waitcnt vmcnt(0)
	v_cmp_ge_u32_e64 s[4:5], v4, v1
                                        ; implicit-def: $vgpr4
	s_and_saveexec_b64 s[10:11], s[4:5]
	s_xor_b64 s[4:5], exec, s[10:11]
	s_cbranch_execz .LBB6_16
; %bb.11:
	buffer_load_dword v5, off, s[0:3], s33 offset:392 ; 4-byte Folded Reload
	v_cndmask_b32_e64 v4, 0, 1, vcc
	v_sub_u32_e32 v4, v19, v4
	s_waitcnt vmcnt(0)
	v_cmp_ge_u32_e32 vcc, v5, v4
	s_and_saveexec_b64 s[10:11], vcc
	s_xor_b64 s[10:11], exec, s[10:11]
; %bb.12:
                                        ; implicit-def: $vgpr1
; %bb.13:
	s_or_saveexec_b64 s[10:11], s[10:11]
	v_mov_b32_e32 v4, 16
	s_xor_b64 exec, exec, s[10:11]
	s_cbranch_execz .LBB6_15
; %bb.14:
	buffer_load_dword v4, off, s[0:3], s33 offset:392 ; 4-byte Folded Reload
	v_sub_u32_e32 v1, v19, v1
	s_waitcnt vmcnt(0)
	v_cmp_lt_i32_e32 vcc, v4, v1
	v_cndmask_b32_e64 v4, 32, 0, vcc
.LBB6_15:
	s_or_b64 exec, exec, s[10:11]
.LBB6_16:
	s_andn2_saveexec_b64 s[4:5], s[4:5]
; %bb.17:
	v_mov_b32_e32 v4, 8
; %bb.18:
	s_or_b64 exec, exec, s[4:5]
.LBB6_19:
	s_or_b64 exec, exec, s[6:7]
	v_and_b32_e32 v1, 36, v4
	v_cmp_ne_u32_e32 vcc, 0, v1
	v_mov_b32_e32 v8, -1
	buffer_store_dword v4, off, s[0:3], s33 offset:72 ; 4-byte Folded Spill
	s_and_saveexec_b64 s[4:5], vcc
	s_cbranch_execz .LBB6_21
; %bb.20:
	s_trap 2
	ds_read_b32 v8, v0
.LBB6_21:
	s_or_b64 exec, exec, s[4:5]
	buffer_load_dword v1, off, s[0:3], s33 offset:72 ; 4-byte Folded Reload
	s_waitcnt vmcnt(0)
	v_and_b32_e32 v1, 24, v1
	v_cmp_ne_u32_e64 s[4:5], 0, v1
	s_and_saveexec_b64 s[6:7], s[4:5]
	s_cbranch_execz .LBB6_23
; %bb.22:
	s_trap 2
	s_waitcnt lgkmcnt(0)
	ds_read_b32 v8, v0
.LBB6_23:
	s_or_b64 exec, exec, s[6:7]
	v_lshrrev_b64 v[4:5], 31, v[6:7]
	v_mov_b32_e32 v5, 0
	v_mov_b32_e32 v6, 0
	buffer_store_dword v5, off, s[0:3], s33 offset:676 ; 4-byte Folded Spill
	s_nop 0
	buffer_store_dword v6, off, s[0:3], s33 offset:680 ; 4-byte Folded Spill
	v_mov_b32_e32 v5, 0
	v_mov_b32_e32 v6, 0
	buffer_store_dword v5, off, s[0:3], s33 offset:332 ; 4-byte Folded Spill
	s_nop 0
	buffer_store_dword v6, off, s[0:3], s33 offset:336 ; 4-byte Folded Spill
	buffer_store_dword v7, off, s[0:3], s33 offset:340 ; 4-byte Folded Spill
	s_waitcnt lgkmcnt(0)
	buffer_store_dword v8, off, s[0:3], s33 offset:344 ; 4-byte Folded Spill
	v_and_b32_e32 v1, 3, v4
                                        ; implicit-def: $vgpr4_vgpr5
                                        ; kill: killed $vgpr4_vgpr5
                                        ; implicit-def: $vgpr4
                                        ; kill: killed $vgpr4
                                        ; implicit-def: $vgpr4_vgpr5
                                        ; kill: killed $vgpr4_vgpr5
                                        ; implicit-def: $vgpr4_vgpr5
                                        ; kill: killed $vgpr4_vgpr5
	;; [unrolled: 2-line block ×4, first 2 shown]
	s_and_saveexec_b64 s[4:5], vcc
	s_cbranch_execz .LBB6_33
; %bb.24:
	s_trap 2
	ds_read_b64 v[4:5], v0
	v_ashrrev_i32_e32 v9, 31, v8
	v_lshlrev_b64 v[6:7], 3, v[8:9]
	s_movk_i32 s6, 0xa8
	s_waitcnt lgkmcnt(0)
	v_add_co_u32_e32 v4, vcc, v4, v6
	v_addc_co_u32_e32 v5, vcc, v5, v7, vcc
	flat_load_dwordx2 v[4:5], v[4:5]
	v_and_b32_e32 v6, 0xffff, v1
	s_waitcnt vmcnt(0) lgkmcnt(0)
	v_mad_u64_u32 v[17:18], s[6:7], v6, s6, v[4:5]
	flat_load_dword v4, v[17:18] offset:640
	s_waitcnt vmcnt(0) lgkmcnt(0)
	v_cmp_eq_u32_e32 vcc, 1, v4
                                        ; implicit-def: $vgpr4_vgpr5
                                        ; kill: killed $vgpr4_vgpr5
	s_and_saveexec_b64 s[6:7], vcc
	s_cbranch_execz .LBB6_26
; %bb.25:
	flat_load_dwordx2 v[6:7], v[17:18] offset:648
	s_waitcnt vmcnt(0) lgkmcnt(0)
	flat_load_dwordx2 v[4:5], v[6:7]
	s_trap 2
	s_waitcnt vmcnt(0) lgkmcnt(0)
	ds_write_b64 v0, v[4:5]
	flat_load_dwordx2 v[4:5], v[6:7] offset:8
	s_waitcnt vmcnt(0) lgkmcnt(0)
	ds_write_b64 v0, v[4:5]
	buffer_store_dword v6, off, s[0:3], s33 offset:696 ; 4-byte Folded Spill
	s_nop 0
	buffer_store_dword v7, off, s[0:3], s33 offset:700 ; 4-byte Folded Spill
	flat_load_dwordx2 v[4:5], v[6:7] offset:16
	s_waitcnt vmcnt(0) lgkmcnt(0)
	ds_write_b64 v0, v[4:5]
	buffer_load_dword v4, off, s[0:3], s33 offset:72 ; 4-byte Folded Reload
	s_waitcnt vmcnt(0)
	v_or_b32_e32 v4, 0x2000, v4
	buffer_store_dword v4, off, s[0:3], s33 offset:72 ; 4-byte Folded Spill
.LBB6_26:
	s_or_b64 exec, exec, s[6:7]
	flat_load_dwordx2 v[4:5], v[17:18] offset:608
	buffer_load_dword v6, off, s[0:3], s33 offset:72 ; 4-byte Folded Reload
	s_waitcnt vmcnt(0) lgkmcnt(0)
	v_add_co_u32_e32 v4, vcc, 3, v4
	v_and_b32_e32 v6, 32, v6
	v_addc_co_u32_e32 v5, vcc, 0, v5, vcc
	v_and_b32_e32 v4, -4, v4
	buffer_store_dword v4, off, s[0:3], s33 offset:84 ; 4-byte Folded Spill
	s_nop 0
	buffer_store_dword v5, off, s[0:3], s33 offset:88 ; 4-byte Folded Spill
	v_cmp_ne_u32_e32 vcc, 0, v6
                                        ; implicit-def: $vgpr4_vgpr5
                                        ; kill: killed $vgpr4_vgpr5
	s_and_saveexec_b64 s[6:7], vcc
	s_cbranch_execz .LBB6_28
; %bb.27:
	flat_load_dwordx2 v[4:5], v[17:18] offset:560
	s_waitcnt vmcnt(0) lgkmcnt(0)
	buffer_store_dword v4, off, s[0:3], s33 offset:64 ; 4-byte Folded Spill
	s_nop 0
	buffer_store_dword v5, off, s[0:3], s33 offset:68 ; 4-byte Folded Spill
	buffer_load_dword v6, off, s[0:3], s33 offset:84 ; 4-byte Folded Reload
	buffer_load_dword v7, off, s[0:3], s33 offset:88 ; 4-byte Folded Reload
	s_waitcnt vmcnt(0)
	flat_store_dwordx2 v[4:5], v[6:7]
.LBB6_28:
	s_or_b64 exec, exec, s[6:7]
	v_add_co_u32_e32 v4, vcc, 0x1f8, v17
	v_addc_co_u32_e32 v5, vcc, 0, v18, vcc
	buffer_store_dword v4, off, s[0:3], s33 offset:676 ; 4-byte Folded Spill
	s_nop 0
	buffer_store_dword v5, off, s[0:3], s33 offset:680 ; 4-byte Folded Spill
	buffer_load_dword v4, off, s[0:3], s33 offset:72 ; 4-byte Folded Reload
	v_mov_b32_e32 v5, 0
	v_mov_b32_e32 v6, 0
	buffer_store_dword v5, off, s[0:3], s33 offset:332 ; 4-byte Folded Spill
	s_nop 0
	buffer_store_dword v6, off, s[0:3], s33 offset:336 ; 4-byte Folded Spill
	buffer_store_dword v7, off, s[0:3], s33 offset:340 ; 4-byte Folded Spill
	;; [unrolled: 1-line block ×3, first 2 shown]
	s_waitcnt vmcnt(0)
	v_and_b32_e32 v4, 4, v4
	v_cmp_ne_u32_e32 vcc, 0, v4
                                        ; implicit-def: $vgpr4
                                        ; kill: killed $vgpr4
                                        ; implicit-def: $vgpr4_vgpr5
                                        ; kill: killed $vgpr4_vgpr5
                                        ; implicit-def: $vgpr4_vgpr5
                                        ; kill: killed $vgpr4_vgpr5
	s_and_saveexec_b64 s[6:7], vcc
	s_cbranch_execz .LBB6_32
; %bb.29:
	buffer_load_dword v4, off, s[0:3], s33 offset:72 ; 4-byte Folded Reload
	s_waitcnt vmcnt(0)
	v_and_b32_e32 v4, 0x800, v4
	v_cmp_eq_u32_e32 vcc, 0, v4
	s_and_saveexec_b64 s[10:11], vcc
	s_cbranch_execz .LBB6_31
; %bb.30:
	s_trap 2
	buffer_load_dword v4, off, s[0:3], s33 offset:676 ; 4-byte Folded Reload
	buffer_load_dword v5, off, s[0:3], s33 offset:680 ; 4-byte Folded Reload
	s_waitcnt vmcnt(0)
	ds_write_b64 v0, v[4:5]
.LBB6_31:
	s_or_b64 exec, exec, s[10:11]
	flat_load_dwordx2 v[4:5], v[17:18] offset:552
	s_waitcnt vmcnt(0) lgkmcnt(0)
	buffer_store_dword v4, off, s[0:3], s33 offset:64 ; 4-byte Folded Spill
	s_nop 0
	buffer_store_dword v5, off, s[0:3], s33 offset:68 ; 4-byte Folded Spill
	flat_load_dwordx2 v[4:5], v[4:5] glc
	s_waitcnt vmcnt(0) lgkmcnt(0)
	buffer_store_dword v4, off, s[0:3], s33 offset:56 ; 4-byte Folded Spill
	s_nop 0
	buffer_store_dword v5, off, s[0:3], s33 offset:60 ; 4-byte Folded Spill
	flat_load_dwordx2 v[20:21], v[17:18] offset:600
	s_nop 0
	flat_load_dword v4, v[17:18] offset:576
	s_waitcnt vmcnt(0) lgkmcnt(0)
	v_cmp_eq_u64_e32 vcc, 0, v[20:21]
	buffer_store_dword v4, off, s[0:3], s33 offset:368 ; 4-byte Folded Spill
	flat_load_dwordx2 v[4:5], v[17:18] offset:520
	v_mov_b32_e32 v6, v20
	v_mov_b32_e32 v7, v21
	s_waitcnt vmcnt(0) lgkmcnt(0)
	buffer_store_dword v4, off, s[0:3], s33 offset:324 ; 4-byte Folded Spill
	s_nop 0
	buffer_store_dword v5, off, s[0:3], s33 offset:328 ; 4-byte Folded Spill
	buffer_load_dword v5, off, s[0:3], s33 offset:72 ; 4-byte Folded Reload
	s_nop 0
	buffer_store_dword v6, off, s[0:3], s33 offset:332 ; 4-byte Folded Spill
	s_nop 0
	buffer_store_dword v7, off, s[0:3], s33 offset:336 ; 4-byte Folded Spill
	buffer_store_dword v8, off, s[0:3], s33 offset:340 ; 4-byte Folded Spill
	;; [unrolled: 1-line block ×3, first 2 shown]
	s_waitcnt vmcnt(4)
	v_or_b32_e32 v4, 0x100, v5
	v_cndmask_b32_e32 v5, v4, v5, vcc
	buffer_store_dword v5, off, s[0:3], s33 offset:72 ; 4-byte Folded Spill
.LBB6_32:
	s_or_b64 exec, exec, s[6:7]
.LBB6_33:
	s_or_b64 exec, exec, s[4:5]
	buffer_load_dword v4, off, s[0:3], s33 offset:72 ; 4-byte Folded Reload
	s_waitcnt vmcnt(0)
	v_and_b32_e32 v4, 24, v4
	v_cmp_ne_u32_e32 vcc, 0, v4
                                        ; implicit-def: $vgpr4_vgpr5
                                        ; kill: killed $vgpr4_vgpr5
	s_and_saveexec_b64 s[4:5], vcc
	s_cbranch_execz .LBB6_41
; %bb.34:
	s_trap 2
	ds_read_b64 v[4:5], v0
	v_ashrrev_i32_e32 v9, 31, v8
	v_lshlrev_b64 v[6:7], 3, v[8:9]
	v_and_b32_e32 v1, 0xffff, v1
	s_movk_i32 s6, 0xa8
	s_waitcnt lgkmcnt(0)
	v_add_co_u32_e32 v4, vcc, v4, v6
	v_addc_co_u32_e32 v5, vcc, v5, v7, vcc
	flat_load_dwordx2 v[4:5], v[4:5]
	s_waitcnt vmcnt(0) lgkmcnt(0)
	v_mad_u64_u32 v[4:5], s[6:7], v1, s6, v[4:5]
	buffer_store_dword v4, off, s[0:3], s33 offset:676 ; 4-byte Folded Spill
	s_nop 0
	buffer_store_dword v5, off, s[0:3], s33 offset:680 ; 4-byte Folded Spill
	flat_load_dwordx4 v[5:8], v[4:5] offset:96
	s_nop 0
	buffer_load_dword v4, off, s[0:3], s33 offset:72 ; 4-byte Folded Reload
	s_waitcnt vmcnt(0) lgkmcnt(0)
	buffer_store_dword v5, off, s[0:3], s33 offset:332 ; 4-byte Folded Spill
	s_nop 0
	buffer_store_dword v6, off, s[0:3], s33 offset:336 ; 4-byte Folded Spill
	buffer_store_dword v7, off, s[0:3], s33 offset:340 ; 4-byte Folded Spill
	;; [unrolled: 1-line block ×3, first 2 shown]
	v_or_b32_e32 v1, 0x100, v4
	v_cmp_eq_u64_e32 vcc, 0, v[5:6]
	v_cndmask_b32_e32 v4, v1, v4, vcc
	v_and_b32_e32 v1, 16, v4
	v_cmp_ne_u32_e32 vcc, 0, v1
	buffer_store_dword v4, off, s[0:3], s33 offset:72 ; 4-byte Folded Spill
                                        ; implicit-def: $vgpr4_vgpr5
                                        ; kill: killed $vgpr4_vgpr5
	s_and_saveexec_b64 s[6:7], vcc
	s_cbranch_execz .LBB6_36
; %bb.35:
	buffer_load_dword v4, off, s[0:3], s33 offset:676 ; 4-byte Folded Reload
	buffer_load_dword v5, off, s[0:3], s33 offset:680 ; 4-byte Folded Reload
	s_waitcnt vmcnt(0)
	flat_load_dwordx2 v[6:7], v[4:5] offset:48
	s_waitcnt vmcnt(0) lgkmcnt(0)
	buffer_store_dword v6, off, s[0:3], s33 offset:64 ; 4-byte Folded Spill
	s_nop 0
	buffer_store_dword v7, off, s[0:3], s33 offset:68 ; 4-byte Folded Spill
	flat_load_dwordx2 v[6:7], v[4:5] offset:120
	s_waitcnt vmcnt(0) lgkmcnt(0)
	buffer_store_dword v6, off, s[0:3], s33 offset:348 ; 4-byte Folded Spill
	s_nop 0
	buffer_store_dword v7, off, s[0:3], s33 offset:352 ; 4-byte Folded Spill
	;; [unrolled: 5-line block ×3, first 2 shown]
.LBB6_36:
	s_or_b64 exec, exec, s[6:7]
	buffer_load_dword v4, off, s[0:3], s33 offset:332 ; 4-byte Folded Reload
	buffer_load_dword v5, off, s[0:3], s33 offset:336 ; 4-byte Folded Reload
	;; [unrolled: 1-line block ×4, first 2 shown]
	s_waitcnt vmcnt(1)
	v_add_co_u32_e32 v1, vcc, 3, v6
	s_waitcnt vmcnt(0)
	v_addc_co_u32_e32 v5, vcc, 0, v7, vcc
	v_and_b32_e32 v4, -4, v1
	buffer_store_dword v4, off, s[0:3], s33 offset:84 ; 4-byte Folded Spill
	s_nop 0
	buffer_store_dword v5, off, s[0:3], s33 offset:88 ; 4-byte Folded Spill
	buffer_load_dword v1, off, s[0:3], s33 offset:72 ; 4-byte Folded Reload
	s_waitcnt vmcnt(0)
	v_and_b32_e32 v1, 8, v1
	v_cmp_ne_u32_e32 vcc, 0, v1
	s_and_saveexec_b64 s[6:7], vcc
	s_cbranch_execz .LBB6_40
; %bb.37:
	buffer_load_dword v1, off, s[0:3], s33 offset:72 ; 4-byte Folded Reload
	s_waitcnt vmcnt(0)
	v_and_b32_e32 v1, 0x800, v1
	v_cmp_eq_u32_e32 vcc, 0, v1
	s_and_saveexec_b64 s[10:11], vcc
	s_cbranch_execz .LBB6_39
; %bb.38:
	s_trap 2
	buffer_load_dword v4, off, s[0:3], s33 offset:676 ; 4-byte Folded Reload
	buffer_load_dword v5, off, s[0:3], s33 offset:680 ; 4-byte Folded Reload
	s_waitcnt vmcnt(0)
	ds_write_b64 v0, v[4:5]
.LBB6_39:
	s_or_b64 exec, exec, s[10:11]
	buffer_load_dword v4, off, s[0:3], s33 offset:676 ; 4-byte Folded Reload
	buffer_load_dword v5, off, s[0:3], s33 offset:680 ; 4-byte Folded Reload
	s_waitcnt vmcnt(0)
	flat_load_dwordx2 v[6:7], v[4:5] offset:56
	s_waitcnt vmcnt(0) lgkmcnt(0)
	buffer_store_dword v6, off, s[0:3], s33 offset:64 ; 4-byte Folded Spill
	s_nop 0
	buffer_store_dword v7, off, s[0:3], s33 offset:68 ; 4-byte Folded Spill
	flat_load_dwordx2 v[6:7], v[6:7] glc
	s_waitcnt vmcnt(0) lgkmcnt(0)
	buffer_store_dword v6, off, s[0:3], s33 offset:56 ; 4-byte Folded Spill
	s_nop 0
	buffer_store_dword v7, off, s[0:3], s33 offset:60 ; 4-byte Folded Spill
	flat_load_dword v1, v[4:5] offset:72
	s_nop 0
	flat_load_dwordx2 v[4:5], v[4:5] offset:16
	s_waitcnt vmcnt(0) lgkmcnt(0)
	buffer_store_dword v1, off, s[0:3], s33 offset:368 ; 4-byte Folded Spill
	buffer_store_dword v4, off, s[0:3], s33 offset:324 ; 4-byte Folded Spill
	s_nop 0
	buffer_store_dword v5, off, s[0:3], s33 offset:328 ; 4-byte Folded Spill
.LBB6_40:
	s_or_b64 exec, exec, s[6:7]
.LBB6_41:
	s_or_b64 exec, exec, s[4:5]
	buffer_load_dword v1, off, s[0:3], s33 offset:392 ; 4-byte Folded Reload
	s_waitcnt vmcnt(0)
	v_cmp_eq_u32_e64 s[4:5], 0, v1
	s_and_saveexec_b64 s[6:7], s[4:5]
	s_cbranch_execz .LBB6_43
; %bb.42:
	flat_load_dwordx2 v[4:5], v[2:3] offset:32
	v_mov_b32_e32 v6, v12
	v_mov_b32_e32 v7, v13
	;; [unrolled: 1-line block ×4, first 2 shown]
	ds_write2_b64 v0, v[6:7], v[8:9] offset1:1
	s_trap 2
	s_waitcnt vmcnt(0) lgkmcnt(0)
	ds_write_b64 v0, v[4:5]
	ds_write_b64 v0, v[15:16]
.LBB6_43:
	s_or_b64 exec, exec, s[6:7]
	v_mov_b32_e32 v4, 0
	v_mov_b32_e32 v5, 0
	buffer_store_dword v4, off, s[0:3], s33 offset:76 ; 4-byte Folded Spill
	s_nop 0
	buffer_store_dword v5, off, s[0:3], s33 offset:80 ; 4-byte Folded Spill
	buffer_load_dword v4, off, s[0:3], s33 offset:644 ; 4-byte Folded Reload
	s_nop 0
	buffer_load_dword v5, off, s[0:3], s33 offset:648 ; 4-byte Folded Reload
	buffer_load_dword v6, off, s[0:3], s33 offset:652 ; 4-byte Folded Reload
	;; [unrolled: 1-line block ×3, first 2 shown]
	s_waitcnt vmcnt(0)
	v_cmp_lt_i64_e32 vcc, 0, v[4:5]
	s_mov_b64 s[6:7], exec
	v_writelane_b32 v62, s6, 2
	v_writelane_b32 v62, s7, 3
	s_and_b64 s[6:7], s[6:7], vcc
	s_mov_b64 exec, s[6:7]
	s_cbranch_execnz .LBB6_44
; %bb.23133:
	s_getpc_b64 s[98:99]
.Lpost_getpc30:
	s_add_u32 s98, s98, (.LBB6_23078-.Lpost_getpc30)&4294967295
	s_addc_u32 s99, s99, (.LBB6_23078-.Lpost_getpc30)>>32
	s_setpc_b64 s[98:99]
.LBB6_44:
	v_mov_b32_e32 v51, 0
	v_and_b32_e32 v4, 0x3ffffe00, v14
	v_mov_b32_e32 v5, v51
	buffer_store_dword v4, off, s[0:3], s33 offset:592 ; 4-byte Folded Spill
	s_nop 0
	buffer_store_dword v5, off, s[0:3], s33 offset:596 ; 4-byte Folded Spill
	s_ashr_i32 s67, s66, 31
	s_add_u32 s8, s66, -1
	s_addc_u32 s69, s67, -1
	s_add_i32 s70, s66, s66
	flat_load_dword v1, v[2:3] offset:4
	v_and_b32_e32 v2, 63, v31
	buffer_load_dword v3, off, s[0:3], s33 offset:392 ; 4-byte Folded Reload
	v_lshrrev_b32_e32 v7, 6, v19
	buffer_store_dword v31, off, s[0:3], s33 offset:692 ; 4-byte Folded Spill
	v_lshlrev_b32_e32 v10, 10, v7
	v_and_b32_e32 v11, 0x3fc0, v19
	v_writelane_b32 v62, s28, 4
	s_mov_b32 s56, -1
	v_writelane_b32 v62, s29, 5
	s_mov_b32 s57, 0xffffff
	v_cmp_eq_u32_e64 s[10:11], 64, v19
	v_cmp_ne_u32_e64 s[12:13], 64, v19
	s_mov_b64 s[60:61], 0
	s_movk_i32 s82, 0xfc00
	s_movk_i32 s86, 0x7f
	s_movk_i32 s87, 0xff
	s_movk_i32 s96, 0x80
	s_mov_b64 s[76:77], 0x7f800000
	s_mov_b64 s[78:79], 0x43e00001
	s_movk_i32 s97, 0x7a
	s_mov_b64 s[88:89], 0xffffff
	s_movk_i32 s46, 0x1000
	s_movk_i32 s47, 0xffc0
	;; [unrolled: 1-line block ×3, first 2 shown]
	v_mad_i64_i32 v[5:6], s[6:7], v4, s66, 0
	s_not_b32 s6, s66
	s_cmp_gt_i32 s66, 0
	s_cselect_b32 s6, s6, -1
	s_add_i32 s71, s6, s70
	s_ashr_i32 s6, s9, 31
	s_lshr_b32 s6, s6, 25
	s_add_i32 s9, s9, s6
	v_cmp_eq_u32_e64 s[6:7], 0, v2
	buffer_load_dword v2, off, s[0:3], s33 offset:368 ; 4-byte Folded Reload
	s_waitcnt vmcnt(0)
	v_cmp_ge_u32_e32 vcc, v3, v19
	v_and_b32_e32 v8, 63, v3
	v_lshrrev_b32_e32 v9, 6, v3
	v_lshlrev_b32_e32 v3, 13, v7
	v_cmp_lt_u32_e64 s[16:17], v8, v0
	v_cmp_le_u32_e64 s[24:25], v8, v0
	s_ashr_i32 s81, s9, 7
	s_waitcnt lgkmcnt(0)
	v_and_b32_e32 v1, 1, v1
	s_movk_i32 s9, 0x400
	v_cmp_eq_u32_e64 s[18:19], 1, v1
	s_ashr_i32 s80, s71, 31
	s_cmp_gt_i32 s66, 2
	s_cselect_b64 s[62:63], -1, 0
	s_xor_b64 s[72:73], s[18:19], -1
	v_cmp_eq_u32_e64 s[14:15], 0, v8
	v_ashrrev_i32_e32 v2, 31, v2
	buffer_store_dword v2, off, s[0:3], s33 offset:388 ; 4-byte Folded Spill
	s_trap 2
	buffer_load_dword v2, off, s[0:3], s33 offset:684 ; 4-byte Folded Reload
	s_waitcnt vmcnt(0)
	v_cmp_ne_u32_sdwa s[58:59], v19, v2 src0_sel:DWORD src1_sel:WORD_0
	buffer_store_dword v3, off, s[0:3], s33 offset:576 ; 4-byte Folded Spill
	v_lshlrev_b32_e32 v3, 11, v7
	buffer_store_dword v3, off, s[0:3], s33 offset:304 ; 4-byte Folded Spill
	buffer_store_dword v19, off, s[0:3], s33 offset:688 ; 4-byte Folded Spill
	buffer_load_dword v3, off, s[0:3], s33 offset:348 ; 4-byte Folded Reload
	s_nop 0
	buffer_load_dword v4, off, s[0:3], s33 offset:352 ; 4-byte Folded Reload
	v_lshlrev_b32_e32 v2, 4, v8
	v_lshl_or_b32 v0, v9, 12, v2
	buffer_store_dword v8, off, s[0:3], s33 offset:580 ; 4-byte Folded Spill
	buffer_store_dword v0, off, s[0:3], s33 offset:572 ; 4-byte Folded Spill
	;; [unrolled: 1-line block ×3, first 2 shown]
	v_lshlrev_b32_e32 v0, 12, v7
	buffer_store_dword v0, off, s[0:3], s33 offset:320 ; 4-byte Folded Spill
	v_add_u32_e32 v0, 0xfffffc00, v10
	v_ashrrev_i32_e32 v1, 31, v0
	buffer_store_dword v0, off, s[0:3], s33 offset:396 ; 4-byte Folded Spill
	v_add_co_u32_e64 v0, s[26:27], s9, v0
	buffer_store_dword v10, off, s[0:3], s33 offset:356 ; 4-byte Folded Spill
	buffer_store_dword v0, off, s[0:3], s33 offset:404 ; 4-byte Folded Spill
	;; [unrolled: 1-line block ×3, first 2 shown]
	v_addc_co_u32_e64 v0, s[26:27], 0, v1, s[26:27]
	buffer_store_dword v0, off, s[0:3], s33 offset:408 ; 4-byte Folded Spill
	buffer_store_dword v11, off, s[0:3], s33 offset:316 ; 4-byte Folded Spill
	v_subrev_u32_e32 v0, 64, v11
	v_ashrrev_i32_e32 v1, 31, v0
	buffer_store_dword v0, off, s[0:3], s33 offset:372 ; 4-byte Folded Spill
	v_add_co_u32_e64 v0, s[26:27], 64, v0
	buffer_store_dword v0, off, s[0:3], s33 offset:380 ; 4-byte Folded Spill
	buffer_store_dword v1, off, s[0:3], s33 offset:376 ; 4-byte Folded Spill
	v_addc_co_u32_e64 v0, s[26:27], 0, v1, s[26:27]
	buffer_store_dword v0, off, s[0:3], s33 offset:384 ; 4-byte Folded Spill
	v_lshl_or_b32 v0, v9, 13, v2
	buffer_store_dword v0, off, s[0:3], s33 offset:432 ; 4-byte Folded Spill
	v_mov_b32_e32 v0, 0
	v_mov_b32_e32 v1, 0
	buffer_store_dword v9, off, s[0:3], s33 offset:428 ; 4-byte Folded Spill
	buffer_store_dword v0, off, s[0:3], s33 offset:76 ; 4-byte Folded Spill
	s_nop 0
	buffer_store_dword v1, off, s[0:3], s33 offset:80 ; 4-byte Folded Spill
	s_add_i32 s9, s66, 1
	s_cmp_ge_i32 s9, s66
	s_cselect_b32 s26, s66, 0
	s_sub_i32 s83, s9, s26
	v_mov_b32_e32 v11, 0
	s_ashr_i32 s84, s83, 31
	s_add_i32 s85, s66, -2
	s_xor_b64 s[74:75], vcc, -1
	v_mov_b32_e32 v12, 0
	s_waitcnt vmcnt(18)
	v_cmp_eq_u64_e64 s[20:21], 0, v[3:4]
	v_cmp_ne_u64_e64 s[22:23], 0, v[3:4]
	buffer_load_dword v0, off, s[0:3], s33 offset:644 ; 4-byte Folded Reload
	buffer_load_dword v1, off, s[0:3], s33 offset:648 ; 4-byte Folded Reload
	;; [unrolled: 1-line block ×4, first 2 shown]
	s_nop 0
	buffer_store_dword v5, off, s[0:3], s33 offset:668 ; 4-byte Folded Spill
	s_nop 0
	buffer_store_dword v6, off, s[0:3], s33 offset:672 ; 4-byte Folded Spill
	s_branch .LBB6_47
.LBB6_45:                               ;   in Loop: Header=BB6_47 Depth=1
	s_or_b64 exec, exec, s[40:41]
.LBB6_46:                               ;   in Loop: Header=BB6_47 Depth=1
	s_or_b64 exec, exec, s[28:29]
	buffer_load_dword v5, off, s[0:3], s33 offset:668 ; 4-byte Folded Reload
	buffer_load_dword v6, off, s[0:3], s33 offset:672 ; 4-byte Folded Reload
	;; [unrolled: 1-line block ×8, first 2 shown]
	s_waitcnt vmcnt(0)
	v_add_co_u32_e32 v11, vcc, v11, v5
	v_addc_co_u32_e32 v12, vcc, v12, v6, vcc
	v_cmp_ge_i64_e32 vcc, v[11:12], v[0:1]
	s_or_b64 s[60:61], vcc, s[60:61]
	s_andn2_b64 exec, exec, s[60:61]
	s_cbranch_execnz .LBB6_47
; %bb.23135:
	s_getpc_b64 s[98:99]
.Lpost_getpc31:
	s_add_u32 s98, s98, (.LBB6_23077-.Lpost_getpc31)&4294967295
	s_addc_u32 s99, s99, (.LBB6_23077-.Lpost_getpc31)>>32
	s_setpc_b64 s[98:99]
.LBB6_47:                               ; =>This Loop Header: Depth=1
                                        ;     Child Loop BB6_57 Depth 2
                                        ;       Child Loop BB6_65 Depth 3
                                        ;       Child Loop BB6_89 Depth 3
	;; [unrolled: 1-line block ×9, first 2 shown]
                                        ;     Child Loop BB6_4249 Depth 2
                                        ;       Child Loop BB6_4255 Depth 3
                                        ;       Child Loop BB6_4279 Depth 3
	;; [unrolled: 1-line block ×3, first 2 shown]
                                        ;     Child Loop BB6_4321 Depth 2
                                        ;       Child Loop BB6_4324 Depth 3
                                        ;         Child Loop BB6_4332 Depth 4
                                        ;         Child Loop BB6_4360 Depth 4
	;; [unrolled: 1-line block ×9, first 2 shown]
                                        ;       Child Loop BB6_10408 Depth 3
                                        ;         Child Loop BB6_10414 Depth 4
                                        ;         Child Loop BB6_10442 Depth 4
	;; [unrolled: 1-line block ×3, first 2 shown]
                                        ;     Child Loop BB6_10483 Depth 2
                                        ;       Child Loop BB6_10491 Depth 3
                                        ;       Child Loop BB6_10519 Depth 3
	;; [unrolled: 1-line block ×9, first 2 shown]
                                        ;         Child Loop BB6_14568 Depth 4
                                        ;       Child Loop BB6_14596 Depth 3
                                        ;       Child Loop BB6_16461 Depth 3
                                        ;         Child Loop BB6_16525 Depth 4
                                        ;       Child Loop BB6_22502 Depth 3
                                        ;       Child Loop BB6_22521 Depth 3
                                        ;     Child Loop BB6_22539 Depth 2
                                        ;       Child Loop BB6_22545 Depth 3
                                        ;       Child Loop BB6_22573 Depth 3
	;; [unrolled: 1-line block ×3, first 2 shown]
                                        ;     Child Loop BB6_22615 Depth 2
                                        ;       Child Loop BB6_22618 Depth 3
                                        ;         Child Loop BB6_22626 Depth 4
                                        ;         Child Loop BB6_22654 Depth 4
	;; [unrolled: 1-line block ×9, first 2 shown]
                                        ;           Child Loop BB6_22708 Depth 5
                                        ;         Child Loop BB6_22715 Depth 4
                                        ;         Child Loop BB6_22720 Depth 4
                                        ;           Child Loop BB6_22721 Depth 5
                                        ;         Child Loop BB6_22757 Depth 4
                                        ;         Child Loop BB6_22776 Depth 4
                                        ;       Child Loop BB6_22794 Depth 3
                                        ;         Child Loop BB6_22800 Depth 4
                                        ;         Child Loop BB6_22828 Depth 4
	;; [unrolled: 1-line block ×3, first 2 shown]
                                        ;     Child Loop BB6_22873 Depth 2
                                        ;       Child Loop BB6_22881 Depth 3
                                        ;       Child Loop BB6_22905 Depth 3
	;; [unrolled: 1-line block ×9, first 2 shown]
                                        ;     Child Loop BB6_23011 Depth 2
                                        ;       Child Loop BB6_23017 Depth 3
                                        ;       Child Loop BB6_23041 Depth 3
                                        ;       Child Loop BB6_23064 Depth 3
	s_waitcnt vmcnt(0)
	v_sub_co_u32_e32 v0, vcc, v0, v11
	s_waitcnt vmcnt(4)
	v_subb_co_u32_e32 v1, vcc, v1, v12, vcc
	buffer_store_dword v0, off, s[0:3], s33 offset:584 ; 4-byte Folded Spill
	s_nop 0
	buffer_store_dword v1, off, s[0:3], s33 offset:588 ; 4-byte Folded Spill
	v_cmp_lt_i64_e32 vcc, v[0:1], v[5:6]
	s_and_saveexec_b64 s[28:29], vcc
	s_cbranch_execz .LBB6_53
; %bb.48:                               ;   in Loop: Header=BB6_47 Depth=1
	buffer_load_dword v2, off, s[0:3], s33 offset:584 ; 4-byte Folded Reload
	buffer_load_dword v3, off, s[0:3], s33 offset:588 ; 4-byte Folded Reload
	v_mov_b32_e32 v1, s69
                                        ; implicit-def: $vgpr8_vgpr9
	s_waitcnt vmcnt(0)
	v_add_co_u32_e32 v0, vcc, s8, v2
	s_waitcnt vmcnt(0)
	v_addc_co_u32_e32 v1, vcc, v1, v3, vcc
	v_or_b32_e32 v3, s67, v1
	v_mov_b32_e32 v2, v51
	v_cmp_ne_u64_e32 vcc, 0, v[2:3]
	s_and_saveexec_b64 s[26:27], vcc
	s_xor_b64 s[40:41], exec, s[26:27]
	s_cbranch_execz .LBB6_50
; %bb.49:                               ;   in Loop: Header=BB6_47 Depth=1
	s_ashr_i32 s42, s67, 31
	s_add_u32 s26, s66, s42
	s_mov_b32 s43, s42
	s_addc_u32 s27, s67, s42
	s_xor_b64 s[90:91], s[26:27], s[42:43]
	v_cvt_f32_u32_e32 v2, s90
	v_cvt_f32_u32_e32 v3, s91
	s_sub_u32 s9, 0, s90
	s_subb_u32 s43, 0, s91
	v_ashrrev_i32_e32 v4, 31, v1
	v_mac_f32_e32 v2, 0x4f800000, v3
	v_rcp_f32_e32 v2, v2
	v_mul_f32_e32 v2, 0x5f7ffffc, v2
	v_mul_f32_e32 v3, 0x2f800000, v2
	v_trunc_f32_e32 v3, v3
	v_mac_f32_e32 v2, 0xcf800000, v3
	v_cvt_u32_f32_e32 v3, v3
	v_cvt_u32_f32_e32 v2, v2
	v_readfirstlane_b32 s45, v3
	v_readfirstlane_b32 s26, v2
	s_mul_i32 s27, s9, s45
	s_mul_hi_u32 s93, s9, s26
	s_mul_i32 s92, s43, s26
	s_add_i32 s27, s93, s27
	s_add_i32 s27, s27, s92
	s_mul_i32 s94, s9, s26
	s_mul_i32 s93, s26, s27
	s_mul_hi_u32 s95, s26, s94
	s_mul_hi_u32 s92, s26, s27
	s_add_u32 s93, s95, s93
	s_addc_u32 s92, 0, s92
	s_mul_hi_u32 vcc_lo, s45, s94
	s_mul_i32 s94, s45, s94
	s_add_u32 s93, s93, s94
	s_mul_hi_u32 s95, s45, s27
	s_addc_u32 s92, s92, vcc_lo
	s_addc_u32 s93, s95, 0
	s_mul_i32 s27, s45, s27
	s_add_u32 s27, s92, s27
	s_addc_u32 s92, 0, s93
	s_add_u32 s93, s26, s27
	s_cselect_b64 s[26:27], -1, 0
	s_cmp_lg_u64 s[26:27], 0
	s_addc_u32 s45, s45, s92
	s_mul_i32 s26, s9, s45
	s_mul_hi_u32 s27, s9, s93
	s_add_i32 s26, s27, s26
	s_mul_i32 s43, s43, s93
	s_add_i32 s26, s26, s43
	s_mul_i32 s9, s9, s93
	s_mul_hi_u32 s43, s45, s9
	s_mul_i32 s92, s45, s9
	s_mul_i32 s95, s93, s26
	s_mul_hi_u32 s9, s93, s9
	s_mul_hi_u32 s94, s93, s26
	s_add_u32 s9, s9, s95
	s_addc_u32 s94, 0, s94
	s_add_u32 s9, s9, s92
	s_mul_hi_u32 s27, s45, s26
	s_addc_u32 s9, s94, s43
	s_addc_u32 s27, s27, 0
	s_mul_i32 s26, s45, s26
	s_add_u32 s9, s9, s26
	s_addc_u32 s43, 0, s27
	s_add_u32 s9, s93, s9
	s_cselect_b64 s[26:27], -1, 0
	s_cmp_lg_u64 s[26:27], 0
	v_add_co_u32_e32 v0, vcc, v0, v4
	s_addc_u32 s43, s45, s43
	v_xor_b32_e32 v5, v0, v4
	v_addc_co_u32_e32 v2, vcc, v1, v4, vcc
	v_mad_u64_u32 v[0:1], s[26:27], v5, s43, 0
	v_mul_hi_u32 v3, v5, s9
	v_xor_b32_e32 v6, v2, v4
	v_add_co_u32_e32 v7, vcc, v3, v0
	v_addc_co_u32_e32 v8, vcc, 0, v1, vcc
	v_mad_u64_u32 v[0:1], s[26:27], v6, s9, 0
	v_mad_u64_u32 v[2:3], s[26:27], v6, s43, 0
	v_add_co_u32_e32 v0, vcc, v7, v0
	v_addc_co_u32_e32 v0, vcc, v8, v1, vcc
	v_addc_co_u32_e32 v1, vcc, 0, v3, vcc
	v_add_co_u32_e32 v2, vcc, v0, v2
	v_addc_co_u32_e32 v3, vcc, 0, v1, vcc
	v_mul_lo_u32 v7, s91, v2
	v_mul_lo_u32 v8, s90, v3
	v_mad_u64_u32 v[0:1], s[26:27], s90, v2, 0
	v_add3_u32 v1, v1, v8, v7
	v_sub_u32_e32 v7, v6, v1
	v_mov_b32_e32 v8, s91
	v_sub_co_u32_e32 v0, vcc, v5, v0
	v_subb_co_u32_e64 v5, s[26:27], v7, v8, vcc
	v_subrev_co_u32_e64 v7, s[26:27], s90, v0
	v_subbrev_co_u32_e64 v5, s[26:27], 0, v5, s[26:27]
	v_cmp_le_u32_e64 s[26:27], s91, v5
	v_cndmask_b32_e64 v8, 0, -1, s[26:27]
	v_cmp_le_u32_e64 s[26:27], s90, v7
	v_cndmask_b32_e64 v7, 0, -1, s[26:27]
	v_cmp_eq_u32_e64 s[26:27], s91, v5
	v_cndmask_b32_e64 v5, v8, v7, s[26:27]
	v_add_co_u32_e64 v7, s[26:27], 2, v2
	v_subb_co_u32_e32 v1, vcc, v6, v1, vcc
	v_addc_co_u32_e64 v8, s[26:27], 0, v3, s[26:27]
	v_cmp_le_u32_e32 vcc, s91, v1
	v_add_co_u32_e64 v9, s[26:27], 1, v2
	v_cndmask_b32_e64 v6, 0, -1, vcc
	v_cmp_le_u32_e32 vcc, s90, v0
	v_addc_co_u32_e64 v10, s[26:27], 0, v3, s[26:27]
	v_cndmask_b32_e64 v0, 0, -1, vcc
	v_cmp_eq_u32_e32 vcc, s91, v1
	v_cmp_ne_u32_e64 s[26:27], 0, v5
	v_cndmask_b32_e32 v0, v6, v0, vcc
	v_cmp_ne_u32_e32 vcc, 0, v0
	v_cndmask_b32_e64 v1, v9, v7, s[26:27]
	v_cndmask_b32_e64 v5, v10, v8, s[26:27]
	v_cndmask_b32_e32 v1, v2, v1, vcc
	v_xor_b32_e32 v2, s42, v4
	v_cndmask_b32_e32 v0, v3, v5, vcc
	v_xor_b32_e32 v1, v1, v2
	v_xor_b32_e32 v0, v0, v2
	v_sub_co_u32_e32 v8, vcc, v1, v2
	v_subb_co_u32_e32 v9, vcc, v0, v2, vcc
                                        ; implicit-def: $vgpr0
.LBB6_50:                               ;   in Loop: Header=BB6_47 Depth=1
	s_andn2_saveexec_b64 s[40:41], s[40:41]
	s_cbranch_execz .LBB6_52
; %bb.51:                               ;   in Loop: Header=BB6_47 Depth=1
	v_cvt_f32_u32_e32 v1, s66
	s_sub_i32 s9, 0, s66
	v_mov_b32_e32 v9, v51
	v_rcp_iflag_f32_e32 v1, v1
	v_mul_f32_e32 v1, 0x4f7ffffe, v1
	v_cvt_u32_f32_e32 v1, v1
	v_mul_lo_u32 v2, s9, v1
	v_mul_hi_u32 v2, v1, v2
	v_add_u32_e32 v1, v1, v2
	v_mul_hi_u32 v1, v0, v1
	v_mul_lo_u32 v2, v1, s66
	v_sub_u32_e32 v0, v0, v2
	v_cmp_le_u32_e32 vcc, s66, v0
	v_subrev_u32_e32 v2, s66, v0
	v_cndmask_b32_e32 v0, v0, v2, vcc
	v_cmp_le_u32_e64 s[26:27], s66, v0
	v_add_u32_e32 v0, 1, v1
	v_cndmask_b32_e32 v0, v1, v0, vcc
	v_add_u32_e32 v1, 1, v0
	v_cndmask_b32_e64 v8, v0, v1, s[26:27]
.LBB6_52:                               ;   in Loop: Header=BB6_47 Depth=1
	s_or_b64 exec, exec, s[40:41]
	v_add_co_u32_e32 v0, vcc, 15, v8
	v_addc_co_u32_e32 v1, vcc, 0, v9, vcc
	v_and_b32_e32 v0, -16, v0
	buffer_store_dword v0, off, s[0:3], s33 offset:592 ; 4-byte Folded Spill
	s_nop 0
	buffer_store_dword v1, off, s[0:3], s33 offset:596 ; 4-byte Folded Spill
.LBB6_53:                               ;   in Loop: Header=BB6_47 Depth=1
	s_or_b64 exec, exec, s[28:29]
	buffer_load_dword v2, off, s[0:3], s33 offset:592 ; 4-byte Folded Reload
	buffer_load_dword v3, off, s[0:3], s33 offset:596 ; 4-byte Folded Reload
	v_mov_b32_e32 v47, 0
	s_waitcnt vmcnt(0)
	v_mul_lo_u32 v1, v2, s80
	s_waitcnt vmcnt(0)
	v_mul_lo_u32 v0, v3, s71
	v_mad_u64_u32 v[60:61], s[26:27], v2, s71, 0
	v_add3_u32 v61, v61, v1, v0
	buffer_load_dword v0, off, s[0:3], s33 offset:660 ; 4-byte Folded Reload
	buffer_load_dword v1, off, s[0:3], s33 offset:664 ; 4-byte Folded Reload
	s_waitcnt vmcnt(0)
	v_add_co_u32_e32 v0, vcc, v11, v0
	buffer_store_dword v0, off, s[0:3], s33 offset:412 ; 4-byte Folded Spill
	buffer_store_dword v11, off, s[0:3], s33 offset:636 ; 4-byte Folded Spill
	s_nop 0
	buffer_store_dword v12, off, s[0:3], s33 offset:640 ; 4-byte Folded Spill
	s_waitcnt vmcnt(3)
	v_addc_co_u32_e32 v0, vcc, v12, v1, vcc
	buffer_store_dword v0, off, s[0:3], s33 offset:416 ; 4-byte Folded Spill
	buffer_load_dword v0, off, s[0:3], s33 offset:584 ; 4-byte Folded Reload
	s_nop 0
	buffer_load_dword v1, off, s[0:3], s33 offset:588 ; 4-byte Folded Reload
	s_waitcnt vmcnt(0)
	v_sub_co_u32_e32 v0, vcc, v0, v60
	s_waitcnt vmcnt(0)
	v_subb_co_u32_e32 v1, vcc, v1, v61, vcc
	v_cmp_lt_i64_e32 vcc, v[2:3], v[0:1]
	v_cndmask_b32_e32 v1, v0, v2, vcc
	v_max_i32_e32 v44, 0, v1
	v_add_u32_e32 v2, 31, v44
	v_lshrrev_b32_e32 v2, 1, v2
	v_and_b32_e32 v2, 0x3ffffff0, v2
	v_cmp_lt_i32_e32 vcc, 0, v1
	v_mov_b32_e32 v0, 0
	v_max_i32_e32 v45, s81, v2
	s_and_b64 s[26:27], s[74:75], vcc
	s_and_saveexec_b64 s[40:41], s[26:27]
	s_cbranch_execz .LBB6_4245
; %bb.54:                               ;   in Loop: Header=BB6_47 Depth=1
	s_mov_b32 s9, 1
	s_mov_b64 s[90:91], -1
	v_mov_b32_e32 v47, 0
	s_mov_b64 s[42:43], 0
	buffer_store_dword v44, off, s[0:3], s33 offset:620 ; 4-byte Folded Spill
	buffer_store_dword v60, off, s[0:3], s33 offset:624 ; 4-byte Folded Spill
	s_nop 0
	buffer_store_dword v61, off, s[0:3], s33 offset:628 ; 4-byte Folded Spill
	s_branch .LBB6_57
.LBB6_55:                               ;   in Loop: Header=BB6_57 Depth=2
	s_or_b64 exec, exec, s[28:29]
	buffer_load_dword v2, off, s[0:3], s33 offset:84 ; 4-byte Folded Reload
	buffer_load_dword v3, off, s[0:3], s33 offset:88 ; 4-byte Folded Reload
	;; [unrolled: 1-line block ×4, first 2 shown]
	s_waitcnt vmcnt(0)
	v_add_co_u32_e32 v2, vcc, 2, v2
	v_addc_co_u32_e32 v3, vcc, 0, v3, vcc
	buffer_store_dword v2, off, s[0:3], s33 offset:84 ; 4-byte Folded Spill
	s_nop 0
	buffer_store_dword v3, off, s[0:3], s33 offset:88 ; 4-byte Folded Spill
	flat_store_dwordx2 v[0:1], v[2:3]
.LBB6_56:                               ;   in Loop: Header=BB6_57 Depth=2
	s_or_b64 exec, exec, s[26:27]
	v_add_u32_e32 v47, v45, v47
	v_cmp_ge_i32_e32 vcc, v47, v44
	s_xor_b64 s[26:27], s[90:91], -1
	s_or_b64 s[26:27], s[26:27], vcc
	s_and_b64 s[26:27], exec, s[26:27]
	s_or_b64 s[42:43], s[26:27], s[42:43]
	s_mov_b64 s[90:91], 0
	v_mov_b32_e32 v0, s9
	s_mov_b32 s9, 2
	s_andn2_b64 exec, exec, s[42:43]
	s_cbranch_execz .LBB6_4244
.LBB6_57:                               ;   Parent Loop BB6_47 Depth=1
                                        ; =>  This Loop Header: Depth=2
                                        ;       Child Loop BB6_65 Depth 3
                                        ;       Child Loop BB6_89 Depth 3
	;; [unrolled: 1-line block ×9, first 2 shown]
	s_and_saveexec_b64 s[26:27], s[4:5]
	s_cbranch_execz .LBB6_59
; %bb.58:                               ;   in Loop: Header=BB6_57 Depth=2
	s_trap 2
	buffer_load_dword v2, off, s[0:3], s33 offset:412 ; 4-byte Folded Reload
	ds_read_b64 v[0:1], v0
	s_waitcnt vmcnt(0) lgkmcnt(0)
	v_add_co_u32_e32 v0, vcc, v0, v2
	buffer_load_dword v2, off, s[0:3], s33 offset:416 ; 4-byte Folded Reload
	s_waitcnt vmcnt(0)
	v_addc_co_u32_e32 v1, vcc, v1, v2, vcc
	v_add_co_u32_e32 v0, vcc, v0, v60
	v_addc_co_u32_e32 v1, vcc, v1, v61, vcc
	v_ashrrev_i32_e32 v2, 31, v47
	v_add_co_u32_e32 v0, vcc, v0, v47
	v_addc_co_u32_e32 v1, vcc, v1, v2, vcc
	ds_write_b64 v0, v[0:1]
	v_mov_b32_e32 v0, v51
	v_mov_b32_e32 v1, v51
	ds_write_b64 v0, v[0:1]
.LBB6_59:                               ;   in Loop: Header=BB6_57 Depth=2
	s_or_b64 exec, exec, s[26:27]
	v_sub_u32_e32 v0, v44, v47
	v_min_i32_e32 v45, v45, v0
	buffer_load_dword v0, off, s[0:3], s33 offset:72 ; 4-byte Folded Reload
	s_waitcnt vmcnt(0)
	v_and_b32_e32 v0, 8, v0
	v_cmp_ne_u32_e32 vcc, 0, v0
	s_and_saveexec_b64 s[28:29], vcc
	s_cbranch_execz .LBB6_81
; %bb.60:                               ;   in Loop: Header=BB6_57 Depth=2
	buffer_load_dword v0, off, s[0:3], s33 offset:56 ; 4-byte Folded Reload
	buffer_load_dword v1, off, s[0:3], s33 offset:60 ; 4-byte Folded Reload
	;; [unrolled: 1-line block ×4, first 2 shown]
	s_waitcnt vmcnt(0)
	v_add_co_u32_e32 v0, vcc, 8, v0
	s_waitcnt vmcnt(2)
	v_addc_co_u32_e32 v1, vcc, 0, v1, vcc
	s_waitcnt vmcnt(1)
	v_add_co_u32_e32 v8, vcc, 2, v2
	s_waitcnt vmcnt(0)
	v_addc_co_u32_e32 v9, vcc, 0, v3, vcc
	v_cmp_lt_u64_e32 vcc, v[0:1], v[8:9]
	s_and_saveexec_b64 s[92:93], vcc
	s_cbranch_execz .LBB6_72
; %bb.61:                               ;   in Loop: Header=BB6_57 Depth=2
	buffer_load_dword v0, off, s[0:3], s33 offset:72 ; 4-byte Folded Reload
	s_mov_b32 s45, 0
	s_mov_b64 s[94:95], 0
                                        ; implicit-def: $sgpr30_sgpr31
                                        ; implicit-def: $sgpr34_sgpr35
                                        ; implicit-def: $sgpr36_sgpr37
	s_waitcnt vmcnt(0)
	v_and_b32_e32 v0, 64, v0
	v_cmp_eq_u32_e32 vcc, 0, v0
	s_branch .LBB6_65
.LBB6_62:                               ;   in Loop: Header=BB6_65 Depth=3
	buffer_load_dword v1, off, s[0:3], s33 offset:56 ; 4-byte Folded Reload
	buffer_load_dword v2, off, s[0:3], s33 offset:60 ; 4-byte Folded Reload
	s_or_b64 s[50:51], s[50:51], exec
	s_waitcnt vmcnt(1)
	v_add_co_u32_e64 v1, s[26:27], 8, v1
	s_waitcnt vmcnt(0)
	v_addc_co_u32_e64 v2, s[26:27], 0, v2, s[26:27]
	v_cmp_ge_u64_e64 s[26:27], v[1:2], v[8:9]
	s_orn2_b64 s[48:49], s[26:27], exec
.LBB6_63:                               ;   in Loop: Header=BB6_65 Depth=3
	s_or_b64 exec, exec, s[54:55]
	s_andn2_b64 s[26:27], s[36:37], exec
	s_and_b64 s[36:37], s[50:51], exec
	s_or_b64 s[36:37], s[26:27], s[36:37]
	s_andn2_b64 s[26:27], s[34:35], exec
	s_and_b64 s[34:35], s[48:49], exec
	s_or_b64 s[34:35], s[26:27], s[34:35]
.LBB6_64:                               ;   in Loop: Header=BB6_65 Depth=3
	s_or_b64 exec, exec, s[38:39]
	s_and_b64 s[26:27], exec, s[34:35]
	s_or_b64 s[94:95], s[26:27], s[94:95]
	s_andn2_b64 s[26:27], s[30:31], exec
	s_and_b64 s[30:31], s[36:37], exec
	s_or_b64 s[30:31], s[26:27], s[30:31]
	s_andn2_b64 exec, exec, s[94:95]
	s_cbranch_execz .LBB6_69
.LBB6_65:                               ;   Parent Loop BB6_47 Depth=1
                                        ;     Parent Loop BB6_57 Depth=2
                                        ; =>    This Inner Loop Header: Depth=3
	s_sleep 1
	buffer_load_dword v0, off, s[0:3], s33 offset:64 ; 4-byte Folded Reload
	buffer_load_dword v1, off, s[0:3], s33 offset:68 ; 4-byte Folded Reload
	s_or_b64 s[36:37], s[36:37], exec
	s_or_b64 s[34:35], s[34:35], exec
	s_waitcnt vmcnt(0)
	flat_load_dwordx2 v[0:1], v[0:1] glc
	s_waitcnt vmcnt(0) lgkmcnt(0)
	buffer_store_dword v0, off, s[0:3], s33 offset:56 ; 4-byte Folded Spill
	s_nop 0
	buffer_store_dword v1, off, s[0:3], s33 offset:60 ; 4-byte Folded Spill
                                        ; implicit-def: $vgpr0
	s_and_saveexec_b64 s[38:39], vcc
	s_cbranch_execz .LBB6_64
; %bb.66:                               ;   in Loop: Header=BB6_65 Depth=3
	s_cmpk_lt_i32 s45, 0x270f
	s_cselect_b64 s[52:53], -1, 0
	s_cmpk_gt_i32 s45, 0x270e
	s_mov_b64 s[48:49], -1
	s_cbranch_scc0 .LBB6_68
; %bb.67:                               ;   in Loop: Header=BB6_65 Depth=3
	s_trap 2
	ds_read_b64 v[0:1], v0
	s_andn2_b64 s[52:53], s[52:53], exec
	s_mov_b32 s45, 0
	s_mov_b64 s[50:51], 0
	s_waitcnt vmcnt(0) lgkmcnt(0)
	flat_load_dword v0, v[0:1] glc
	s_waitcnt vmcnt(0) lgkmcnt(0)
	buffer_wbinvl1_vol
	v_cmp_eq_u32_e64 s[26:27], 0, v0
	s_and_b64 s[26:27], s[26:27], exec
	s_or_b64 s[52:53], s[52:53], s[26:27]
	s_and_saveexec_b64 s[54:55], s[52:53]
	s_cbranch_execz .LBB6_63
	s_branch .LBB6_62
.LBB6_68:                               ;   in Loop: Header=BB6_65 Depth=3
	s_add_i32 s45, s45, 1
	s_mov_b64 s[50:51], -1
                                        ; implicit-def: $vgpr0
	s_and_saveexec_b64 s[54:55], s[52:53]
	s_cbranch_execz .LBB6_63
	s_branch .LBB6_62
.LBB6_69:                               ;   in Loop: Header=BB6_57 Depth=2
	s_or_b64 exec, exec, s[94:95]
	s_xor_b64 s[26:27], s[30:31], -1
	s_and_saveexec_b64 s[94:95], s[26:27]
	s_xor_b64 s[26:27], exec, s[94:95]
	s_cbranch_execz .LBB6_71
; %bb.70:                               ;   in Loop: Header=BB6_57 Depth=2
	ds_write_b32 v0, v0
	s_trap 2
	buffer_load_dword v0, off, s[0:3], s33 offset:72 ; 4-byte Folded Reload
	s_waitcnt vmcnt(0)
	v_or_b32_e32 v0, 64, v0
	buffer_store_dword v0, off, s[0:3], s33 offset:72 ; 4-byte Folded Spill
.LBB6_71:                               ;   in Loop: Header=BB6_57 Depth=2
	s_or_b64 exec, exec, s[26:27]
.LBB6_72:                               ;   in Loop: Header=BB6_57 Depth=2
	s_or_b64 exec, exec, s[92:93]
	;;#ASMSTART
	s_wakeup
	;;#ASMEND
	buffer_load_dword v0, off, s[0:3], s33 offset:72 ; 4-byte Folded Reload
	s_mov_b64 s[26:27], -1
                                        ; implicit-def: $vgpr10_vgpr11
	s_waitcnt vmcnt(0)
	v_and_b32_e32 v0, 0x100, v0
	v_cmp_ne_u32_e32 vcc, 0, v0
	buffer_load_dword v0, off, s[0:3], s33 offset:84 ; 4-byte Folded Reload
	buffer_load_dword v1, off, s[0:3], s33 offset:88 ; 4-byte Folded Reload
	s_waitcnt vmcnt(0)
	v_and_b32_e32 v0, 7, v0
	s_and_saveexec_b64 s[92:93], vcc
	s_cbranch_execz .LBB6_76
; %bb.73:                               ;   in Loop: Header=BB6_57 Depth=2
	buffer_load_dword v1, off, s[0:3], s33 offset:332 ; 4-byte Folded Reload
	buffer_load_dword v2, off, s[0:3], s33 offset:336 ; 4-byte Folded Reload
	;; [unrolled: 1-line block ×4, first 2 shown]
	v_ashrrev_i32_e32 v46, 31, v45
                                        ; implicit-def: $vgpr10_vgpr11
	s_waitcnt vmcnt(0)
	v_mad_u64_u32 v[4:5], s[26:27], v0, 24, v[1:2]
	flat_load_dword v1, v[4:5]
	s_nop 0
	flat_store_dwordx2 v[4:5], v[45:46] offset:8
	s_waitcnt vmcnt(0) lgkmcnt(0)
	v_cmp_ne_u32_e32 vcc, 1, v1
	v_cmp_eq_u32_e64 s[26:27], 1, v1
	s_and_saveexec_b64 s[94:95], s[26:27]
	s_cbranch_execz .LBB6_75
; %bb.74:                               ;   in Loop: Header=BB6_57 Depth=2
	flat_load_dword v10, v[4:5] offset:4 glc
	s_waitcnt vmcnt(0) lgkmcnt(0)
	v_ashrrev_i32_e32 v11, 31, v10
.LBB6_75:                               ;   in Loop: Header=BB6_57 Depth=2
	s_or_b64 exec, exec, s[94:95]
	s_orn2_b64 s[26:27], vcc, exec
.LBB6_76:                               ;   in Loop: Header=BB6_57 Depth=2
	s_or_b64 exec, exec, s[92:93]
	s_and_saveexec_b64 s[92:93], s[26:27]
	s_cbranch_execz .LBB6_78
; %bb.77:                               ;   in Loop: Header=BB6_57 Depth=2
	buffer_load_dword v1, off, s[0:3], s33 offset:368 ; 4-byte Folded Reload
	s_waitcnt vmcnt(0)
	v_mad_i64_i32 v[10:11], s[26:27], v0, v1, 0
.LBB6_78:                               ;   in Loop: Header=BB6_57 Depth=2
	s_or_b64 exec, exec, s[92:93]
	buffer_load_dword v0, off, s[0:3], s33 offset:324 ; 4-byte Folded Reload
	buffer_load_dword v1, off, s[0:3], s33 offset:328 ; 4-byte Folded Reload
	s_waitcnt vmcnt(0)
	v_add_co_u32_e32 v0, vcc, v0, v10
	s_waitcnt vmcnt(0)
	v_addc_co_u32_e32 v1, vcc, v1, v11, vcc
	ds_write_b64 v0, v[0:1] offset:784
	buffer_load_dword v0, off, s[0:3], s33 offset:72 ; 4-byte Folded Reload
	s_waitcnt vmcnt(0)
	v_and_b32_e32 v0, 0x2000, v0
	v_cmp_ne_u32_e32 vcc, 0, v0
	s_and_saveexec_b64 s[26:27], vcc
	s_cbranch_execz .LBB6_80
; %bb.79:                               ;   in Loop: Header=BB6_57 Depth=2
	ds_read_b64 v[0:1], v0 offset:872
	s_waitcnt lgkmcnt(0)
	v_add_co_u32_e32 v0, vcc, 1, v0
	v_addc_co_u32_e32 v1, vcc, 0, v1, vcc
	ds_write_b64 v0, v[0:1] offset:872
.LBB6_80:                               ;   in Loop: Header=BB6_57 Depth=2
	s_or_b64 exec, exec, s[26:27]
	buffer_store_dword v8, off, s[0:3], s33 offset:84 ; 4-byte Folded Spill
	s_nop 0
	buffer_store_dword v9, off, s[0:3], s33 offset:88 ; 4-byte Folded Spill
.LBB6_81:                               ;   in Loop: Header=BB6_57 Depth=2
	s_or_b64 exec, exec, s[28:29]
	s_and_saveexec_b64 s[26:27], s[12:13]
	s_cbranch_execz .LBB6_100
; %bb.82:                               ;   in Loop: Header=BB6_57 Depth=2
	s_and_saveexec_b64 s[28:29], s[58:59]
	s_xor_b64 s[28:29], exec, s[28:29]
	s_cbranch_execz .LBB6_97
; %bb.83:                               ;   in Loop: Header=BB6_57 Depth=2
	s_and_saveexec_b64 s[92:93], s[6:7]
	s_cbranch_execz .LBB6_96
; %bb.84:                               ;   in Loop: Header=BB6_57 Depth=2
	s_mov_b64 s[30:31], exec
	v_mbcnt_lo_u32_b32 v0, s30, 0
	v_mbcnt_hi_u32_b32 v0, s31, v0
	v_cmp_eq_u32_e32 vcc, 0, v0
	s_waitcnt vmcnt(0) lgkmcnt(0)
	buffer_wbinvl1_vol
	s_and_saveexec_b64 s[94:95], vcc
	s_cbranch_execz .LBB6_86
; %bb.85:                               ;   in Loop: Header=BB6_57 Depth=2
	s_bcnt1_i32_b64 s45, s[30:31]
	v_mov_b32_e32 v0, s45
	v_mov_b32_e32 v1, v51
	ds_add_u64 v0, v[0:1]
	s_trap 2
.LBB6_86:                               ;   in Loop: Header=BB6_57 Depth=2
	s_or_b64 exec, exec, s[94:95]
	s_trap 2
	ds_read_b64 v[0:1], v0
	s_waitcnt lgkmcnt(0)
	buffer_load_dword v2, off, s[0:3], s33 offset:76 ; 4-byte Folded Reload
	buffer_load_dword v3, off, s[0:3], s33 offset:80 ; 4-byte Folded Reload
	buffer_load_dword v4, off, s[0:3], s33 offset:92 ; 4-byte Folded Reload
	s_waitcnt vmcnt(0)
	v_add_co_u32_e32 v2, vcc, v2, v4
	v_addc_co_u32_e32 v3, vcc, 0, v3, vcc
	buffer_store_dword v2, off, s[0:3], s33 offset:76 ; 4-byte Folded Spill
	s_nop 0
	buffer_store_dword v3, off, s[0:3], s33 offset:80 ; 4-byte Folded Spill
	v_cmp_lt_u64_e32 vcc, v[0:1], v[2:3]
	s_and_saveexec_b64 s[94:95], vcc
	s_cbranch_execz .LBB6_95
; %bb.87:                               ;   in Loop: Header=BB6_57 Depth=2
	s_mov_b32 s45, 0
	s_mov_b64 s[30:31], 0
                                        ; implicit-def: $sgpr34_sgpr35
                                        ; implicit-def: $sgpr36_sgpr37
	s_branch .LBB6_89
.LBB6_88:                               ;   in Loop: Header=BB6_89 Depth=3
	s_or_b64 exec, exec, s[48:49]
	s_and_b64 vcc, exec, vcc
	s_or_b64 s[30:31], vcc, s[30:31]
	s_andn2_b64 vcc, s[34:35], exec
	s_and_b64 s[34:35], s[36:37], exec
	s_or_b64 s[34:35], vcc, s[34:35]
	s_andn2_b64 exec, exec, s[30:31]
	s_cbranch_execz .LBB6_93
.LBB6_89:                               ;   Parent Loop BB6_47 Depth=1
                                        ;     Parent Loop BB6_57 Depth=2
                                        ; =>    This Inner Loop Header: Depth=3
	s_add_i32 s45, s45, 1
	s_cmpk_lg_i32 s45, 0x2710
	s_cselect_b64 s[38:39], -1, 0
	s_and_b64 vcc, exec, s[38:39]
	s_cbranch_vccz .LBB6_91
; %bb.90:                               ;   in Loop: Header=BB6_89 Depth=3
	s_mov_b64 vcc, -1
	s_or_b64 s[36:37], s[36:37], exec
	s_and_saveexec_b64 s[48:49], s[38:39]
	s_cbranch_execz .LBB6_88
	s_branch .LBB6_92
.LBB6_91:                               ;   in Loop: Header=BB6_89 Depth=3
	s_trap 2
	ds_read_b64 v[0:1], v0
	s_andn2_b64 s[38:39], s[38:39], exec
	s_mov_b32 s45, 0
	s_waitcnt vmcnt(0) lgkmcnt(0)
	flat_load_dword v0, v[0:1] glc
	s_waitcnt vmcnt(0) lgkmcnt(0)
	buffer_wbinvl1_vol
	v_cmp_eq_u32_e32 vcc, 0, v0
	s_and_b64 vcc, vcc, exec
	s_or_b64 s[38:39], s[38:39], vcc
	s_mov_b64 vcc, -1
	s_or_b64 s[36:37], s[36:37], exec
	s_and_saveexec_b64 s[48:49], s[38:39]
	s_cbranch_execz .LBB6_88
.LBB6_92:                               ;   in Loop: Header=BB6_89 Depth=3
	s_sleep 1
	s_trap 2
	ds_read_b64 v[0:1], v0
	s_waitcnt lgkmcnt(0)
	buffer_load_dword v2, off, s[0:3], s33 offset:76 ; 4-byte Folded Reload
	buffer_load_dword v3, off, s[0:3], s33 offset:80 ; 4-byte Folded Reload
	s_andn2_b64 s[36:37], s[36:37], exec
	s_waitcnt vmcnt(0)
	v_cmp_ge_u64_e32 vcc, v[0:1], v[2:3]
	s_orn2_b64 vcc, vcc, exec
	s_branch .LBB6_88
.LBB6_93:                               ;   in Loop: Header=BB6_57 Depth=2
	s_or_b64 exec, exec, s[30:31]
	s_and_saveexec_b64 vcc, s[34:35]
	s_xor_b64 vcc, exec, vcc
	s_cbranch_execz .LBB6_95
; %bb.94:                               ;   in Loop: Header=BB6_57 Depth=2
	v_mov_b32_e32 v0, 1
	ds_write_b32 v0, v0
	s_trap 2
.LBB6_95:                               ;   in Loop: Header=BB6_57 Depth=2
	s_or_b64 exec, exec, s[94:95]
	;;#ASMSTART
	s_wakeup
	;;#ASMEND
.LBB6_96:                               ;   in Loop: Header=BB6_57 Depth=2
	s_or_b64 exec, exec, s[92:93]
.LBB6_97:                               ;   in Loop: Header=BB6_57 Depth=2
	s_andn2_saveexec_b64 s[28:29], s[28:29]
	s_cbranch_execz .LBB6_99
; %bb.98:                               ;   in Loop: Header=BB6_57 Depth=2
	s_waitcnt vmcnt(0) lgkmcnt(0)
	buffer_wbinvl1_vol
	s_barrier
.LBB6_99:                               ;   in Loop: Header=BB6_57 Depth=2
	s_or_b64 exec, exec, s[28:29]
.LBB6_100:                              ;   in Loop: Header=BB6_57 Depth=2
	s_or_b64 exec, exec, s[26:27]
	s_trap 2
	buffer_load_dword v1, off, s[0:3], s33 offset:72 ; 4-byte Folded Reload
	ds_read_b32 v0, v0
	s_xor_b64 s[26:27], s[10:11], -1
	s_waitcnt vmcnt(0)
	v_and_b32_e32 v1, 0x4000, v1
	v_cmp_ne_u32_e32 vcc, 0, v1
	s_and_b64 s[28:29], s[26:27], vcc
	s_and_saveexec_b64 s[26:27], s[28:29]
	s_cbranch_execz .LBB6_119
; %bb.101:                              ;   in Loop: Header=BB6_57 Depth=2
	s_and_saveexec_b64 s[28:29], s[58:59]
	s_xor_b64 s[28:29], exec, s[28:29]
	s_cbranch_execz .LBB6_116
; %bb.102:                              ;   in Loop: Header=BB6_57 Depth=2
	s_and_saveexec_b64 s[92:93], s[6:7]
	s_cbranch_execz .LBB6_115
; %bb.103:                              ;   in Loop: Header=BB6_57 Depth=2
	s_mov_b64 s[30:31], exec
	v_mbcnt_lo_u32_b32 v1, s30, 0
	v_mbcnt_hi_u32_b32 v1, s31, v1
	v_cmp_eq_u32_e32 vcc, 0, v1
	s_waitcnt lgkmcnt(0)
	buffer_wbinvl1_vol
	s_and_saveexec_b64 s[94:95], vcc
	s_cbranch_execz .LBB6_105
; %bb.104:                              ;   in Loop: Header=BB6_57 Depth=2
	s_bcnt1_i32_b64 s45, s[30:31]
	v_mov_b32_e32 v1, s45
	v_mov_b32_e32 v2, v51
	ds_add_u64 v0, v[1:2]
	s_trap 2
.LBB6_105:                              ;   in Loop: Header=BB6_57 Depth=2
	s_or_b64 exec, exec, s[94:95]
	s_trap 2
	ds_read_b64 v[1:2], v0
	s_waitcnt lgkmcnt(0)
	buffer_load_dword v3, off, s[0:3], s33 offset:76 ; 4-byte Folded Reload
	buffer_load_dword v4, off, s[0:3], s33 offset:80 ; 4-byte Folded Reload
	;; [unrolled: 1-line block ×3, first 2 shown]
	s_waitcnt vmcnt(0)
	v_add_co_u32_e32 v3, vcc, v3, v5
	v_addc_co_u32_e32 v4, vcc, 0, v4, vcc
	buffer_store_dword v3, off, s[0:3], s33 offset:76 ; 4-byte Folded Spill
	s_nop 0
	buffer_store_dword v4, off, s[0:3], s33 offset:80 ; 4-byte Folded Spill
	v_cmp_lt_u64_e32 vcc, v[1:2], v[3:4]
	s_and_saveexec_b64 s[94:95], vcc
	s_cbranch_execz .LBB6_114
; %bb.106:                              ;   in Loop: Header=BB6_57 Depth=2
	s_mov_b32 s45, 0
	s_mov_b64 s[30:31], 0
                                        ; implicit-def: $sgpr34_sgpr35
                                        ; implicit-def: $sgpr36_sgpr37
	s_branch .LBB6_108
.LBB6_107:                              ;   in Loop: Header=BB6_108 Depth=3
	s_or_b64 exec, exec, s[48:49]
	s_and_b64 vcc, exec, vcc
	s_or_b64 s[30:31], vcc, s[30:31]
	s_andn2_b64 vcc, s[34:35], exec
	s_and_b64 s[34:35], s[36:37], exec
	s_or_b64 s[34:35], vcc, s[34:35]
	s_andn2_b64 exec, exec, s[30:31]
	s_cbranch_execz .LBB6_112
.LBB6_108:                              ;   Parent Loop BB6_47 Depth=1
                                        ;     Parent Loop BB6_57 Depth=2
                                        ; =>    This Inner Loop Header: Depth=3
	s_add_i32 s45, s45, 1
	s_cmpk_lg_i32 s45, 0x2710
	s_cselect_b64 s[38:39], -1, 0
	s_and_b64 vcc, exec, s[38:39]
	s_cbranch_vccz .LBB6_110
; %bb.109:                              ;   in Loop: Header=BB6_108 Depth=3
	s_mov_b64 vcc, -1
	s_or_b64 s[36:37], s[36:37], exec
	s_and_saveexec_b64 s[48:49], s[38:39]
	s_cbranch_execz .LBB6_107
	s_branch .LBB6_111
.LBB6_110:                              ;   in Loop: Header=BB6_108 Depth=3
	s_trap 2
	ds_read_b64 v[1:2], v0
	s_andn2_b64 s[38:39], s[38:39], exec
	s_mov_b32 s45, 0
	s_waitcnt vmcnt(0) lgkmcnt(0)
	flat_load_dword v1, v[1:2] glc
	s_waitcnt vmcnt(0) lgkmcnt(0)
	buffer_wbinvl1_vol
	v_cmp_eq_u32_e32 vcc, 0, v1
	s_and_b64 vcc, vcc, exec
	s_or_b64 s[38:39], s[38:39], vcc
	s_mov_b64 vcc, -1
	s_or_b64 s[36:37], s[36:37], exec
	s_and_saveexec_b64 s[48:49], s[38:39]
	s_cbranch_execz .LBB6_107
.LBB6_111:                              ;   in Loop: Header=BB6_108 Depth=3
	s_sleep 1
	s_trap 2
	ds_read_b64 v[1:2], v0
	s_waitcnt lgkmcnt(0)
	buffer_load_dword v3, off, s[0:3], s33 offset:76 ; 4-byte Folded Reload
	buffer_load_dword v4, off, s[0:3], s33 offset:80 ; 4-byte Folded Reload
	s_andn2_b64 s[36:37], s[36:37], exec
	s_waitcnt vmcnt(0)
	v_cmp_ge_u64_e32 vcc, v[1:2], v[3:4]
	s_orn2_b64 vcc, vcc, exec
	s_branch .LBB6_107
.LBB6_112:                              ;   in Loop: Header=BB6_57 Depth=2
	s_or_b64 exec, exec, s[30:31]
	s_and_saveexec_b64 vcc, s[34:35]
	s_xor_b64 vcc, exec, vcc
	s_cbranch_execz .LBB6_114
; %bb.113:                              ;   in Loop: Header=BB6_57 Depth=2
	v_mov_b32_e32 v1, 1
	ds_write_b32 v0, v1
	s_trap 2
.LBB6_114:                              ;   in Loop: Header=BB6_57 Depth=2
	s_or_b64 exec, exec, s[94:95]
	;;#ASMSTART
	s_wakeup
	;;#ASMEND
.LBB6_115:                              ;   in Loop: Header=BB6_57 Depth=2
	s_or_b64 exec, exec, s[92:93]
.LBB6_116:                              ;   in Loop: Header=BB6_57 Depth=2
	s_andn2_saveexec_b64 s[28:29], s[28:29]
	s_cbranch_execz .LBB6_118
; %bb.117:                              ;   in Loop: Header=BB6_57 Depth=2
	s_waitcnt vmcnt(0) lgkmcnt(0)
	buffer_wbinvl1_vol
	s_barrier
.LBB6_118:                              ;   in Loop: Header=BB6_57 Depth=2
	s_or_b64 exec, exec, s[28:29]
.LBB6_119:                              ;   in Loop: Header=BB6_57 Depth=2
	s_or_b64 exec, exec, s[26:27]
	s_trap 2
	s_waitcnt lgkmcnt(0)
	ds_read_b64 v[56:57], v0
	s_waitcnt lgkmcnt(0)
	v_cmp_eq_u64_e32 vcc, 0, v[56:57]
	s_cbranch_vccnz .LBB6_127
; %bb.120:                              ;   in Loop: Header=BB6_57 Depth=2
	s_trap 2
	ds_read_b64 v[58:59], v0
	s_waitcnt lgkmcnt(0)
	v_cmp_eq_u64_e32 vcc, 0, v[58:59]
	s_cbranch_vccnz .LBB6_127
; %bb.121:                              ;   in Loop: Header=BB6_57 Depth=2
	s_mov_b64 s[28:29], -1
	s_and_saveexec_b64 s[26:27], s[14:15]
	s_cbranch_execz .LBB6_123
; %bb.122:                              ;   in Loop: Header=BB6_57 Depth=2
	ds_read_b32 v1, v0 offset:720
	s_waitcnt lgkmcnt(0)
	v_and_b32_e32 v1, 15, v1
	v_cmp_eq_u32_e32 vcc, 0, v1
	s_orn2_b64 s[28:29], vcc, exec
.LBB6_123:                              ;   in Loop: Header=BB6_57 Depth=2
	s_or_b64 exec, exec, s[26:27]
	s_and_saveexec_b64 s[26:27], s[16:17]
	s_cbranch_execz .LBB6_125
; %bb.124:                              ;   in Loop: Header=BB6_57 Depth=2
	ds_read_b32 v1, v0 offset:784
	s_waitcnt lgkmcnt(0)
	v_and_b32_e32 v1, 15, v1
	v_cmp_eq_u32_e32 vcc, 0, v1
	s_and_b64 s[92:93], s[28:29], vcc
	s_andn2_b64 s[28:29], s[28:29], exec
	s_and_b64 s[92:93], s[92:93], exec
	s_or_b64 s[28:29], s[28:29], s[92:93]
.LBB6_125:                              ;   in Loop: Header=BB6_57 Depth=2
	s_or_b64 exec, exec, s[26:27]
	buffer_load_dword v2, off, s[0:3], s33 offset:392 ; 4-byte Folded Reload
	s_xor_b64 s[28:29], s[28:29], -1
	v_cmp_eq_u32_e32 vcc, 0, v0
	v_cndmask_b32_e64 v0, 0, 1, s[28:29]
	v_cndmask_b32_e32 v1, 0, v45, vcc
	s_mov_b64 s[26:27], -1
	v_cmp_ne_u32_e32 vcc, 0, v0
	v_mov_b32_e32 v0, 0
	buffer_store_dword v1, off, s[0:3], s33 offset:604 ; 4-byte Folded Spill
	s_cbranch_vccz .LBB6_133
; %bb.126:                              ;   in Loop: Header=BB6_57 Depth=2
	s_and_saveexec_b64 s[28:29], s[26:27]
	s_cbranch_execnz .LBB6_3328
	s_branch .LBB6_4204
.LBB6_127:                              ;   in Loop: Header=BB6_57 Depth=2
	s_mov_b64 s[26:27], 0
	s_and_saveexec_b64 s[28:29], s[12:13]
	s_cbranch_execnz .LBB6_4205
.LBB6_128:                              ;   in Loop: Header=BB6_57 Depth=2
	s_or_b64 exec, exec, s[28:29]
                                        ; implicit-def: $vgpr0
	s_and_saveexec_b64 s[28:29], s[18:19]
	s_xor_b64 s[28:29], exec, s[28:29]
	s_cbranch_execz .LBB6_4223
.LBB6_129:                              ;   in Loop: Header=BB6_57 Depth=2
	buffer_load_dword v1, off, s[0:3], s33 offset:72 ; 4-byte Folded Reload
	s_waitcnt vmcnt(0)
	v_and_b32_e32 v0, 16, v1
	v_and_b32_e32 v1, 16, v1
	v_cmp_ne_u32_e32 vcc, 0, v1
	s_and_b64 s[92:93], vcc, s[26:27]
	s_and_saveexec_b64 s[26:27], s[92:93]
	s_cbranch_execz .LBB6_131
; %bb.130:                              ;   in Loop: Header=BB6_57 Depth=2
	v_mov_b32_e32 v0, 1
	s_waitcnt lgkmcnt(0)
	buffer_wbinvl1_vol
.LBB6_131:                              ;   in Loop: Header=BB6_57 Depth=2
	s_or_b64 exec, exec, s[26:27]
	s_andn2_saveexec_b64 s[26:27], s[28:29]
	s_cbranch_execnz .LBB6_4224
.LBB6_132:                              ;   in Loop: Header=BB6_57 Depth=2
	s_or_b64 exec, exec, s[26:27]
	v_cmp_ne_u32_e32 vcc, 0, v0
	s_and_saveexec_b64 s[26:27], vcc
	s_cbranch_execz .LBB6_56
	s_branch .LBB6_4242
.LBB6_133:                              ;   in Loop: Header=BB6_57 Depth=2
	buffer_store_dword v47, off, s[0:3], s33 offset:616 ; 4-byte Folded Spill
	buffer_store_dword v45, off, s[0:3], s33 offset:608 ; 4-byte Folded Spill
	s_nop 0
	buffer_store_dword v46, off, s[0:3], s33 offset:612 ; 4-byte Folded Spill
	buffer_load_dword v1, off, s[0:3], s33 offset:604 ; 4-byte Folded Reload
	s_waitcnt vmcnt(0)
	v_ashrrev_i32_e32 v0, 31, v1
	v_lshrrev_b32_e32 v0, 19, v0
	v_add_u32_e32 v0, v1, v0
	v_ashrrev_i32_e32 v1, 13, v0
	buffer_load_dword v0, off, s[0:3], s33 offset:428 ; 4-byte Folded Reload
	s_waitcnt vmcnt(0)
	v_sub_u32_e32 v60, v1, v0
	v_cmp_lt_i32_e32 vcc, 0, v60
	s_and_saveexec_b64 s[28:29], vcc
	s_cbranch_execz .LBB6_2961
; %bb.134:                              ;   in Loop: Header=BB6_57 Depth=2
	buffer_store_dword v1, off, s[0:3], s33 offset:632 ; 4-byte Folded Spill
	s_trap 2
	ds_read_b64 v[0:1], v0
	v_mov_b32_e32 v26, v58
	v_mov_b32_e32 v28, v56
	v_mov_b32_e32 v27, v59
	v_mov_b32_e32 v29, v57
	s_waitcnt lgkmcnt(0)
	v_readfirstlane_b32 s26, v0
	s_and_b32 s27, s26, 7
	s_flbit_i32_b32 s27, s27
	s_min_u32 s27, s27, 32
	s_and_b32 s45, s26, 0x7f
	s_bfe_u32 s92, s26, 0x40003
	s_sub_i32 s93, s27, 28
	s_sub_i32 s27, 29, s27
	s_cmp_lt_u32 s45, 8
	s_cselect_b32 s93, s93, 0
	s_cselect_b32 s27, s27, s92
	v_lshlrev_b64 v[0:1], s93, v[0:1]
	s_lshl_b32 s92, s26, 24
	s_lshl_b32 s27, s27, 23
	s_and_b32 s92, s92, 0x80000000
	s_add_i32 s27, s27, 0x3c000000
	v_lshlrev_b32_e32 v0, 20, v0
	s_or_b32 s27, s92, s27
	v_and_b32_e32 v0, 0x700000, v0
	s_cmpk_lg_i32 s45, 0x7f
	v_or_b32_e32 v0, s27, v0
	s_cselect_b64 vcc, -1, 0
	v_mov_b32_e32 v1, 0x7f800001
	v_cndmask_b32_e32 v0, v1, v0, vcc
	s_mov_b64 s[92:93], 0
	s_and_b32 s45, s26, 0xff
	buffer_store_dword v0, off, s[0:3], s33 offset:600 ; 4-byte Folded Spill
	s_branch .LBB6_136
.LBB6_135:                              ;   in Loop: Header=BB6_136 Depth=3
	s_or_b64 exec, exec, s[26:27]
	v_lshl_or_b32 v8, v36, 8, v17
	v_lshl_or_b32 v10, v32, 8, v30
	v_lshlrev_b32_e32 v9, 16, v37
	v_lshlrev_b32_e32 v11, 24, v38
	v_lshlrev_b32_e32 v1, 16, v1
	v_lshlrev_b32_e32 v12, 24, v33
	v_or3_b32 v9, v8, v9, v11
	v_or3_b32 v8, v10, v1, v12
	v_lshl_or_b32 v1, v19, 8, v39
	v_lshlrev_b32_e32 v10, 16, v48
	v_lshlrev_b32_e32 v11, 24, v49
	v_or3_b32 v10, v1, v10, v11
	v_lshl_or_b32 v1, v54, 8, v16
	v_lshlrev_b32_e32 v11, 24, v25
	v_lshlrev_b32_e32 v12, 16, v55
	v_or3_b32 v11, v1, v12, v11
	buffer_load_dword v1, off, s[0:3], s33 offset:556 ; 4-byte Folded Reload
	buffer_load_dword v4, off, s[0:3], s33 offset:560 ; 4-byte Folded Reload
	v_lshlrev_b32_e32 v3, 16, v3
	v_lshl_or_b32 v0, v61, 8, v0
	v_lshlrev_b32_e32 v5, 16, v5
	s_waitcnt vmcnt(0)
	v_lshl_or_b32 v1, v4, 8, v1
	buffer_load_dword v4, off, s[0:3], s33 offset:540 ; 4-byte Folded Reload
	buffer_load_dword v12, off, s[0:3], s33 offset:544 ; 4-byte Folded Reload
	;; [unrolled: 1-line block ×4, first 2 shown]
	s_waitcnt vmcnt(2)
	v_lshl_or_b32 v12, v12, 8, v4
	buffer_load_dword v4, off, s[0:3], s33 offset:564 ; 4-byte Folded Reload
	s_waitcnt vmcnt(2)
	v_lshlrev_b32_e32 v14, 16, v14
	s_waitcnt vmcnt(1)
	v_lshlrev_b32_e32 v15, 24, v15
	v_or3_b32 v12, v12, v14, v15
	v_lshlrev_b32_e32 v14, 24, v23
	s_waitcnt vmcnt(0)
	v_lshlrev_b32_e32 v13, 16, v4
	buffer_load_dword v4, off, s[0:3], s33 offset:568 ; 4-byte Folded Reload
	s_waitcnt vmcnt(0)
	v_lshlrev_b32_e32 v4, 24, v4
	v_or3_b32 v13, v1, v13, v4
	v_lshl_or_b32 v1, v21, 8, v20
	v_lshlrev_b32_e32 v4, 16, v22
	v_or3_b32 v14, v1, v4, v14
	v_lshl_or_b32 v1, v34, 8, v2
	v_lshlrev_b32_e32 v2, 24, v35
	v_or3_b32 v15, v1, v3, v2
	buffer_load_dword v1, off, s[0:3], s33 offset:492 ; 4-byte Folded Reload
	buffer_load_dword v2, off, s[0:3], s33 offset:496 ; 4-byte Folded Reload
	s_waitcnt vmcnt(0)
	v_lshl_or_b32 v1, v2, 8, v1
	buffer_load_dword v2, off, s[0:3], s33 offset:476 ; 4-byte Folded Reload
	buffer_load_dword v3, off, s[0:3], s33 offset:480 ; 4-byte Folded Reload
	buffer_load_dword v16, off, s[0:3], s33 offset:484 ; 4-byte Folded Reload
	buffer_load_dword v4, off, s[0:3], s33 offset:504 ; 4-byte Folded Reload
	buffer_load_dword v17, off, s[0:3], s33 offset:488 ; 4-byte Folded Reload
	s_waitcnt vmcnt(3)
	v_lshl_or_b32 v2, v3, 8, v2
	buffer_load_dword v3, off, s[0:3], s33 offset:500 ; 4-byte Folded Reload
	s_waitcnt vmcnt(3)
	v_lshlrev_b32_e32 v16, 16, v16
	s_waitcnt vmcnt(2)
	v_lshlrev_b32_e32 v4, 24, v4
	s_waitcnt vmcnt(1)
	v_lshlrev_b32_e32 v18, 24, v17
	v_or3_b32 v16, v2, v16, v18
	s_waitcnt vmcnt(0)
	v_lshlrev_b32_e32 v3, 16, v3
	v_or3_b32 v17, v1, v3, v4
	buffer_load_dword v1, off, s[0:3], s33 offset:508 ; 4-byte Folded Reload
	buffer_load_dword v2, off, s[0:3], s33 offset:512 ; 4-byte Folded Reload
	buffer_load_dword v3, off, s[0:3], s33 offset:520 ; 4-byte Folded Reload
	s_waitcnt vmcnt(1)
	v_lshl_or_b32 v1, v2, 8, v1
	buffer_load_dword v2, off, s[0:3], s33 offset:516 ; 4-byte Folded Reload
	s_waitcnt vmcnt(1)
	v_lshlrev_b32_e32 v3, 24, v3
	s_waitcnt vmcnt(0)
	v_lshlrev_b32_e32 v2, 16, v2
	v_or3_b32 v18, v1, v2, v3
	buffer_load_dword v1, off, s[0:3], s33 offset:524 ; 4-byte Folded Reload
	buffer_load_dword v2, off, s[0:3], s33 offset:528 ; 4-byte Folded Reload
	buffer_load_dword v3, off, s[0:3], s33 offset:532 ; 4-byte Folded Reload
	s_waitcnt vmcnt(1)
	v_lshl_or_b32 v1, v2, 8, v1
	buffer_load_dword v2, off, s[0:3], s33 offset:536 ; 4-byte Folded Reload
	s_waitcnt vmcnt(1)
	v_lshlrev_b32_e32 v3, 16, v3
	s_waitcnt vmcnt(0)
	v_lshlrev_b32_e32 v2, 24, v2
	v_or3_b32 v19, v1, v3, v2
	buffer_load_dword v1, off, s[0:3], s33 offset:308 ; 4-byte Folded Reload
	buffer_load_dword v2, off, s[0:3], s33 offset:312 ; 4-byte Folded Reload
	s_waitcnt vmcnt(0)
	v_lshl_or_b32 v1, v2, 8, v1
	buffer_load_dword v2, off, s[0:3], s33 offset:284 ; 4-byte Folded Reload
	buffer_load_dword v3, off, s[0:3], s33 offset:288 ; 4-byte Folded Reload
	buffer_load_dword v20, off, s[0:3], s33 offset:292 ; 4-byte Folded Reload
	buffer_load_dword v4, off, s[0:3], s33 offset:364 ; 4-byte Folded Reload
	buffer_load_dword v21, off, s[0:3], s33 offset:296 ; 4-byte Folded Reload
	s_waitcnt vmcnt(3)
	v_lshl_or_b32 v2, v3, 8, v2
	buffer_load_dword v3, off, s[0:3], s33 offset:360 ; 4-byte Folded Reload
	s_waitcnt vmcnt(3)
	v_lshlrev_b32_e32 v20, 16, v20
	s_waitcnt vmcnt(2)
	v_lshlrev_b32_e32 v4, 24, v4
	s_waitcnt vmcnt(1)
	v_lshlrev_b32_e32 v22, 24, v21
	v_or3_b32 v20, v2, v20, v22
	s_waitcnt vmcnt(0)
	v_lshlrev_b32_e32 v3, 16, v3
	v_or3_b32 v21, v1, v3, v4
	buffer_load_dword v1, off, s[0:3], s33 offset:420 ; 4-byte Folded Reload
	buffer_load_dword v2, off, s[0:3], s33 offset:436 ; 4-byte Folded Reload
	buffer_load_dword v3, off, s[0:3], s33 offset:452 ; 4-byte Folded Reload
	s_waitcnt vmcnt(1)
	v_lshl_or_b32 v1, v2, 8, v1
	buffer_load_dword v2, off, s[0:3], s33 offset:444 ; 4-byte Folded Reload
	s_waitcnt vmcnt(1)
	v_lshlrev_b32_e32 v3, 24, v3
	s_waitcnt vmcnt(0)
	v_lshlrev_b32_e32 v2, 16, v2
	v_or3_b32 v22, v1, v2, v3
	buffer_load_dword v1, off, s[0:3], s33 offset:456 ; 4-byte Folded Reload
	buffer_load_dword v2, off, s[0:3], s33 offset:460 ; 4-byte Folded Reload
	buffer_load_dword v3, off, s[0:3], s33 offset:464 ; 4-byte Folded Reload
	s_waitcnt vmcnt(1)
	v_lshl_or_b32 v1, v2, 8, v1
	buffer_load_dword v2, off, s[0:3], s33 offset:472 ; 4-byte Folded Reload
	s_waitcnt vmcnt(1)
	v_lshlrev_b32_e32 v3, 16, v3
	s_waitcnt vmcnt(0)
	;; [unrolled: 44-line block ×4, first 2 shown]
	v_lshlrev_b32_e32 v2, 24, v2
	v_or3_b32 v39, v1, v3, v2
	buffer_load_dword v1, off, s[0:3], s33 offset:108 ; 4-byte Folded Reload
	buffer_load_dword v2, off, s[0:3], s33 offset:112 ; 4-byte Folded Reload
	;; [unrolled: 1-line block ×5, first 2 shown]
	s_waitcnt vmcnt(3)
	v_lshl_or_b32 v1, v2, 8, v1
	buffer_load_dword v2, off, s[0:3], s33 offset:96 ; 4-byte Folded Reload
	s_waitcnt vmcnt(3)
	v_lshlrev_b32_e32 v4, 24, v4
	s_waitcnt vmcnt(2)
	v_lshlrev_b32_e32 v25, 16, v25
	;; [unrolled: 2-line block ×3, first 2 shown]
	s_waitcnt vmcnt(0)
	v_lshl_or_b32 v3, v2, 8, v53
	buffer_load_dword v2, off, s[0:3], s33 offset:116 ; 4-byte Folded Reload
	s_waitcnt vmcnt(0)
	v_lshlrev_b32_e32 v2, 16, v2
	v_or3_b32 v2, v1, v2, v4
	v_or3_b32 v1, v3, v25, v30
	buffer_load_dword v3, off, s[0:3], s33 offset:124 ; 4-byte Folded Reload
	buffer_load_dword v4, off, s[0:3], s33 offset:128 ; 4-byte Folded Reload
	;; [unrolled: 1-line block ×3, first 2 shown]
	s_waitcnt vmcnt(1)
	v_lshl_or_b32 v3, v4, 8, v3
	buffer_load_dword v4, off, s[0:3], s33 offset:132 ; 4-byte Folded Reload
	s_waitcnt vmcnt(1)
	v_lshlrev_b32_e32 v25, 24, v25
	s_waitcnt vmcnt(0)
	v_lshlrev_b32_e32 v4, 16, v4
	v_or3_b32 v3, v3, v4, v25
	buffer_load_dword v4, off, s[0:3], s33 offset:152 ; 4-byte Folded Reload
	buffer_load_dword v25, off, s[0:3], s33 offset:148 ; 4-byte Folded Reload
	;; [unrolled: 1-line block ×4, first 2 shown]
	s_waitcnt vmcnt(3)
	v_lshlrev_b32_e32 v4, 24, v4
	s_waitcnt vmcnt(2)
	v_lshlrev_b32_e32 v25, 16, v25
	s_waitcnt vmcnt(0)
	v_lshl_or_b32 v30, v48, 8, v30
	v_or3_b32 v4, v30, v25, v4
	buffer_load_dword v25, off, s[0:3], s33 offset:432 ; 4-byte Folded Reload
	s_waitcnt vmcnt(0)
	v_add_co_u32_e32 v53, vcc, v25, v26
	v_lshlrev_b32_e32 v25, 24, v46
	v_or3_b32 v46, v0, v5, v25
	v_lshl_or_b32 v0, v41, 8, v40
	v_lshlrev_b32_e32 v5, 16, v42
	v_lshlrev_b32_e32 v25, 24, v43
	v_or3_b32 v45, v0, v5, v25
	v_lshl_or_b32 v0, v50, 8, v47
	v_lshlrev_b32_e32 v5, 16, v6
	v_lshlrev_b32_e32 v6, 24, v24
	v_addc_co_u32_e32 v54, vcc, 0, v27, vcc
	v_or3_b32 v47, v0, v5, v6
	v_lshlrev_b32_e32 v0, 24, v44
	v_lshlrev_b32_e32 v5, 16, v52
	v_lshl_or_b32 v6, v31, 8, v7
	v_or3_b32 v48, v6, v5, v0
	v_add_co_u32_e32 v0, vcc, s46, v53
	global_store_dwordx4 v[53:54], v[1:4], off glc slc
	global_store_dwordx4 v[53:54], v[36:39], off offset:1024 glc slc
	global_store_dwordx4 v[53:54], v[32:35], off offset:2048 glc slc
	;; [unrolled: 1-line block ×3, first 2 shown]
	v_addc_co_u32_e32 v1, vcc, 0, v54, vcc
	global_store_dwordx4 v[0:1], v[16:19], off glc slc
	global_store_dwordx4 v[0:1], v[12:15], off offset:1024 glc slc
	global_store_dwordx4 v[0:1], v[8:11], off offset:2048 glc slc
	;; [unrolled: 1-line block ×3, first 2 shown]
	buffer_load_dword v0, off, s[0:3], s33 offset:92 ; 4-byte Folded Reload
	s_waitcnt vmcnt(0)
	v_sub_u32_e32 v60, v60, v0
	buffer_load_dword v0, off, s[0:3], s33 offset:576 ; 4-byte Folded Reload
	s_waitcnt vmcnt(0)
	v_add_co_u32_e32 v28, vcc, v28, v0
	v_addc_co_u32_e32 v29, vcc, 0, v29, vcc
	v_cmp_gt_i32_e32 vcc, 1, v60
	s_or_b64 s[92:93], vcc, s[92:93]
	v_add_co_u32_e32 v26, vcc, v26, v0
	v_addc_co_u32_e32 v27, vcc, 0, v27, vcc
	s_andn2_b64 exec, exec, s[92:93]
	s_cbranch_execz .LBB6_2960
.LBB6_136:                              ;   Parent Loop BB6_47 Depth=1
                                        ;     Parent Loop BB6_57 Depth=2
                                        ; =>    This Inner Loop Header: Depth=3
	buffer_load_dword v0, off, s[0:3], s33 offset:432 ; 4-byte Folded Reload
	s_cmpk_lt_i32 s45, 0x80
	s_cbranch_scc1 .LBB6_140
; %bb.137:                              ;   in Loop: Header=BB6_136 Depth=3
	s_and_b32 s94, 0xffff, s45
	s_mov_b64 s[26:27], -1
	s_cmpk_eq_i32 s94, 0x80
	s_cbranch_scc0 .LBB6_139
; %bb.138:                              ;   in Loop: Header=BB6_136 Depth=3
	s_mov_b64 s[26:27], 0
.LBB6_139:                              ;   in Loop: Header=BB6_136 Depth=3
	s_brev_b32 s30, 1
	s_branch .LBB6_142
.LBB6_140:                              ;   in Loop: Header=BB6_136 Depth=3
	s_mov_b64 s[26:27], 0
	s_brev_b32 s30, 1
	s_cbranch_execz .LBB6_142
; %bb.141:                              ;   in Loop: Header=BB6_136 Depth=3
	s_and_b32 s26, 0xffff, s45
	s_cmp_lg_u32 s26, 0
	s_mov_b32 s30, 0
	s_cselect_b64 s[26:27], -1, 0
.LBB6_142:                              ;   in Loop: Header=BB6_136 Depth=3
	s_andn2_b64 vcc, exec, s[26:27]
	v_mov_b32_e32 v18, s30
	s_cbranch_vccnz .LBB6_144
; %bb.143:                              ;   in Loop: Header=BB6_136 Depth=3
	buffer_load_dword v18, off, s[0:3], s33 offset:600 ; 4-byte Folded Reload
.LBB6_144:                              ;   in Loop: Header=BB6_136 Depth=3
	s_waitcnt vmcnt(0)
	v_add_co_u32_e32 v12, vcc, v0, v28
	v_addc_co_u32_e32 v13, vcc, 0, v29, vcc
	global_load_dwordx4 v[8:11], v[12:13], off glc slc
	v_mov_b32_e32 v0, 0
	s_waitcnt vmcnt(0)
	v_cmp_ne_u16_sdwa s[94:95], v8, v51 src0_sel:BYTE_0 src1_sel:DWORD
	s_and_saveexec_b64 s[26:27], s[94:95]
	s_cbranch_execz .LBB6_150
; %bb.145:                              ;   in Loop: Header=BB6_136 Depth=3
	v_cmp_ne_u16_sdwa vcc, v8, s96 src0_sel:BYTE_0 src1_sel:DWORD
	v_bfrev_b32_e32 v0, 1
	s_and_saveexec_b64 s[94:95], vcc
	s_cbranch_execz .LBB6_149
; %bb.146:                              ;   in Loop: Header=BB6_136 Depth=3
	v_and_b32_e32 v1, 0x7f, v8
	v_cmp_ne_u32_e32 vcc, s86, v1
	v_mov_b32_e32 v0, 0x7f800001
	s_and_saveexec_b64 s[30:31], vcc
	s_cbranch_execz .LBB6_148
; %bb.147:                              ;   in Loop: Header=BB6_136 Depth=3
	v_and_b32_e32 v0, 7, v8
	v_ffbh_u32_e32 v0, v0
	v_min_u32_e32 v0, 32, v0
	v_lshrrev_b32_e32 v2, 3, v1
	v_cmp_gt_u32_e32 vcc, 8, v1
	v_subrev_u32_e32 v1, 28, v0
	v_sub_u32_e32 v0, 29, v0
	v_cndmask_b32_e32 v2, v2, v0, vcc
	v_cndmask_b32_e32 v0, 0, v1, vcc
	v_lshlrev_b64 v[0:1], v0, v[8:9]
	v_lshlrev_b32_e32 v1, 24, v8
	v_lshlrev_b32_e32 v0, 20, v0
	v_bfrev_b32_e32 v3, 60
	v_and_b32_e32 v0, 0x700000, v0
	v_and_b32_e32 v1, 0x80000000, v1
	v_lshl_add_u32 v2, v2, 23, v3
	v_or3_b32 v0, v1, v2, v0
.LBB6_148:                              ;   in Loop: Header=BB6_136 Depth=3
	s_or_b64 exec, exec, s[30:31]
.LBB6_149:                              ;   in Loop: Header=BB6_136 Depth=3
	s_or_b64 exec, exec, s[94:95]
.LBB6_150:                              ;   in Loop: Header=BB6_136 Depth=3
	s_or_b64 exec, exec, s[26:27]
	v_mul_f32_e32 v1, v18, v0
	v_and_b32_e32 v2, 0x7f800000, v1
	v_mov_b32_e32 v3, v51
	v_cmp_ne_u64_e32 vcc, s[76:77], v[2:3]
                                        ; implicit-def: $vgpr53
	s_and_saveexec_b64 s[26:27], vcc
	s_xor_b64 s[94:95], exec, s[26:27]
	s_cbranch_execz .LBB6_164
; %bb.151:                              ;   in Loop: Header=BB6_136 Depth=3
	v_and_b32_e32 v2, 0x7fffffff, v1
	v_mov_b32_e32 v3, v51
	v_cmp_gt_u64_e32 vcc, s[78:79], v[2:3]
	v_and_b32_sdwa v0, v1, s96 dst_sel:DWORD dst_unused:UNUSED_PAD src0_sel:BYTE_3 src1_sel:DWORD
                                        ; implicit-def: $vgpr53
	s_and_saveexec_b64 s[26:27], vcc
	s_xor_b64 s[30:31], exec, s[26:27]
	s_cbranch_execz .LBB6_161
; %bb.152:                              ;   in Loop: Header=BB6_136 Depth=3
	v_mov_b32_e32 v53, 0
	v_cmp_ne_u32_e32 vcc, 0, v1
	s_and_saveexec_b64 s[34:35], vcc
	s_cbranch_execz .LBB6_160
; %bb.153:                              ;   in Loop: Header=BB6_136 Depth=3
	v_and_b32_e32 v3, 0x7fffff, v1
	v_bfe_u32 v1, v1, 23, 8
	v_cmp_gt_u32_e64 s[26:27], s97, v1
	v_sub_u32_e32 v2, 0x79, v1
	v_cmp_eq_u32_e32 vcc, 0, v1
	v_cndmask_b32_e64 v2, 0, v2, s[26:27]
	v_mov_b32_e32 v5, 0x78
	v_cndmask_b32_e32 v2, v2, v5, vcc
	v_add_u32_e32 v5, 20, v2
	v_or_b32_e32 v4, 0x800000, v3
	v_lshlrev_b64 v[5:6], v5, -1
	v_add_u32_e32 v7, 19, v2
	v_cndmask_b32_e32 v3, v4, v3, vcc
	v_lshlrev_b64 v[14:15], v7, 1
	v_mov_b32_e32 v4, v51
	v_bfi_b32 v6, v6, 0, 0
	v_bfi_b32 v5, v5, 0, v3
	v_cmp_eq_u64_e64 s[26:27], v[5:6], v[14:15]
	v_lshrrev_b64 v[14:15], v2, v[3:4]
	v_mov_b32_e32 v16, v15
	v_mov_b32_e32 v15, v14
	s_and_saveexec_b64 s[36:37], s[26:27]
; %bb.154:                              ;   in Loop: Header=BB6_136 Depth=3
	v_bfe_u32 v3, v14, 20, 1
	v_add_co_u32_e64 v3, s[26:27], v14, v3
	v_add_co_u32_e64 v15, s[26:27], -1, v3
; %bb.155:                              ;   in Loop: Header=BB6_136 Depth=3
	s_or_b64 exec, exec, s[36:37]
	v_add_u32_e32 v1, 0xffffff81, v1
	v_mov_b32_e32 v3, 0xffffff82
	v_cndmask_b32_e32 v1, v1, v3, vcc
	v_lshrrev_b32_e32 v3, 23, v14
	v_add3_u32 v3, v2, v1, v3
	v_add_u32_e32 v2, 6, v3
	v_and_b32_e32 v1, 0xfffff, v15
	v_add_u32_e32 v14, v1, v14
	v_mov_b32_e32 v15, v51
	v_cmp_ne_u32_e32 vcc, 0, v2
                                        ; implicit-def: $vgpr1
	s_and_saveexec_b64 s[26:27], vcc
	s_xor_b64 s[26:27], exec, s[26:27]
; %bb.156:                              ;   in Loop: Header=BB6_136 Depth=3
	v_cmp_lt_u64_e32 vcc, s[88:89], v[14:15]
	v_add_u32_e32 v1, 7, v3
	v_cndmask_b32_e32 v1, v2, v1, vcc
	v_cndmask_b32_e64 v2, 0, 1, vcc
	v_lshrrev_b64 v[14:15], v2, v[14:15]
; %bb.157:                              ;   in Loop: Header=BB6_136 Depth=3
	s_andn2_saveexec_b64 s[26:27], s[26:27]
; %bb.158:                              ;   in Loop: Header=BB6_136 Depth=3
	v_bfe_u32 v1, v14, 23, 1
; %bb.159:                              ;   in Loop: Header=BB6_136 Depth=3
	s_or_b64 exec, exec, s[26:27]
	v_lshrrev_b64 v[2:3], 20, v[14:15]
	v_cmp_gt_i32_e32 vcc, 16, v1
	v_cndmask_b32_e32 v3, 0, v3, vcc
	v_cndmask_b32_e32 v2, 7, v2, vcc
	v_cmp_eq_u32_e32 vcc, 0, v1
	v_min_i32_e32 v1, 15, v1
	v_cmp_eq_u64_e64 s[26:27], 0, v[2:3]
	v_lshlrev_b32_e32 v1, 3, v1
	v_and_b32_e32 v1, 0xf8, v1
	v_and_or_b32 v1, v2, 7, v1
	s_and_b64 s[26:27], vcc, s[26:27]
	v_cndmask_b32_e64 v1, v1, 0, s[26:27]
	v_or_b32_e32 v53, v1, v0
.LBB6_160:                              ;   in Loop: Header=BB6_136 Depth=3
	s_or_b64 exec, exec, s[34:35]
                                        ; implicit-def: $vgpr0
.LBB6_161:                              ;   in Loop: Header=BB6_136 Depth=3
	s_andn2_saveexec_b64 s[26:27], s[30:31]
; %bb.162:                              ;   in Loop: Header=BB6_136 Depth=3
	v_or_b32_e32 v53, 0x7e, v0
; %bb.163:                              ;   in Loop: Header=BB6_136 Depth=3
	s_or_b64 exec, exec, s[26:27]
                                        ; implicit-def: $vgpr1
.LBB6_164:                              ;   in Loop: Header=BB6_136 Depth=3
	s_andn2_saveexec_b64 s[26:27], s[94:95]
; %bb.165:                              ;   in Loop: Header=BB6_136 Depth=3
	v_or_b32_sdwa v53, v1, s86 dst_sel:DWORD dst_unused:UNUSED_PAD src0_sel:BYTE_3 src1_sel:DWORD
; %bb.166:                              ;   in Loop: Header=BB6_136 Depth=3
	s_or_b64 exec, exec, s[26:27]
	v_lshrrev_b16_e32 v14, 8, v8
	v_cmp_ne_u16_e32 vcc, 0, v14
	v_mov_b32_e32 v0, 0
	s_and_saveexec_b64 s[26:27], vcc
	s_cbranch_execz .LBB6_172
; %bb.167:                              ;   in Loop: Header=BB6_136 Depth=3
	v_cmp_ne_u16_e32 vcc, s96, v14
	v_bfrev_b32_e32 v0, 1
	s_and_saveexec_b64 s[94:95], vcc
	s_cbranch_execz .LBB6_171
; %bb.168:                              ;   in Loop: Header=BB6_136 Depth=3
	v_and_b32_e32 v1, 0x7f, v14
	v_cmp_ne_u32_e32 vcc, s86, v1
	v_mov_b32_e32 v0, 0x7f800001
	s_and_saveexec_b64 s[30:31], vcc
	s_cbranch_execz .LBB6_170
; %bb.169:                              ;   in Loop: Header=BB6_136 Depth=3
	v_and_b32_e32 v2, 7, v14
	v_ffbh_u32_e32 v0, v2
	v_min_u32_e32 v4, 32, v0
	v_subrev_u32_e32 v0, 28, v4
	v_lshrrev_b32_e32 v3, 3, v1
	v_cmp_gt_u32_e32 vcc, 8, v1
	v_lshlrev_b64 v[0:1], v0, v[14:15]
	v_sub_u32_e32 v1, 29, v4
	v_and_b32_e32 v0, 7, v0
	v_cndmask_b32_e32 v1, v3, v1, vcc
	v_cndmask_b32_e32 v0, v2, v0, vcc
	v_lshlrev_b32_e32 v2, 16, v8
	v_bfrev_b32_e32 v3, 60
	v_lshlrev_b32_e32 v0, 20, v0
	v_and_b32_e32 v2, 0x80000000, v2
	v_lshl_add_u32 v1, v1, 23, v3
	v_or3_b32 v0, v2, v1, v0
.LBB6_170:                              ;   in Loop: Header=BB6_136 Depth=3
	s_or_b64 exec, exec, s[30:31]
.LBB6_171:                              ;   in Loop: Header=BB6_136 Depth=3
	s_or_b64 exec, exec, s[94:95]
.LBB6_172:                              ;   in Loop: Header=BB6_136 Depth=3
	s_or_b64 exec, exec, s[26:27]
	v_mul_f32_e32 v1, v18, v0
	v_and_b32_e32 v2, 0x7f800000, v1
	v_mov_b32_e32 v3, v51
	v_cmp_ne_u64_e32 vcc, s[76:77], v[2:3]
                                        ; implicit-def: $vgpr0
                                        ; kill: killed $vgpr0
	s_and_saveexec_b64 s[26:27], vcc
	s_xor_b64 s[94:95], exec, s[26:27]
	s_cbranch_execz .LBB6_186
; %bb.173:                              ;   in Loop: Header=BB6_136 Depth=3
	v_and_b32_e32 v2, 0x7fffffff, v1
	v_mov_b32_e32 v3, v51
	v_cmp_gt_u64_e32 vcc, s[78:79], v[2:3]
	v_and_b32_sdwa v0, v1, s96 dst_sel:DWORD dst_unused:UNUSED_PAD src0_sel:BYTE_3 src1_sel:DWORD
                                        ; implicit-def: $vgpr2
                                        ; kill: killed $vgpr2
	s_and_saveexec_b64 s[26:27], vcc
	s_xor_b64 s[30:31], exec, s[26:27]
	s_cbranch_execz .LBB6_183
; %bb.174:                              ;   in Loop: Header=BB6_136 Depth=3
	v_mov_b32_e32 v2, 0
	v_cmp_ne_u32_e32 vcc, 0, v1
	buffer_store_dword v2, off, s[0:3], s33 offset:96 ; 4-byte Folded Spill
	s_and_saveexec_b64 s[34:35], vcc
	s_cbranch_execz .LBB6_182
; %bb.175:                              ;   in Loop: Header=BB6_136 Depth=3
	v_and_b32_e32 v3, 0x7fffff, v1
	v_bfe_u32 v1, v1, 23, 8
	v_cmp_gt_u32_e64 s[26:27], s97, v1
	v_sub_u32_e32 v2, 0x79, v1
	v_cmp_eq_u32_e32 vcc, 0, v1
	v_cndmask_b32_e64 v2, 0, v2, s[26:27]
	v_mov_b32_e32 v5, 0x78
	v_cndmask_b32_e32 v2, v2, v5, vcc
	v_add_u32_e32 v5, 20, v2
	v_or_b32_e32 v4, 0x800000, v3
	v_lshlrev_b64 v[5:6], v5, -1
	v_add_u32_e32 v7, 19, v2
	v_cndmask_b32_e32 v3, v4, v3, vcc
	v_lshlrev_b64 v[14:15], v7, 1
	v_mov_b32_e32 v4, v51
	v_bfi_b32 v6, v6, 0, 0
	v_bfi_b32 v5, v5, 0, v3
	v_cmp_eq_u64_e64 s[26:27], v[5:6], v[14:15]
	v_lshrrev_b64 v[14:15], v2, v[3:4]
	v_mov_b32_e32 v16, v15
	v_mov_b32_e32 v15, v14
	s_and_saveexec_b64 s[36:37], s[26:27]
; %bb.176:                              ;   in Loop: Header=BB6_136 Depth=3
	v_bfe_u32 v3, v14, 20, 1
	v_add_co_u32_e64 v3, s[26:27], v14, v3
	v_add_co_u32_e64 v15, s[26:27], -1, v3
; %bb.177:                              ;   in Loop: Header=BB6_136 Depth=3
	s_or_b64 exec, exec, s[36:37]
	v_add_u32_e32 v1, 0xffffff81, v1
	v_mov_b32_e32 v3, 0xffffff82
	v_cndmask_b32_e32 v1, v1, v3, vcc
	v_lshrrev_b32_e32 v3, 23, v14
	v_add3_u32 v3, v2, v1, v3
	v_add_u32_e32 v2, 6, v3
	v_and_b32_e32 v1, 0xfffff, v15
	v_add_u32_e32 v14, v1, v14
	v_mov_b32_e32 v15, v51
	v_cmp_ne_u32_e32 vcc, 0, v2
                                        ; implicit-def: $vgpr1
	s_and_saveexec_b64 s[26:27], vcc
	s_xor_b64 s[26:27], exec, s[26:27]
; %bb.178:                              ;   in Loop: Header=BB6_136 Depth=3
	v_cmp_lt_u64_e32 vcc, s[88:89], v[14:15]
	v_add_u32_e32 v1, 7, v3
	v_cndmask_b32_e32 v1, v2, v1, vcc
	v_cndmask_b32_e64 v2, 0, 1, vcc
	v_lshrrev_b64 v[14:15], v2, v[14:15]
; %bb.179:                              ;   in Loop: Header=BB6_136 Depth=3
	s_andn2_saveexec_b64 s[26:27], s[26:27]
; %bb.180:                              ;   in Loop: Header=BB6_136 Depth=3
	v_bfe_u32 v1, v14, 23, 1
; %bb.181:                              ;   in Loop: Header=BB6_136 Depth=3
	s_or_b64 exec, exec, s[26:27]
	v_lshrrev_b64 v[2:3], 20, v[14:15]
	v_cmp_gt_i32_e32 vcc, 16, v1
	v_cndmask_b32_e32 v3, 0, v3, vcc
	v_cndmask_b32_e32 v2, 7, v2, vcc
	v_cmp_eq_u32_e32 vcc, 0, v1
	v_min_i32_e32 v1, 15, v1
	v_cmp_eq_u64_e64 s[26:27], 0, v[2:3]
	v_lshlrev_b32_e32 v1, 3, v1
	v_and_b32_e32 v1, 0xf8, v1
	v_and_or_b32 v1, v2, 7, v1
	s_and_b64 s[26:27], vcc, s[26:27]
	v_cndmask_b32_e64 v1, v1, 0, s[26:27]
	v_or_b32_e32 v0, v1, v0
	buffer_store_dword v0, off, s[0:3], s33 offset:96 ; 4-byte Folded Spill
.LBB6_182:                              ;   in Loop: Header=BB6_136 Depth=3
	s_or_b64 exec, exec, s[34:35]
                                        ; implicit-def: $vgpr0
.LBB6_183:                              ;   in Loop: Header=BB6_136 Depth=3
	s_andn2_saveexec_b64 s[26:27], s[30:31]
	s_cbranch_execz .LBB6_185
; %bb.184:                              ;   in Loop: Header=BB6_136 Depth=3
	v_or_b32_e32 v0, 0x7e, v0
	buffer_store_dword v0, off, s[0:3], s33 offset:96 ; 4-byte Folded Spill
.LBB6_185:                              ;   in Loop: Header=BB6_136 Depth=3
	s_or_b64 exec, exec, s[26:27]
                                        ; implicit-def: $vgpr1
.LBB6_186:                              ;   in Loop: Header=BB6_136 Depth=3
	s_andn2_saveexec_b64 s[26:27], s[94:95]
	s_cbranch_execz .LBB6_188
; %bb.187:                              ;   in Loop: Header=BB6_136 Depth=3
	v_or_b32_sdwa v0, v1, s86 dst_sel:DWORD dst_unused:UNUSED_PAD src0_sel:BYTE_3 src1_sel:DWORD
	buffer_store_dword v0, off, s[0:3], s33 offset:96 ; 4-byte Folded Spill
.LBB6_188:                              ;   in Loop: Header=BB6_136 Depth=3
	s_or_b64 exec, exec, s[26:27]
	v_lshrrev_b32_e32 v14, 16, v8
	v_cmp_ne_u16_sdwa s[94:95], v14, v51 src0_sel:BYTE_0 src1_sel:DWORD
	v_mov_b32_e32 v0, 0
	s_and_saveexec_b64 s[26:27], s[94:95]
	s_cbranch_execz .LBB6_194
; %bb.189:                              ;   in Loop: Header=BB6_136 Depth=3
	v_cmp_ne_u16_sdwa vcc, v14, s96 src0_sel:BYTE_0 src1_sel:DWORD
	v_bfrev_b32_e32 v0, 1
	s_and_saveexec_b64 s[94:95], vcc
	s_cbranch_execz .LBB6_193
; %bb.190:                              ;   in Loop: Header=BB6_136 Depth=3
	v_bfe_u32 v1, v8, 16, 7
	v_cmp_ne_u32_e32 vcc, s86, v1
	v_mov_b32_e32 v0, 0x7f800001
	s_and_saveexec_b64 s[30:31], vcc
	s_cbranch_execz .LBB6_192
; %bb.191:                              ;   in Loop: Header=BB6_136 Depth=3
	v_and_b32_e32 v2, 7, v14
	v_ffbh_u32_e32 v0, v2
	v_min_u32_e32 v4, 32, v0
	v_subrev_u32_e32 v0, 28, v4
	v_lshrrev_b32_e32 v3, 3, v1
	v_cmp_gt_u32_e32 vcc, 8, v1
	v_lshlrev_b64 v[0:1], v0, v[14:15]
	v_sub_u32_e32 v1, 29, v4
	v_and_b32_e32 v0, 7, v0
	v_cndmask_b32_e32 v1, v3, v1, vcc
	v_cndmask_b32_e32 v0, v2, v0, vcc
	v_lshlrev_b32_e32 v2, 24, v14
	v_bfrev_b32_e32 v3, 60
	v_lshlrev_b32_e32 v0, 20, v0
	v_and_b32_e32 v2, 0x80000000, v2
	v_lshl_add_u32 v1, v1, 23, v3
	v_or3_b32 v0, v2, v1, v0
.LBB6_192:                              ;   in Loop: Header=BB6_136 Depth=3
	s_or_b64 exec, exec, s[30:31]
.LBB6_193:                              ;   in Loop: Header=BB6_136 Depth=3
	s_or_b64 exec, exec, s[94:95]
.LBB6_194:                              ;   in Loop: Header=BB6_136 Depth=3
	s_or_b64 exec, exec, s[26:27]
	v_mul_f32_e32 v1, v18, v0
	v_and_b32_e32 v2, 0x7f800000, v1
	v_mov_b32_e32 v3, v51
	v_cmp_ne_u64_e32 vcc, s[76:77], v[2:3]
                                        ; implicit-def: $vgpr0
                                        ; kill: killed $vgpr0
	s_and_saveexec_b64 s[26:27], vcc
	s_xor_b64 s[94:95], exec, s[26:27]
	s_cbranch_execz .LBB6_208
; %bb.195:                              ;   in Loop: Header=BB6_136 Depth=3
	v_and_b32_e32 v2, 0x7fffffff, v1
	v_mov_b32_e32 v3, v51
	v_cmp_gt_u64_e32 vcc, s[78:79], v[2:3]
	v_and_b32_sdwa v0, v1, s96 dst_sel:DWORD dst_unused:UNUSED_PAD src0_sel:BYTE_3 src1_sel:DWORD
                                        ; implicit-def: $vgpr2
                                        ; kill: killed $vgpr2
	s_and_saveexec_b64 s[26:27], vcc
	s_xor_b64 s[30:31], exec, s[26:27]
	s_cbranch_execz .LBB6_205
; %bb.196:                              ;   in Loop: Header=BB6_136 Depth=3
	v_mov_b32_e32 v2, 0
	v_cmp_ne_u32_e32 vcc, 0, v1
	buffer_store_dword v2, off, s[0:3], s33 offset:100 ; 4-byte Folded Spill
	s_and_saveexec_b64 s[34:35], vcc
	s_cbranch_execz .LBB6_204
; %bb.197:                              ;   in Loop: Header=BB6_136 Depth=3
	v_and_b32_e32 v3, 0x7fffff, v1
	v_bfe_u32 v1, v1, 23, 8
	v_cmp_gt_u32_e64 s[26:27], s97, v1
	v_sub_u32_e32 v2, 0x79, v1
	v_cmp_eq_u32_e32 vcc, 0, v1
	v_cndmask_b32_e64 v2, 0, v2, s[26:27]
	v_mov_b32_e32 v5, 0x78
	v_cndmask_b32_e32 v2, v2, v5, vcc
	v_add_u32_e32 v5, 20, v2
	v_or_b32_e32 v4, 0x800000, v3
	v_lshlrev_b64 v[5:6], v5, -1
	v_add_u32_e32 v7, 19, v2
	v_cndmask_b32_e32 v3, v4, v3, vcc
	v_lshlrev_b64 v[14:15], v7, 1
	v_mov_b32_e32 v4, v51
	v_bfi_b32 v6, v6, 0, 0
	v_bfi_b32 v5, v5, 0, v3
	v_cmp_eq_u64_e64 s[26:27], v[5:6], v[14:15]
	v_lshrrev_b64 v[14:15], v2, v[3:4]
	v_mov_b32_e32 v16, v15
	v_mov_b32_e32 v15, v14
	s_and_saveexec_b64 s[36:37], s[26:27]
; %bb.198:                              ;   in Loop: Header=BB6_136 Depth=3
	v_bfe_u32 v3, v14, 20, 1
	v_add_co_u32_e64 v3, s[26:27], v14, v3
	v_add_co_u32_e64 v15, s[26:27], -1, v3
; %bb.199:                              ;   in Loop: Header=BB6_136 Depth=3
	s_or_b64 exec, exec, s[36:37]
	v_add_u32_e32 v1, 0xffffff81, v1
	v_mov_b32_e32 v3, 0xffffff82
	v_cndmask_b32_e32 v1, v1, v3, vcc
	v_lshrrev_b32_e32 v3, 23, v14
	v_add3_u32 v3, v2, v1, v3
	v_add_u32_e32 v2, 6, v3
	v_and_b32_e32 v1, 0xfffff, v15
	v_add_u32_e32 v14, v1, v14
	v_mov_b32_e32 v15, v51
	v_cmp_ne_u32_e32 vcc, 0, v2
                                        ; implicit-def: $vgpr1
	s_and_saveexec_b64 s[26:27], vcc
	s_xor_b64 s[26:27], exec, s[26:27]
; %bb.200:                              ;   in Loop: Header=BB6_136 Depth=3
	v_cmp_lt_u64_e32 vcc, s[88:89], v[14:15]
	v_add_u32_e32 v1, 7, v3
	v_cndmask_b32_e32 v1, v2, v1, vcc
	v_cndmask_b32_e64 v2, 0, 1, vcc
	v_lshrrev_b64 v[14:15], v2, v[14:15]
; %bb.201:                              ;   in Loop: Header=BB6_136 Depth=3
	s_andn2_saveexec_b64 s[26:27], s[26:27]
; %bb.202:                              ;   in Loop: Header=BB6_136 Depth=3
	v_bfe_u32 v1, v14, 23, 1
; %bb.203:                              ;   in Loop: Header=BB6_136 Depth=3
	s_or_b64 exec, exec, s[26:27]
	v_lshrrev_b64 v[2:3], 20, v[14:15]
	v_cmp_gt_i32_e32 vcc, 16, v1
	v_cndmask_b32_e32 v3, 0, v3, vcc
	v_cndmask_b32_e32 v2, 7, v2, vcc
	v_cmp_eq_u32_e32 vcc, 0, v1
	v_min_i32_e32 v1, 15, v1
	v_cmp_eq_u64_e64 s[26:27], 0, v[2:3]
	v_lshlrev_b32_e32 v1, 3, v1
	v_and_b32_e32 v1, 0xf8, v1
	v_and_or_b32 v1, v2, 7, v1
	s_and_b64 s[26:27], vcc, s[26:27]
	v_cndmask_b32_e64 v1, v1, 0, s[26:27]
	v_or_b32_e32 v0, v1, v0
	buffer_store_dword v0, off, s[0:3], s33 offset:100 ; 4-byte Folded Spill
.LBB6_204:                              ;   in Loop: Header=BB6_136 Depth=3
	s_or_b64 exec, exec, s[34:35]
                                        ; implicit-def: $vgpr0
.LBB6_205:                              ;   in Loop: Header=BB6_136 Depth=3
	s_andn2_saveexec_b64 s[26:27], s[30:31]
	s_cbranch_execz .LBB6_207
; %bb.206:                              ;   in Loop: Header=BB6_136 Depth=3
	v_or_b32_e32 v0, 0x7e, v0
	buffer_store_dword v0, off, s[0:3], s33 offset:100 ; 4-byte Folded Spill
.LBB6_207:                              ;   in Loop: Header=BB6_136 Depth=3
	s_or_b64 exec, exec, s[26:27]
                                        ; implicit-def: $vgpr1
.LBB6_208:                              ;   in Loop: Header=BB6_136 Depth=3
	s_andn2_saveexec_b64 s[26:27], s[94:95]
	s_cbranch_execz .LBB6_210
; %bb.209:                              ;   in Loop: Header=BB6_136 Depth=3
	v_or_b32_sdwa v0, v1, s86 dst_sel:DWORD dst_unused:UNUSED_PAD src0_sel:BYTE_3 src1_sel:DWORD
	buffer_store_dword v0, off, s[0:3], s33 offset:100 ; 4-byte Folded Spill
.LBB6_210:                              ;   in Loop: Header=BB6_136 Depth=3
	s_or_b64 exec, exec, s[26:27]
	v_cmp_lt_u32_e32 vcc, s57, v8
	v_mov_b32_e32 v0, 0
	s_and_saveexec_b64 s[26:27], vcc
	s_cbranch_execz .LBB6_216
; %bb.211:                              ;   in Loop: Header=BB6_136 Depth=3
	v_lshrrev_b32_e32 v14, 24, v8
	v_cmp_ne_u32_e32 vcc, s96, v14
	v_bfrev_b32_e32 v0, 1
	s_and_saveexec_b64 s[94:95], vcc
	s_cbranch_execz .LBB6_215
; %bb.212:                              ;   in Loop: Header=BB6_136 Depth=3
	v_bfe_u32 v1, v8, 24, 7
	v_cmp_ne_u32_e32 vcc, s86, v1
	v_mov_b32_e32 v0, 0x7f800001
	s_and_saveexec_b64 s[30:31], vcc
	s_cbranch_execz .LBB6_214
; %bb.213:                              ;   in Loop: Header=BB6_136 Depth=3
	v_and_b32_e32 v2, 7, v14
	v_ffbh_u32_e32 v0, v2
	v_min_u32_e32 v4, 32, v0
	v_subrev_u32_e32 v0, 28, v4
	v_lshrrev_b32_e32 v3, 3, v1
	v_cmp_gt_u32_e32 vcc, 8, v1
	v_lshlrev_b64 v[0:1], v0, v[14:15]
	v_sub_u32_e32 v1, 29, v4
	v_and_b32_e32 v0, 7, v0
	v_cndmask_b32_e32 v1, v3, v1, vcc
	v_cndmask_b32_e32 v0, v2, v0, vcc
	v_lshlrev_b32_e32 v2, 24, v14
	v_bfrev_b32_e32 v3, 60
	v_lshlrev_b32_e32 v0, 20, v0
	v_and_b32_e32 v2, 0x80000000, v2
	v_lshl_add_u32 v1, v1, 23, v3
	v_or3_b32 v0, v2, v1, v0
.LBB6_214:                              ;   in Loop: Header=BB6_136 Depth=3
	s_or_b64 exec, exec, s[30:31]
.LBB6_215:                              ;   in Loop: Header=BB6_136 Depth=3
	s_or_b64 exec, exec, s[94:95]
.LBB6_216:                              ;   in Loop: Header=BB6_136 Depth=3
	s_or_b64 exec, exec, s[26:27]
	v_mul_f32_e32 v1, v18, v0
	v_and_b32_e32 v2, 0x7f800000, v1
	v_mov_b32_e32 v3, v51
	v_cmp_ne_u64_e32 vcc, s[76:77], v[2:3]
                                        ; implicit-def: $vgpr0
                                        ; kill: killed $vgpr0
	s_and_saveexec_b64 s[26:27], vcc
	s_xor_b64 s[94:95], exec, s[26:27]
	s_cbranch_execz .LBB6_230
; %bb.217:                              ;   in Loop: Header=BB6_136 Depth=3
	v_and_b32_e32 v2, 0x7fffffff, v1
	v_mov_b32_e32 v3, v51
	v_cmp_gt_u64_e32 vcc, s[78:79], v[2:3]
	v_and_b32_sdwa v0, v1, s96 dst_sel:DWORD dst_unused:UNUSED_PAD src0_sel:BYTE_3 src1_sel:DWORD
                                        ; implicit-def: $vgpr2
                                        ; kill: killed $vgpr2
	s_and_saveexec_b64 s[26:27], vcc
	s_xor_b64 s[30:31], exec, s[26:27]
	s_cbranch_execz .LBB6_227
; %bb.218:                              ;   in Loop: Header=BB6_136 Depth=3
	v_mov_b32_e32 v2, 0
	v_cmp_ne_u32_e32 vcc, 0, v1
	buffer_store_dword v2, off, s[0:3], s33 offset:104 ; 4-byte Folded Spill
	s_and_saveexec_b64 s[34:35], vcc
	s_cbranch_execz .LBB6_226
; %bb.219:                              ;   in Loop: Header=BB6_136 Depth=3
	v_and_b32_e32 v3, 0x7fffff, v1
	v_bfe_u32 v1, v1, 23, 8
	v_cmp_gt_u32_e64 s[26:27], s97, v1
	v_sub_u32_e32 v2, 0x79, v1
	v_cmp_eq_u32_e32 vcc, 0, v1
	v_cndmask_b32_e64 v2, 0, v2, s[26:27]
	v_mov_b32_e32 v5, 0x78
	v_cndmask_b32_e32 v2, v2, v5, vcc
	v_add_u32_e32 v5, 20, v2
	v_or_b32_e32 v4, 0x800000, v3
	v_lshlrev_b64 v[5:6], v5, -1
	v_add_u32_e32 v7, 19, v2
	v_cndmask_b32_e32 v3, v4, v3, vcc
	v_lshlrev_b64 v[14:15], v7, 1
	v_mov_b32_e32 v4, v51
	v_bfi_b32 v6, v6, 0, 0
	v_bfi_b32 v5, v5, 0, v3
	v_cmp_eq_u64_e64 s[26:27], v[5:6], v[14:15]
	v_lshrrev_b64 v[14:15], v2, v[3:4]
	v_mov_b32_e32 v16, v15
	v_mov_b32_e32 v15, v14
	s_and_saveexec_b64 s[36:37], s[26:27]
; %bb.220:                              ;   in Loop: Header=BB6_136 Depth=3
	v_bfe_u32 v3, v14, 20, 1
	v_add_co_u32_e64 v3, s[26:27], v14, v3
	v_add_co_u32_e64 v15, s[26:27], -1, v3
; %bb.221:                              ;   in Loop: Header=BB6_136 Depth=3
	s_or_b64 exec, exec, s[36:37]
	v_add_u32_e32 v1, 0xffffff81, v1
	v_mov_b32_e32 v3, 0xffffff82
	v_cndmask_b32_e32 v1, v1, v3, vcc
	v_lshrrev_b32_e32 v3, 23, v14
	v_add3_u32 v3, v2, v1, v3
	v_add_u32_e32 v2, 6, v3
	v_and_b32_e32 v1, 0xfffff, v15
	v_add_u32_e32 v14, v1, v14
	v_mov_b32_e32 v15, v51
	v_cmp_ne_u32_e32 vcc, 0, v2
                                        ; implicit-def: $vgpr1
	s_and_saveexec_b64 s[26:27], vcc
	s_xor_b64 s[26:27], exec, s[26:27]
; %bb.222:                              ;   in Loop: Header=BB6_136 Depth=3
	v_cmp_lt_u64_e32 vcc, s[88:89], v[14:15]
	v_add_u32_e32 v1, 7, v3
	v_cndmask_b32_e32 v1, v2, v1, vcc
	v_cndmask_b32_e64 v2, 0, 1, vcc
	v_lshrrev_b64 v[14:15], v2, v[14:15]
; %bb.223:                              ;   in Loop: Header=BB6_136 Depth=3
	s_andn2_saveexec_b64 s[26:27], s[26:27]
; %bb.224:                              ;   in Loop: Header=BB6_136 Depth=3
	v_bfe_u32 v1, v14, 23, 1
; %bb.225:                              ;   in Loop: Header=BB6_136 Depth=3
	s_or_b64 exec, exec, s[26:27]
	v_lshrrev_b64 v[2:3], 20, v[14:15]
	v_cmp_gt_i32_e32 vcc, 16, v1
	v_cndmask_b32_e32 v3, 0, v3, vcc
	v_cndmask_b32_e32 v2, 7, v2, vcc
	v_cmp_eq_u32_e32 vcc, 0, v1
	v_min_i32_e32 v1, 15, v1
	v_cmp_eq_u64_e64 s[26:27], 0, v[2:3]
	v_lshlrev_b32_e32 v1, 3, v1
	v_and_b32_e32 v1, 0xf8, v1
	v_and_or_b32 v1, v2, 7, v1
	s_and_b64 s[26:27], vcc, s[26:27]
	v_cndmask_b32_e64 v1, v1, 0, s[26:27]
	v_or_b32_e32 v0, v1, v0
	buffer_store_dword v0, off, s[0:3], s33 offset:104 ; 4-byte Folded Spill
.LBB6_226:                              ;   in Loop: Header=BB6_136 Depth=3
	s_or_b64 exec, exec, s[34:35]
                                        ; implicit-def: $vgpr0
.LBB6_227:                              ;   in Loop: Header=BB6_136 Depth=3
	s_andn2_saveexec_b64 s[26:27], s[30:31]
	s_cbranch_execz .LBB6_229
; %bb.228:                              ;   in Loop: Header=BB6_136 Depth=3
	v_or_b32_e32 v0, 0x7e, v0
	buffer_store_dword v0, off, s[0:3], s33 offset:104 ; 4-byte Folded Spill
.LBB6_229:                              ;   in Loop: Header=BB6_136 Depth=3
	s_or_b64 exec, exec, s[26:27]
                                        ; implicit-def: $vgpr1
.LBB6_230:                              ;   in Loop: Header=BB6_136 Depth=3
	s_andn2_saveexec_b64 s[26:27], s[94:95]
	s_cbranch_execz .LBB6_232
; %bb.231:                              ;   in Loop: Header=BB6_136 Depth=3
	v_or_b32_sdwa v0, v1, s86 dst_sel:DWORD dst_unused:UNUSED_PAD src0_sel:BYTE_3 src1_sel:DWORD
	buffer_store_dword v0, off, s[0:3], s33 offset:104 ; 4-byte Folded Spill
.LBB6_232:                              ;   in Loop: Header=BB6_136 Depth=3
	s_or_b64 exec, exec, s[26:27]
	v_mov_b32_e32 v14, v9
	v_mov_b32_e32 v15, v51
	v_cmp_ne_u16_sdwa s[94:95], v9, v51 src0_sel:BYTE_0 src1_sel:DWORD
	v_mov_b32_e32 v0, 0
	s_and_saveexec_b64 s[26:27], s[94:95]
	s_cbranch_execz .LBB6_238
; %bb.233:                              ;   in Loop: Header=BB6_136 Depth=3
	v_cmp_ne_u16_sdwa vcc, v9, s96 src0_sel:BYTE_0 src1_sel:DWORD
	v_bfrev_b32_e32 v0, 1
	s_and_saveexec_b64 s[94:95], vcc
	s_cbranch_execz .LBB6_237
; %bb.234:                              ;   in Loop: Header=BB6_136 Depth=3
	v_and_b32_e32 v1, 0x7f, v9
	v_cmp_ne_u32_e32 vcc, s86, v1
	v_mov_b32_e32 v0, 0x7f800001
	s_and_saveexec_b64 s[30:31], vcc
	s_cbranch_execz .LBB6_236
; %bb.235:                              ;   in Loop: Header=BB6_136 Depth=3
	v_and_b32_e32 v0, 7, v9
	v_ffbh_u32_e32 v0, v0
	v_min_u32_e32 v0, 32, v0
	v_lshrrev_b32_e32 v2, 3, v1
	v_cmp_gt_u32_e32 vcc, 8, v1
	v_subrev_u32_e32 v1, 28, v0
	v_sub_u32_e32 v0, 29, v0
	v_cndmask_b32_e32 v2, v2, v0, vcc
	v_cndmask_b32_e32 v0, 0, v1, vcc
	v_lshlrev_b64 v[0:1], v0, v[14:15]
	v_lshlrev_b32_e32 v1, 24, v14
	v_lshlrev_b32_e32 v0, 20, v0
	v_bfrev_b32_e32 v3, 60
	v_and_b32_e32 v0, 0x700000, v0
	v_and_b32_e32 v1, 0x80000000, v1
	v_lshl_add_u32 v2, v2, 23, v3
	v_or3_b32 v0, v1, v2, v0
.LBB6_236:                              ;   in Loop: Header=BB6_136 Depth=3
	s_or_b64 exec, exec, s[30:31]
.LBB6_237:                              ;   in Loop: Header=BB6_136 Depth=3
	s_or_b64 exec, exec, s[94:95]
.LBB6_238:                              ;   in Loop: Header=BB6_136 Depth=3
	s_or_b64 exec, exec, s[26:27]
	v_mul_f32_e32 v1, v18, v0
	v_and_b32_e32 v2, 0x7f800000, v1
	v_mov_b32_e32 v3, v51
	v_cmp_ne_u64_e32 vcc, s[76:77], v[2:3]
                                        ; implicit-def: $vgpr0
                                        ; kill: killed $vgpr0
	s_and_saveexec_b64 s[26:27], vcc
	s_xor_b64 s[94:95], exec, s[26:27]
	s_cbranch_execz .LBB6_252
; %bb.239:                              ;   in Loop: Header=BB6_136 Depth=3
	v_and_b32_e32 v2, 0x7fffffff, v1
	v_mov_b32_e32 v3, v51
	v_cmp_gt_u64_e32 vcc, s[78:79], v[2:3]
	v_and_b32_sdwa v0, v1, s96 dst_sel:DWORD dst_unused:UNUSED_PAD src0_sel:BYTE_3 src1_sel:DWORD
                                        ; implicit-def: $vgpr2
                                        ; kill: killed $vgpr2
	s_and_saveexec_b64 s[26:27], vcc
	s_xor_b64 s[30:31], exec, s[26:27]
	s_cbranch_execz .LBB6_249
; %bb.240:                              ;   in Loop: Header=BB6_136 Depth=3
	v_mov_b32_e32 v2, 0
	v_cmp_ne_u32_e32 vcc, 0, v1
	buffer_store_dword v2, off, s[0:3], s33 offset:108 ; 4-byte Folded Spill
	s_and_saveexec_b64 s[34:35], vcc
	s_cbranch_execz .LBB6_248
; %bb.241:                              ;   in Loop: Header=BB6_136 Depth=3
	v_and_b32_e32 v3, 0x7fffff, v1
	v_bfe_u32 v1, v1, 23, 8
	v_cmp_gt_u32_e64 s[26:27], s97, v1
	v_sub_u32_e32 v2, 0x79, v1
	v_cmp_eq_u32_e32 vcc, 0, v1
	v_cndmask_b32_e64 v2, 0, v2, s[26:27]
	v_mov_b32_e32 v5, 0x78
	v_cndmask_b32_e32 v2, v2, v5, vcc
	v_add_u32_e32 v5, 20, v2
	v_or_b32_e32 v4, 0x800000, v3
	v_lshlrev_b64 v[5:6], v5, -1
	v_add_u32_e32 v7, 19, v2
	v_cndmask_b32_e32 v3, v4, v3, vcc
	v_lshlrev_b64 v[15:16], v7, 1
	v_mov_b32_e32 v4, v51
	v_bfi_b32 v6, v6, 0, 0
	v_bfi_b32 v5, v5, 0, v3
	v_cmp_eq_u64_e64 s[26:27], v[5:6], v[15:16]
	v_lshrrev_b64 v[15:16], v2, v[3:4]
	v_mov_b32_e32 v17, v16
	v_mov_b32_e32 v16, v15
	s_and_saveexec_b64 s[36:37], s[26:27]
; %bb.242:                              ;   in Loop: Header=BB6_136 Depth=3
	v_bfe_u32 v3, v15, 20, 1
	v_add_co_u32_e64 v3, s[26:27], v15, v3
	v_add_co_u32_e64 v16, s[26:27], -1, v3
; %bb.243:                              ;   in Loop: Header=BB6_136 Depth=3
	s_or_b64 exec, exec, s[36:37]
	v_add_u32_e32 v1, 0xffffff81, v1
	v_mov_b32_e32 v3, 0xffffff82
	v_cndmask_b32_e32 v1, v1, v3, vcc
	v_lshrrev_b32_e32 v3, 23, v15
	v_add3_u32 v3, v2, v1, v3
	v_add_u32_e32 v2, 6, v3
	v_and_b32_e32 v1, 0xfffff, v16
	v_add_u32_e32 v15, v1, v15
	v_mov_b32_e32 v16, v51
	v_cmp_ne_u32_e32 vcc, 0, v2
                                        ; implicit-def: $vgpr1
	s_and_saveexec_b64 s[26:27], vcc
	s_xor_b64 s[26:27], exec, s[26:27]
; %bb.244:                              ;   in Loop: Header=BB6_136 Depth=3
	v_cmp_lt_u64_e32 vcc, s[88:89], v[15:16]
	v_add_u32_e32 v1, 7, v3
	v_cndmask_b32_e32 v1, v2, v1, vcc
	v_cndmask_b32_e64 v2, 0, 1, vcc
	v_lshrrev_b64 v[15:16], v2, v[15:16]
; %bb.245:                              ;   in Loop: Header=BB6_136 Depth=3
	s_andn2_saveexec_b64 s[26:27], s[26:27]
; %bb.246:                              ;   in Loop: Header=BB6_136 Depth=3
	v_bfe_u32 v1, v15, 23, 1
; %bb.247:                              ;   in Loop: Header=BB6_136 Depth=3
	s_or_b64 exec, exec, s[26:27]
	v_lshrrev_b64 v[2:3], 20, v[15:16]
	v_cmp_gt_i32_e32 vcc, 16, v1
	v_cndmask_b32_e32 v3, 0, v3, vcc
	v_cndmask_b32_e32 v2, 7, v2, vcc
	v_cmp_eq_u32_e32 vcc, 0, v1
	v_min_i32_e32 v1, 15, v1
	v_cmp_eq_u64_e64 s[26:27], 0, v[2:3]
	v_lshlrev_b32_e32 v1, 3, v1
	v_and_b32_e32 v1, 0xf8, v1
	v_and_or_b32 v1, v2, 7, v1
	s_and_b64 s[26:27], vcc, s[26:27]
	v_cndmask_b32_e64 v1, v1, 0, s[26:27]
	v_or_b32_e32 v0, v1, v0
	buffer_store_dword v0, off, s[0:3], s33 offset:108 ; 4-byte Folded Spill
.LBB6_248:                              ;   in Loop: Header=BB6_136 Depth=3
	s_or_b64 exec, exec, s[34:35]
                                        ; implicit-def: $vgpr0
.LBB6_249:                              ;   in Loop: Header=BB6_136 Depth=3
	s_andn2_saveexec_b64 s[26:27], s[30:31]
	s_cbranch_execz .LBB6_251
; %bb.250:                              ;   in Loop: Header=BB6_136 Depth=3
	v_or_b32_e32 v0, 0x7e, v0
	buffer_store_dword v0, off, s[0:3], s33 offset:108 ; 4-byte Folded Spill
.LBB6_251:                              ;   in Loop: Header=BB6_136 Depth=3
	s_or_b64 exec, exec, s[26:27]
                                        ; implicit-def: $vgpr1
.LBB6_252:                              ;   in Loop: Header=BB6_136 Depth=3
	s_andn2_saveexec_b64 s[26:27], s[94:95]
	s_cbranch_execz .LBB6_254
; %bb.253:                              ;   in Loop: Header=BB6_136 Depth=3
	v_or_b32_sdwa v0, v1, s86 dst_sel:DWORD dst_unused:UNUSED_PAD src0_sel:BYTE_3 src1_sel:DWORD
	buffer_store_dword v0, off, s[0:3], s33 offset:108 ; 4-byte Folded Spill
.LBB6_254:                              ;   in Loop: Header=BB6_136 Depth=3
	s_or_b64 exec, exec, s[26:27]
	v_lshrrev_b16_e32 v15, 8, v14
	v_cmp_ne_u16_e32 vcc, 0, v15
	v_mov_b32_e32 v0, 0
	s_and_saveexec_b64 s[26:27], vcc
	s_cbranch_execz .LBB6_260
; %bb.255:                              ;   in Loop: Header=BB6_136 Depth=3
	v_cmp_ne_u16_e32 vcc, s96, v15
	v_bfrev_b32_e32 v0, 1
	s_and_saveexec_b64 s[94:95], vcc
	s_cbranch_execz .LBB6_259
; %bb.256:                              ;   in Loop: Header=BB6_136 Depth=3
	v_and_b32_e32 v1, 0x7f, v15
	v_cmp_ne_u32_e32 vcc, s86, v1
	v_mov_b32_e32 v0, 0x7f800001
	s_and_saveexec_b64 s[30:31], vcc
	s_cbranch_execz .LBB6_258
; %bb.257:                              ;   in Loop: Header=BB6_136 Depth=3
	v_and_b32_e32 v2, 7, v15
	v_ffbh_u32_e32 v0, v2
	v_min_u32_e32 v4, 32, v0
	v_subrev_u32_e32 v0, 28, v4
	v_lshrrev_b32_e32 v3, 3, v1
	v_cmp_gt_u32_e32 vcc, 8, v1
	v_lshlrev_b64 v[0:1], v0, v[15:16]
	v_sub_u32_e32 v1, 29, v4
	v_and_b32_e32 v0, 7, v0
	v_cndmask_b32_e32 v1, v3, v1, vcc
	v_cndmask_b32_e32 v0, v2, v0, vcc
	v_lshlrev_b32_e32 v2, 16, v14
	v_bfrev_b32_e32 v3, 60
	v_lshlrev_b32_e32 v0, 20, v0
	v_and_b32_e32 v2, 0x80000000, v2
	v_lshl_add_u32 v1, v1, 23, v3
	v_or3_b32 v0, v2, v1, v0
.LBB6_258:                              ;   in Loop: Header=BB6_136 Depth=3
	s_or_b64 exec, exec, s[30:31]
.LBB6_259:                              ;   in Loop: Header=BB6_136 Depth=3
	s_or_b64 exec, exec, s[94:95]
.LBB6_260:                              ;   in Loop: Header=BB6_136 Depth=3
	s_or_b64 exec, exec, s[26:27]
	v_mul_f32_e32 v1, v18, v0
	v_and_b32_e32 v2, 0x7f800000, v1
	v_mov_b32_e32 v3, v51
	v_cmp_ne_u64_e32 vcc, s[76:77], v[2:3]
                                        ; implicit-def: $vgpr0
                                        ; kill: killed $vgpr0
	s_and_saveexec_b64 s[26:27], vcc
	s_xor_b64 s[94:95], exec, s[26:27]
	s_cbranch_execz .LBB6_274
; %bb.261:                              ;   in Loop: Header=BB6_136 Depth=3
	v_and_b32_e32 v2, 0x7fffffff, v1
	v_mov_b32_e32 v3, v51
	v_cmp_gt_u64_e32 vcc, s[78:79], v[2:3]
	v_and_b32_sdwa v0, v1, s96 dst_sel:DWORD dst_unused:UNUSED_PAD src0_sel:BYTE_3 src1_sel:DWORD
                                        ; implicit-def: $vgpr2
                                        ; kill: killed $vgpr2
	s_and_saveexec_b64 s[26:27], vcc
	s_xor_b64 s[30:31], exec, s[26:27]
	s_cbranch_execz .LBB6_271
; %bb.262:                              ;   in Loop: Header=BB6_136 Depth=3
	v_mov_b32_e32 v2, 0
	v_cmp_ne_u32_e32 vcc, 0, v1
	buffer_store_dword v2, off, s[0:3], s33 offset:112 ; 4-byte Folded Spill
	s_and_saveexec_b64 s[34:35], vcc
	s_cbranch_execz .LBB6_270
; %bb.263:                              ;   in Loop: Header=BB6_136 Depth=3
	v_and_b32_e32 v3, 0x7fffff, v1
	v_bfe_u32 v1, v1, 23, 8
	v_cmp_gt_u32_e64 s[26:27], s97, v1
	v_sub_u32_e32 v2, 0x79, v1
	v_cmp_eq_u32_e32 vcc, 0, v1
	v_cndmask_b32_e64 v2, 0, v2, s[26:27]
	v_mov_b32_e32 v5, 0x78
	v_cndmask_b32_e32 v2, v2, v5, vcc
	v_add_u32_e32 v5, 20, v2
	v_or_b32_e32 v4, 0x800000, v3
	v_lshlrev_b64 v[5:6], v5, -1
	v_add_u32_e32 v7, 19, v2
	v_cndmask_b32_e32 v3, v4, v3, vcc
	v_lshlrev_b64 v[14:15], v7, 1
	v_mov_b32_e32 v4, v51
	v_bfi_b32 v6, v6, 0, 0
	v_bfi_b32 v5, v5, 0, v3
	v_cmp_eq_u64_e64 s[26:27], v[5:6], v[14:15]
	v_lshrrev_b64 v[14:15], v2, v[3:4]
	v_mov_b32_e32 v16, v15
	v_mov_b32_e32 v15, v14
	s_and_saveexec_b64 s[36:37], s[26:27]
; %bb.264:                              ;   in Loop: Header=BB6_136 Depth=3
	v_bfe_u32 v3, v14, 20, 1
	v_add_co_u32_e64 v3, s[26:27], v14, v3
	v_add_co_u32_e64 v15, s[26:27], -1, v3
; %bb.265:                              ;   in Loop: Header=BB6_136 Depth=3
	s_or_b64 exec, exec, s[36:37]
	v_add_u32_e32 v1, 0xffffff81, v1
	v_mov_b32_e32 v3, 0xffffff82
	v_cndmask_b32_e32 v1, v1, v3, vcc
	v_lshrrev_b32_e32 v3, 23, v14
	v_add3_u32 v3, v2, v1, v3
	v_add_u32_e32 v2, 6, v3
	v_and_b32_e32 v1, 0xfffff, v15
	v_add_u32_e32 v14, v1, v14
	v_mov_b32_e32 v15, v51
	v_cmp_ne_u32_e32 vcc, 0, v2
                                        ; implicit-def: $vgpr1
	s_and_saveexec_b64 s[26:27], vcc
	s_xor_b64 s[26:27], exec, s[26:27]
; %bb.266:                              ;   in Loop: Header=BB6_136 Depth=3
	v_cmp_lt_u64_e32 vcc, s[88:89], v[14:15]
	v_add_u32_e32 v1, 7, v3
	v_cndmask_b32_e32 v1, v2, v1, vcc
	v_cndmask_b32_e64 v2, 0, 1, vcc
	v_lshrrev_b64 v[14:15], v2, v[14:15]
; %bb.267:                              ;   in Loop: Header=BB6_136 Depth=3
	s_andn2_saveexec_b64 s[26:27], s[26:27]
; %bb.268:                              ;   in Loop: Header=BB6_136 Depth=3
	v_bfe_u32 v1, v14, 23, 1
; %bb.269:                              ;   in Loop: Header=BB6_136 Depth=3
	s_or_b64 exec, exec, s[26:27]
	v_lshrrev_b64 v[2:3], 20, v[14:15]
	v_cmp_gt_i32_e32 vcc, 16, v1
	v_cndmask_b32_e32 v3, 0, v3, vcc
	v_cndmask_b32_e32 v2, 7, v2, vcc
	v_cmp_eq_u32_e32 vcc, 0, v1
	v_min_i32_e32 v1, 15, v1
	v_cmp_eq_u64_e64 s[26:27], 0, v[2:3]
	v_lshlrev_b32_e32 v1, 3, v1
	v_and_b32_e32 v1, 0xf8, v1
	v_and_or_b32 v1, v2, 7, v1
	s_and_b64 s[26:27], vcc, s[26:27]
	v_cndmask_b32_e64 v1, v1, 0, s[26:27]
	v_or_b32_e32 v0, v1, v0
	buffer_store_dword v0, off, s[0:3], s33 offset:112 ; 4-byte Folded Spill
.LBB6_270:                              ;   in Loop: Header=BB6_136 Depth=3
	s_or_b64 exec, exec, s[34:35]
                                        ; implicit-def: $vgpr0
.LBB6_271:                              ;   in Loop: Header=BB6_136 Depth=3
	s_andn2_saveexec_b64 s[26:27], s[30:31]
	s_cbranch_execz .LBB6_273
; %bb.272:                              ;   in Loop: Header=BB6_136 Depth=3
	v_or_b32_e32 v0, 0x7e, v0
	buffer_store_dword v0, off, s[0:3], s33 offset:112 ; 4-byte Folded Spill
.LBB6_273:                              ;   in Loop: Header=BB6_136 Depth=3
	s_or_b64 exec, exec, s[26:27]
                                        ; implicit-def: $vgpr1
.LBB6_274:                              ;   in Loop: Header=BB6_136 Depth=3
	s_andn2_saveexec_b64 s[26:27], s[94:95]
	s_cbranch_execz .LBB6_276
; %bb.275:                              ;   in Loop: Header=BB6_136 Depth=3
	v_or_b32_sdwa v0, v1, s86 dst_sel:DWORD dst_unused:UNUSED_PAD src0_sel:BYTE_3 src1_sel:DWORD
	buffer_store_dword v0, off, s[0:3], s33 offset:112 ; 4-byte Folded Spill
.LBB6_276:                              ;   in Loop: Header=BB6_136 Depth=3
	s_or_b64 exec, exec, s[26:27]
	v_lshrrev_b32_e32 v14, 16, v9
	v_cmp_ne_u16_sdwa s[94:95], v14, v51 src0_sel:BYTE_0 src1_sel:DWORD
	v_mov_b32_e32 v0, 0
	s_and_saveexec_b64 s[26:27], s[94:95]
	s_cbranch_execz .LBB6_282
; %bb.277:                              ;   in Loop: Header=BB6_136 Depth=3
	v_cmp_ne_u16_sdwa vcc, v14, s96 src0_sel:BYTE_0 src1_sel:DWORD
	v_bfrev_b32_e32 v0, 1
	s_and_saveexec_b64 s[94:95], vcc
	s_cbranch_execz .LBB6_281
; %bb.278:                              ;   in Loop: Header=BB6_136 Depth=3
	v_bfe_u32 v1, v9, 16, 7
	v_cmp_ne_u32_e32 vcc, s86, v1
	v_mov_b32_e32 v0, 0x7f800001
	s_and_saveexec_b64 s[30:31], vcc
	s_cbranch_execz .LBB6_280
; %bb.279:                              ;   in Loop: Header=BB6_136 Depth=3
	v_and_b32_e32 v2, 7, v14
	v_ffbh_u32_e32 v0, v2
	v_min_u32_e32 v4, 32, v0
	v_subrev_u32_e32 v0, 28, v4
	v_lshrrev_b32_e32 v3, 3, v1
	v_cmp_gt_u32_e32 vcc, 8, v1
	v_lshlrev_b64 v[0:1], v0, v[14:15]
	v_sub_u32_e32 v1, 29, v4
	v_and_b32_e32 v0, 7, v0
	v_cndmask_b32_e32 v1, v3, v1, vcc
	v_cndmask_b32_e32 v0, v2, v0, vcc
	v_lshlrev_b32_e32 v2, 24, v14
	v_bfrev_b32_e32 v3, 60
	v_lshlrev_b32_e32 v0, 20, v0
	v_and_b32_e32 v2, 0x80000000, v2
	v_lshl_add_u32 v1, v1, 23, v3
	v_or3_b32 v0, v2, v1, v0
.LBB6_280:                              ;   in Loop: Header=BB6_136 Depth=3
	s_or_b64 exec, exec, s[30:31]
.LBB6_281:                              ;   in Loop: Header=BB6_136 Depth=3
	s_or_b64 exec, exec, s[94:95]
.LBB6_282:                              ;   in Loop: Header=BB6_136 Depth=3
	s_or_b64 exec, exec, s[26:27]
	v_mul_f32_e32 v1, v18, v0
	v_and_b32_e32 v2, 0x7f800000, v1
	v_mov_b32_e32 v3, v51
	v_cmp_ne_u64_e32 vcc, s[76:77], v[2:3]
                                        ; implicit-def: $vgpr0
                                        ; kill: killed $vgpr0
	s_and_saveexec_b64 s[26:27], vcc
	s_xor_b64 s[94:95], exec, s[26:27]
	s_cbranch_execz .LBB6_296
; %bb.283:                              ;   in Loop: Header=BB6_136 Depth=3
	v_and_b32_e32 v2, 0x7fffffff, v1
	v_mov_b32_e32 v3, v51
	v_cmp_gt_u64_e32 vcc, s[78:79], v[2:3]
	v_and_b32_sdwa v0, v1, s96 dst_sel:DWORD dst_unused:UNUSED_PAD src0_sel:BYTE_3 src1_sel:DWORD
                                        ; implicit-def: $vgpr2
                                        ; kill: killed $vgpr2
	s_and_saveexec_b64 s[26:27], vcc
	s_xor_b64 s[30:31], exec, s[26:27]
	s_cbranch_execz .LBB6_293
; %bb.284:                              ;   in Loop: Header=BB6_136 Depth=3
	v_mov_b32_e32 v2, 0
	v_cmp_ne_u32_e32 vcc, 0, v1
	buffer_store_dword v2, off, s[0:3], s33 offset:116 ; 4-byte Folded Spill
	s_and_saveexec_b64 s[34:35], vcc
	s_cbranch_execz .LBB6_292
; %bb.285:                              ;   in Loop: Header=BB6_136 Depth=3
	v_and_b32_e32 v3, 0x7fffff, v1
	v_bfe_u32 v1, v1, 23, 8
	v_cmp_gt_u32_e64 s[26:27], s97, v1
	v_sub_u32_e32 v2, 0x79, v1
	v_cmp_eq_u32_e32 vcc, 0, v1
	v_cndmask_b32_e64 v2, 0, v2, s[26:27]
	v_mov_b32_e32 v5, 0x78
	v_cndmask_b32_e32 v2, v2, v5, vcc
	v_add_u32_e32 v5, 20, v2
	v_or_b32_e32 v4, 0x800000, v3
	v_lshlrev_b64 v[5:6], v5, -1
	v_add_u32_e32 v7, 19, v2
	v_cndmask_b32_e32 v3, v4, v3, vcc
	v_lshlrev_b64 v[14:15], v7, 1
	v_mov_b32_e32 v4, v51
	v_bfi_b32 v6, v6, 0, 0
	v_bfi_b32 v5, v5, 0, v3
	v_cmp_eq_u64_e64 s[26:27], v[5:6], v[14:15]
	v_lshrrev_b64 v[14:15], v2, v[3:4]
	v_mov_b32_e32 v16, v15
	v_mov_b32_e32 v15, v14
	s_and_saveexec_b64 s[36:37], s[26:27]
; %bb.286:                              ;   in Loop: Header=BB6_136 Depth=3
	v_bfe_u32 v3, v14, 20, 1
	v_add_co_u32_e64 v3, s[26:27], v14, v3
	v_add_co_u32_e64 v15, s[26:27], -1, v3
; %bb.287:                              ;   in Loop: Header=BB6_136 Depth=3
	s_or_b64 exec, exec, s[36:37]
	v_add_u32_e32 v1, 0xffffff81, v1
	v_mov_b32_e32 v3, 0xffffff82
	v_cndmask_b32_e32 v1, v1, v3, vcc
	v_lshrrev_b32_e32 v3, 23, v14
	v_add3_u32 v3, v2, v1, v3
	v_add_u32_e32 v2, 6, v3
	v_and_b32_e32 v1, 0xfffff, v15
	v_add_u32_e32 v14, v1, v14
	v_mov_b32_e32 v15, v51
	v_cmp_ne_u32_e32 vcc, 0, v2
                                        ; implicit-def: $vgpr1
	s_and_saveexec_b64 s[26:27], vcc
	s_xor_b64 s[26:27], exec, s[26:27]
; %bb.288:                              ;   in Loop: Header=BB6_136 Depth=3
	v_cmp_lt_u64_e32 vcc, s[88:89], v[14:15]
	v_add_u32_e32 v1, 7, v3
	v_cndmask_b32_e32 v1, v2, v1, vcc
	v_cndmask_b32_e64 v2, 0, 1, vcc
	v_lshrrev_b64 v[14:15], v2, v[14:15]
; %bb.289:                              ;   in Loop: Header=BB6_136 Depth=3
	s_andn2_saveexec_b64 s[26:27], s[26:27]
; %bb.290:                              ;   in Loop: Header=BB6_136 Depth=3
	v_bfe_u32 v1, v14, 23, 1
; %bb.291:                              ;   in Loop: Header=BB6_136 Depth=3
	s_or_b64 exec, exec, s[26:27]
	v_lshrrev_b64 v[2:3], 20, v[14:15]
	v_cmp_gt_i32_e32 vcc, 16, v1
	v_cndmask_b32_e32 v3, 0, v3, vcc
	v_cndmask_b32_e32 v2, 7, v2, vcc
	v_cmp_eq_u32_e32 vcc, 0, v1
	v_min_i32_e32 v1, 15, v1
	v_cmp_eq_u64_e64 s[26:27], 0, v[2:3]
	v_lshlrev_b32_e32 v1, 3, v1
	v_and_b32_e32 v1, 0xf8, v1
	v_and_or_b32 v1, v2, 7, v1
	s_and_b64 s[26:27], vcc, s[26:27]
	v_cndmask_b32_e64 v1, v1, 0, s[26:27]
	v_or_b32_e32 v0, v1, v0
	buffer_store_dword v0, off, s[0:3], s33 offset:116 ; 4-byte Folded Spill
.LBB6_292:                              ;   in Loop: Header=BB6_136 Depth=3
	s_or_b64 exec, exec, s[34:35]
                                        ; implicit-def: $vgpr0
.LBB6_293:                              ;   in Loop: Header=BB6_136 Depth=3
	s_andn2_saveexec_b64 s[26:27], s[30:31]
	s_cbranch_execz .LBB6_295
; %bb.294:                              ;   in Loop: Header=BB6_136 Depth=3
	v_or_b32_e32 v0, 0x7e, v0
	buffer_store_dword v0, off, s[0:3], s33 offset:116 ; 4-byte Folded Spill
.LBB6_295:                              ;   in Loop: Header=BB6_136 Depth=3
	s_or_b64 exec, exec, s[26:27]
                                        ; implicit-def: $vgpr1
.LBB6_296:                              ;   in Loop: Header=BB6_136 Depth=3
	s_andn2_saveexec_b64 s[26:27], s[94:95]
	s_cbranch_execz .LBB6_298
; %bb.297:                              ;   in Loop: Header=BB6_136 Depth=3
	v_or_b32_sdwa v0, v1, s86 dst_sel:DWORD dst_unused:UNUSED_PAD src0_sel:BYTE_3 src1_sel:DWORD
	buffer_store_dword v0, off, s[0:3], s33 offset:116 ; 4-byte Folded Spill
.LBB6_298:                              ;   in Loop: Header=BB6_136 Depth=3
	s_or_b64 exec, exec, s[26:27]
	v_cmp_lt_u64_e32 vcc, s[56:57], v[8:9]
	v_mov_b32_e32 v0, 0
	s_and_saveexec_b64 s[26:27], vcc
	s_cbranch_execz .LBB6_304
; %bb.299:                              ;   in Loop: Header=BB6_136 Depth=3
	v_lshrrev_b32_e32 v8, 24, v9
	v_cmp_ne_u32_e32 vcc, s96, v8
	v_bfrev_b32_e32 v0, 1
	s_and_saveexec_b64 s[94:95], vcc
	s_cbranch_execz .LBB6_303
; %bb.300:                              ;   in Loop: Header=BB6_136 Depth=3
	v_bfe_u32 v1, v9, 24, 7
	v_cmp_ne_u32_e32 vcc, s86, v1
	v_mov_b32_e32 v0, 0x7f800001
	s_and_saveexec_b64 s[30:31], vcc
	s_cbranch_execz .LBB6_302
; %bb.301:                              ;   in Loop: Header=BB6_136 Depth=3
	v_and_b32_e32 v2, 7, v8
	v_ffbh_u32_e32 v0, v2
	v_min_u32_e32 v4, 32, v0
	v_subrev_u32_e32 v0, 28, v4
	v_lshrrev_b32_e32 v3, 3, v1
	v_cmp_gt_u32_e32 vcc, 8, v1
	v_lshlrev_b64 v[0:1], v0, v[8:9]
	v_sub_u32_e32 v1, 29, v4
	v_and_b32_e32 v0, 7, v0
	v_cndmask_b32_e32 v1, v3, v1, vcc
	v_cndmask_b32_e32 v0, v2, v0, vcc
	v_lshlrev_b32_e32 v2, 24, v8
	v_bfrev_b32_e32 v3, 60
	v_lshlrev_b32_e32 v0, 20, v0
	v_and_b32_e32 v2, 0x80000000, v2
	v_lshl_add_u32 v1, v1, 23, v3
	v_or3_b32 v0, v2, v1, v0
.LBB6_302:                              ;   in Loop: Header=BB6_136 Depth=3
	s_or_b64 exec, exec, s[30:31]
.LBB6_303:                              ;   in Loop: Header=BB6_136 Depth=3
	s_or_b64 exec, exec, s[94:95]
.LBB6_304:                              ;   in Loop: Header=BB6_136 Depth=3
	s_or_b64 exec, exec, s[26:27]
	v_mul_f32_e32 v1, v18, v0
	v_and_b32_e32 v2, 0x7f800000, v1
	v_mov_b32_e32 v3, v51
	v_cmp_ne_u64_e32 vcc, s[76:77], v[2:3]
                                        ; implicit-def: $vgpr0
                                        ; kill: killed $vgpr0
	s_and_saveexec_b64 s[26:27], vcc
	s_xor_b64 s[94:95], exec, s[26:27]
	s_cbranch_execz .LBB6_318
; %bb.305:                              ;   in Loop: Header=BB6_136 Depth=3
	v_and_b32_e32 v2, 0x7fffffff, v1
	v_mov_b32_e32 v3, v51
	v_cmp_gt_u64_e32 vcc, s[78:79], v[2:3]
	v_and_b32_sdwa v0, v1, s96 dst_sel:DWORD dst_unused:UNUSED_PAD src0_sel:BYTE_3 src1_sel:DWORD
                                        ; implicit-def: $vgpr2
                                        ; kill: killed $vgpr2
	s_and_saveexec_b64 s[26:27], vcc
	s_xor_b64 s[30:31], exec, s[26:27]
	s_cbranch_execz .LBB6_315
; %bb.306:                              ;   in Loop: Header=BB6_136 Depth=3
	v_mov_b32_e32 v2, 0
	v_cmp_ne_u32_e32 vcc, 0, v1
	buffer_store_dword v2, off, s[0:3], s33 offset:120 ; 4-byte Folded Spill
	s_and_saveexec_b64 s[34:35], vcc
	s_cbranch_execz .LBB6_314
; %bb.307:                              ;   in Loop: Header=BB6_136 Depth=3
	v_and_b32_e32 v3, 0x7fffff, v1
	v_bfe_u32 v1, v1, 23, 8
	v_cmp_gt_u32_e64 s[26:27], s97, v1
	v_sub_u32_e32 v2, 0x79, v1
	v_cmp_eq_u32_e32 vcc, 0, v1
	v_cndmask_b32_e64 v2, 0, v2, s[26:27]
	v_mov_b32_e32 v5, 0x78
	v_cndmask_b32_e32 v2, v2, v5, vcc
	v_add_u32_e32 v5, 20, v2
	v_or_b32_e32 v4, 0x800000, v3
	v_lshlrev_b64 v[5:6], v5, -1
	v_add_u32_e32 v7, 19, v2
	v_cndmask_b32_e32 v3, v4, v3, vcc
	v_lshlrev_b64 v[7:8], v7, 1
	v_mov_b32_e32 v4, v51
	v_bfi_b32 v6, v6, 0, 0
	v_bfi_b32 v5, v5, 0, v3
	v_cmp_eq_u64_e64 s[26:27], v[5:6], v[7:8]
	v_lshrrev_b64 v[8:9], v2, v[3:4]
	v_mov_b32_e32 v15, v9
	v_mov_b32_e32 v14, v8
	s_and_saveexec_b64 s[36:37], s[26:27]
; %bb.308:                              ;   in Loop: Header=BB6_136 Depth=3
	v_bfe_u32 v3, v8, 20, 1
	v_add_co_u32_e64 v3, s[26:27], v8, v3
	v_add_co_u32_e64 v14, s[26:27], -1, v3
; %bb.309:                              ;   in Loop: Header=BB6_136 Depth=3
	s_or_b64 exec, exec, s[36:37]
	v_add_u32_e32 v1, 0xffffff81, v1
	v_mov_b32_e32 v3, 0xffffff82
	v_cndmask_b32_e32 v1, v1, v3, vcc
	v_lshrrev_b32_e32 v3, 23, v8
	v_add3_u32 v3, v2, v1, v3
	v_add_u32_e32 v2, 6, v3
	v_and_b32_e32 v1, 0xfffff, v14
	v_add_u32_e32 v8, v1, v8
	v_mov_b32_e32 v9, v51
	v_cmp_ne_u32_e32 vcc, 0, v2
                                        ; implicit-def: $vgpr1
	s_and_saveexec_b64 s[26:27], vcc
	s_xor_b64 s[26:27], exec, s[26:27]
; %bb.310:                              ;   in Loop: Header=BB6_136 Depth=3
	v_cmp_lt_u64_e32 vcc, s[88:89], v[8:9]
	v_add_u32_e32 v1, 7, v3
	v_cndmask_b32_e32 v1, v2, v1, vcc
	v_cndmask_b32_e64 v2, 0, 1, vcc
	v_lshrrev_b64 v[8:9], v2, v[8:9]
; %bb.311:                              ;   in Loop: Header=BB6_136 Depth=3
	s_andn2_saveexec_b64 s[26:27], s[26:27]
; %bb.312:                              ;   in Loop: Header=BB6_136 Depth=3
	v_bfe_u32 v1, v8, 23, 1
; %bb.313:                              ;   in Loop: Header=BB6_136 Depth=3
	s_or_b64 exec, exec, s[26:27]
	v_lshrrev_b64 v[2:3], 20, v[8:9]
	v_cmp_gt_i32_e32 vcc, 16, v1
	v_cndmask_b32_e32 v3, 0, v3, vcc
	v_cndmask_b32_e32 v2, 7, v2, vcc
	v_cmp_eq_u32_e32 vcc, 0, v1
	v_min_i32_e32 v1, 15, v1
	v_cmp_eq_u64_e64 s[26:27], 0, v[2:3]
	v_lshlrev_b32_e32 v1, 3, v1
	v_and_b32_e32 v1, 0xf8, v1
	v_and_or_b32 v1, v2, 7, v1
	s_and_b64 s[26:27], vcc, s[26:27]
	v_cndmask_b32_e64 v1, v1, 0, s[26:27]
	v_or_b32_e32 v0, v1, v0
	buffer_store_dword v0, off, s[0:3], s33 offset:120 ; 4-byte Folded Spill
.LBB6_314:                              ;   in Loop: Header=BB6_136 Depth=3
	s_or_b64 exec, exec, s[34:35]
                                        ; implicit-def: $vgpr0
.LBB6_315:                              ;   in Loop: Header=BB6_136 Depth=3
	s_andn2_saveexec_b64 s[26:27], s[30:31]
	s_cbranch_execz .LBB6_317
; %bb.316:                              ;   in Loop: Header=BB6_136 Depth=3
	v_or_b32_e32 v0, 0x7e, v0
	buffer_store_dword v0, off, s[0:3], s33 offset:120 ; 4-byte Folded Spill
.LBB6_317:                              ;   in Loop: Header=BB6_136 Depth=3
	s_or_b64 exec, exec, s[26:27]
                                        ; implicit-def: $vgpr1
.LBB6_318:                              ;   in Loop: Header=BB6_136 Depth=3
	s_andn2_saveexec_b64 s[26:27], s[94:95]
	s_cbranch_execz .LBB6_320
; %bb.319:                              ;   in Loop: Header=BB6_136 Depth=3
	v_or_b32_sdwa v0, v1, s86 dst_sel:DWORD dst_unused:UNUSED_PAD src0_sel:BYTE_3 src1_sel:DWORD
	buffer_store_dword v0, off, s[0:3], s33 offset:120 ; 4-byte Folded Spill
.LBB6_320:                              ;   in Loop: Header=BB6_136 Depth=3
	s_or_b64 exec, exec, s[26:27]
	v_cmp_ne_u16_sdwa s[94:95], v10, v51 src0_sel:BYTE_0 src1_sel:DWORD
	v_mov_b32_e32 v0, 0
	s_and_saveexec_b64 s[26:27], s[94:95]
	s_cbranch_execz .LBB6_326
; %bb.321:                              ;   in Loop: Header=BB6_136 Depth=3
	v_cmp_ne_u16_sdwa vcc, v10, s96 src0_sel:BYTE_0 src1_sel:DWORD
	v_bfrev_b32_e32 v0, 1
	s_and_saveexec_b64 s[94:95], vcc
	s_cbranch_execz .LBB6_325
; %bb.322:                              ;   in Loop: Header=BB6_136 Depth=3
	v_and_b32_e32 v1, 0x7f, v10
	v_cmp_ne_u32_e32 vcc, s86, v1
	v_mov_b32_e32 v0, 0x7f800001
	s_and_saveexec_b64 s[30:31], vcc
	s_cbranch_execz .LBB6_324
; %bb.323:                              ;   in Loop: Header=BB6_136 Depth=3
	v_and_b32_e32 v0, 7, v10
	v_ffbh_u32_e32 v0, v0
	v_min_u32_e32 v0, 32, v0
	v_lshrrev_b32_e32 v2, 3, v1
	v_cmp_gt_u32_e32 vcc, 8, v1
	v_subrev_u32_e32 v1, 28, v0
	v_sub_u32_e32 v0, 29, v0
	v_cndmask_b32_e32 v2, v2, v0, vcc
	v_cndmask_b32_e32 v0, 0, v1, vcc
	v_lshlrev_b64 v[0:1], v0, v[10:11]
	v_lshlrev_b32_e32 v1, 24, v10
	v_lshlrev_b32_e32 v0, 20, v0
	v_bfrev_b32_e32 v3, 60
	v_and_b32_e32 v0, 0x700000, v0
	v_and_b32_e32 v1, 0x80000000, v1
	v_lshl_add_u32 v2, v2, 23, v3
	v_or3_b32 v0, v1, v2, v0
.LBB6_324:                              ;   in Loop: Header=BB6_136 Depth=3
	s_or_b64 exec, exec, s[30:31]
.LBB6_325:                              ;   in Loop: Header=BB6_136 Depth=3
	s_or_b64 exec, exec, s[94:95]
.LBB6_326:                              ;   in Loop: Header=BB6_136 Depth=3
	s_or_b64 exec, exec, s[26:27]
	v_mul_f32_e32 v1, v18, v0
	v_and_b32_e32 v2, 0x7f800000, v1
	v_mov_b32_e32 v3, v51
	v_cmp_ne_u64_e32 vcc, s[76:77], v[2:3]
                                        ; implicit-def: $vgpr0
                                        ; kill: killed $vgpr0
	s_and_saveexec_b64 s[26:27], vcc
	s_xor_b64 s[94:95], exec, s[26:27]
	s_cbranch_execz .LBB6_340
; %bb.327:                              ;   in Loop: Header=BB6_136 Depth=3
	v_and_b32_e32 v2, 0x7fffffff, v1
	v_mov_b32_e32 v3, v51
	v_cmp_gt_u64_e32 vcc, s[78:79], v[2:3]
	v_and_b32_sdwa v0, v1, s96 dst_sel:DWORD dst_unused:UNUSED_PAD src0_sel:BYTE_3 src1_sel:DWORD
                                        ; implicit-def: $vgpr2
                                        ; kill: killed $vgpr2
	s_and_saveexec_b64 s[26:27], vcc
	s_xor_b64 s[30:31], exec, s[26:27]
	s_cbranch_execz .LBB6_337
; %bb.328:                              ;   in Loop: Header=BB6_136 Depth=3
	v_mov_b32_e32 v2, 0
	v_cmp_ne_u32_e32 vcc, 0, v1
	buffer_store_dword v2, off, s[0:3], s33 offset:124 ; 4-byte Folded Spill
	s_and_saveexec_b64 s[34:35], vcc
	s_cbranch_execz .LBB6_336
; %bb.329:                              ;   in Loop: Header=BB6_136 Depth=3
	v_and_b32_e32 v3, 0x7fffff, v1
	v_bfe_u32 v1, v1, 23, 8
	v_cmp_gt_u32_e64 s[26:27], s97, v1
	v_sub_u32_e32 v2, 0x79, v1
	v_cmp_eq_u32_e32 vcc, 0, v1
	v_cndmask_b32_e64 v2, 0, v2, s[26:27]
	v_mov_b32_e32 v5, 0x78
	v_cndmask_b32_e32 v2, v2, v5, vcc
	v_add_u32_e32 v5, 20, v2
	v_or_b32_e32 v4, 0x800000, v3
	v_lshlrev_b64 v[5:6], v5, -1
	v_add_u32_e32 v7, 19, v2
	v_cndmask_b32_e32 v3, v4, v3, vcc
	v_lshlrev_b64 v[7:8], v7, 1
	v_mov_b32_e32 v4, v51
	v_bfi_b32 v6, v6, 0, 0
	v_bfi_b32 v5, v5, 0, v3
	v_cmp_eq_u64_e64 s[26:27], v[5:6], v[7:8]
	v_lshrrev_b64 v[8:9], v2, v[3:4]
	v_mov_b32_e32 v15, v9
	v_mov_b32_e32 v14, v8
	s_and_saveexec_b64 s[36:37], s[26:27]
; %bb.330:                              ;   in Loop: Header=BB6_136 Depth=3
	v_bfe_u32 v3, v8, 20, 1
	v_add_co_u32_e64 v3, s[26:27], v8, v3
	v_add_co_u32_e64 v14, s[26:27], -1, v3
; %bb.331:                              ;   in Loop: Header=BB6_136 Depth=3
	s_or_b64 exec, exec, s[36:37]
	v_add_u32_e32 v1, 0xffffff81, v1
	v_mov_b32_e32 v3, 0xffffff82
	v_cndmask_b32_e32 v1, v1, v3, vcc
	v_lshrrev_b32_e32 v3, 23, v8
	v_add3_u32 v3, v2, v1, v3
	v_add_u32_e32 v2, 6, v3
	v_and_b32_e32 v1, 0xfffff, v14
	v_add_u32_e32 v8, v1, v8
	v_mov_b32_e32 v9, v51
	v_cmp_ne_u32_e32 vcc, 0, v2
                                        ; implicit-def: $vgpr1
	s_and_saveexec_b64 s[26:27], vcc
	s_xor_b64 s[26:27], exec, s[26:27]
; %bb.332:                              ;   in Loop: Header=BB6_136 Depth=3
	v_cmp_lt_u64_e32 vcc, s[88:89], v[8:9]
	v_add_u32_e32 v1, 7, v3
	v_cndmask_b32_e32 v1, v2, v1, vcc
	v_cndmask_b32_e64 v2, 0, 1, vcc
	v_lshrrev_b64 v[8:9], v2, v[8:9]
; %bb.333:                              ;   in Loop: Header=BB6_136 Depth=3
	s_andn2_saveexec_b64 s[26:27], s[26:27]
; %bb.334:                              ;   in Loop: Header=BB6_136 Depth=3
	v_bfe_u32 v1, v8, 23, 1
; %bb.335:                              ;   in Loop: Header=BB6_136 Depth=3
	s_or_b64 exec, exec, s[26:27]
	v_lshrrev_b64 v[2:3], 20, v[8:9]
	v_cmp_gt_i32_e32 vcc, 16, v1
	v_cndmask_b32_e32 v3, 0, v3, vcc
	v_cndmask_b32_e32 v2, 7, v2, vcc
	v_cmp_eq_u32_e32 vcc, 0, v1
	v_min_i32_e32 v1, 15, v1
	v_cmp_eq_u64_e64 s[26:27], 0, v[2:3]
	v_lshlrev_b32_e32 v1, 3, v1
	v_and_b32_e32 v1, 0xf8, v1
	v_and_or_b32 v1, v2, 7, v1
	s_and_b64 s[26:27], vcc, s[26:27]
	v_cndmask_b32_e64 v1, v1, 0, s[26:27]
	v_or_b32_e32 v0, v1, v0
	buffer_store_dword v0, off, s[0:3], s33 offset:124 ; 4-byte Folded Spill
.LBB6_336:                              ;   in Loop: Header=BB6_136 Depth=3
	s_or_b64 exec, exec, s[34:35]
                                        ; implicit-def: $vgpr0
.LBB6_337:                              ;   in Loop: Header=BB6_136 Depth=3
	s_andn2_saveexec_b64 s[26:27], s[30:31]
	s_cbranch_execz .LBB6_339
; %bb.338:                              ;   in Loop: Header=BB6_136 Depth=3
	v_or_b32_e32 v0, 0x7e, v0
	buffer_store_dword v0, off, s[0:3], s33 offset:124 ; 4-byte Folded Spill
.LBB6_339:                              ;   in Loop: Header=BB6_136 Depth=3
	s_or_b64 exec, exec, s[26:27]
                                        ; implicit-def: $vgpr1
.LBB6_340:                              ;   in Loop: Header=BB6_136 Depth=3
	s_andn2_saveexec_b64 s[26:27], s[94:95]
	s_cbranch_execz .LBB6_342
; %bb.341:                              ;   in Loop: Header=BB6_136 Depth=3
	v_or_b32_sdwa v0, v1, s86 dst_sel:DWORD dst_unused:UNUSED_PAD src0_sel:BYTE_3 src1_sel:DWORD
	buffer_store_dword v0, off, s[0:3], s33 offset:124 ; 4-byte Folded Spill
.LBB6_342:                              ;   in Loop: Header=BB6_136 Depth=3
	s_or_b64 exec, exec, s[26:27]
	v_lshrrev_b16_e32 v8, 8, v10
	v_cmp_ne_u16_e32 vcc, 0, v8
	v_mov_b32_e32 v0, 0
	s_and_saveexec_b64 s[26:27], vcc
	s_cbranch_execz .LBB6_348
; %bb.343:                              ;   in Loop: Header=BB6_136 Depth=3
	v_cmp_ne_u16_e32 vcc, s96, v8
	v_bfrev_b32_e32 v0, 1
	s_and_saveexec_b64 s[94:95], vcc
	s_cbranch_execz .LBB6_347
; %bb.344:                              ;   in Loop: Header=BB6_136 Depth=3
	v_and_b32_e32 v1, 0x7f, v8
	v_cmp_ne_u32_e32 vcc, s86, v1
	v_mov_b32_e32 v0, 0x7f800001
	s_and_saveexec_b64 s[30:31], vcc
	s_cbranch_execz .LBB6_346
; %bb.345:                              ;   in Loop: Header=BB6_136 Depth=3
	v_and_b32_e32 v2, 7, v8
	v_ffbh_u32_e32 v0, v2
	v_min_u32_e32 v4, 32, v0
	v_subrev_u32_e32 v0, 28, v4
	v_lshrrev_b32_e32 v3, 3, v1
	v_cmp_gt_u32_e32 vcc, 8, v1
	v_lshlrev_b64 v[0:1], v0, v[8:9]
	v_sub_u32_e32 v1, 29, v4
	v_and_b32_e32 v0, 7, v0
	v_cndmask_b32_e32 v1, v3, v1, vcc
	v_cndmask_b32_e32 v0, v2, v0, vcc
	v_lshlrev_b32_e32 v2, 16, v10
	v_bfrev_b32_e32 v3, 60
	v_lshlrev_b32_e32 v0, 20, v0
	v_and_b32_e32 v2, 0x80000000, v2
	v_lshl_add_u32 v1, v1, 23, v3
	v_or3_b32 v0, v2, v1, v0
.LBB6_346:                              ;   in Loop: Header=BB6_136 Depth=3
	s_or_b64 exec, exec, s[30:31]
.LBB6_347:                              ;   in Loop: Header=BB6_136 Depth=3
	s_or_b64 exec, exec, s[94:95]
.LBB6_348:                              ;   in Loop: Header=BB6_136 Depth=3
	s_or_b64 exec, exec, s[26:27]
	v_mul_f32_e32 v1, v18, v0
	v_and_b32_e32 v2, 0x7f800000, v1
	v_mov_b32_e32 v3, v51
	v_cmp_ne_u64_e32 vcc, s[76:77], v[2:3]
                                        ; implicit-def: $vgpr0
                                        ; kill: killed $vgpr0
	s_and_saveexec_b64 s[26:27], vcc
	s_xor_b64 s[94:95], exec, s[26:27]
	s_cbranch_execz .LBB6_362
; %bb.349:                              ;   in Loop: Header=BB6_136 Depth=3
	v_and_b32_e32 v2, 0x7fffffff, v1
	v_mov_b32_e32 v3, v51
	v_cmp_gt_u64_e32 vcc, s[78:79], v[2:3]
	v_and_b32_sdwa v0, v1, s96 dst_sel:DWORD dst_unused:UNUSED_PAD src0_sel:BYTE_3 src1_sel:DWORD
                                        ; implicit-def: $vgpr2
                                        ; kill: killed $vgpr2
	s_and_saveexec_b64 s[26:27], vcc
	s_xor_b64 s[30:31], exec, s[26:27]
	s_cbranch_execz .LBB6_359
; %bb.350:                              ;   in Loop: Header=BB6_136 Depth=3
	v_mov_b32_e32 v2, 0
	v_cmp_ne_u32_e32 vcc, 0, v1
	buffer_store_dword v2, off, s[0:3], s33 offset:128 ; 4-byte Folded Spill
	s_and_saveexec_b64 s[34:35], vcc
	s_cbranch_execz .LBB6_358
; %bb.351:                              ;   in Loop: Header=BB6_136 Depth=3
	v_and_b32_e32 v3, 0x7fffff, v1
	v_bfe_u32 v1, v1, 23, 8
	v_cmp_gt_u32_e64 s[26:27], s97, v1
	v_sub_u32_e32 v2, 0x79, v1
	v_cmp_eq_u32_e32 vcc, 0, v1
	v_cndmask_b32_e64 v2, 0, v2, s[26:27]
	v_mov_b32_e32 v5, 0x78
	v_cndmask_b32_e32 v2, v2, v5, vcc
	v_add_u32_e32 v5, 20, v2
	v_or_b32_e32 v4, 0x800000, v3
	v_lshlrev_b64 v[5:6], v5, -1
	v_add_u32_e32 v7, 19, v2
	v_cndmask_b32_e32 v3, v4, v3, vcc
	v_lshlrev_b64 v[7:8], v7, 1
	v_mov_b32_e32 v4, v51
	v_bfi_b32 v6, v6, 0, 0
	v_bfi_b32 v5, v5, 0, v3
	v_cmp_eq_u64_e64 s[26:27], v[5:6], v[7:8]
	v_lshrrev_b64 v[8:9], v2, v[3:4]
	v_mov_b32_e32 v15, v9
	v_mov_b32_e32 v14, v8
	s_and_saveexec_b64 s[36:37], s[26:27]
; %bb.352:                              ;   in Loop: Header=BB6_136 Depth=3
	v_bfe_u32 v3, v8, 20, 1
	v_add_co_u32_e64 v3, s[26:27], v8, v3
	v_add_co_u32_e64 v14, s[26:27], -1, v3
; %bb.353:                              ;   in Loop: Header=BB6_136 Depth=3
	s_or_b64 exec, exec, s[36:37]
	v_add_u32_e32 v1, 0xffffff81, v1
	v_mov_b32_e32 v3, 0xffffff82
	v_cndmask_b32_e32 v1, v1, v3, vcc
	v_lshrrev_b32_e32 v3, 23, v8
	v_add3_u32 v3, v2, v1, v3
	v_add_u32_e32 v2, 6, v3
	v_and_b32_e32 v1, 0xfffff, v14
	v_add_u32_e32 v8, v1, v8
	v_mov_b32_e32 v9, v51
	v_cmp_ne_u32_e32 vcc, 0, v2
                                        ; implicit-def: $vgpr1
	s_and_saveexec_b64 s[26:27], vcc
	s_xor_b64 s[26:27], exec, s[26:27]
; %bb.354:                              ;   in Loop: Header=BB6_136 Depth=3
	v_cmp_lt_u64_e32 vcc, s[88:89], v[8:9]
	v_add_u32_e32 v1, 7, v3
	v_cndmask_b32_e32 v1, v2, v1, vcc
	v_cndmask_b32_e64 v2, 0, 1, vcc
	v_lshrrev_b64 v[8:9], v2, v[8:9]
; %bb.355:                              ;   in Loop: Header=BB6_136 Depth=3
	s_andn2_saveexec_b64 s[26:27], s[26:27]
; %bb.356:                              ;   in Loop: Header=BB6_136 Depth=3
	v_bfe_u32 v1, v8, 23, 1
; %bb.357:                              ;   in Loop: Header=BB6_136 Depth=3
	s_or_b64 exec, exec, s[26:27]
	v_lshrrev_b64 v[2:3], 20, v[8:9]
	v_cmp_gt_i32_e32 vcc, 16, v1
	v_cndmask_b32_e32 v3, 0, v3, vcc
	v_cndmask_b32_e32 v2, 7, v2, vcc
	v_cmp_eq_u32_e32 vcc, 0, v1
	v_min_i32_e32 v1, 15, v1
	v_cmp_eq_u64_e64 s[26:27], 0, v[2:3]
	v_lshlrev_b32_e32 v1, 3, v1
	v_and_b32_e32 v1, 0xf8, v1
	v_and_or_b32 v1, v2, 7, v1
	s_and_b64 s[26:27], vcc, s[26:27]
	v_cndmask_b32_e64 v1, v1, 0, s[26:27]
	v_or_b32_e32 v0, v1, v0
	buffer_store_dword v0, off, s[0:3], s33 offset:128 ; 4-byte Folded Spill
.LBB6_358:                              ;   in Loop: Header=BB6_136 Depth=3
	s_or_b64 exec, exec, s[34:35]
                                        ; implicit-def: $vgpr0
.LBB6_359:                              ;   in Loop: Header=BB6_136 Depth=3
	s_andn2_saveexec_b64 s[26:27], s[30:31]
	s_cbranch_execz .LBB6_361
; %bb.360:                              ;   in Loop: Header=BB6_136 Depth=3
	v_or_b32_e32 v0, 0x7e, v0
	buffer_store_dword v0, off, s[0:3], s33 offset:128 ; 4-byte Folded Spill
.LBB6_361:                              ;   in Loop: Header=BB6_136 Depth=3
	s_or_b64 exec, exec, s[26:27]
                                        ; implicit-def: $vgpr1
.LBB6_362:                              ;   in Loop: Header=BB6_136 Depth=3
	s_andn2_saveexec_b64 s[26:27], s[94:95]
	s_cbranch_execz .LBB6_364
; %bb.363:                              ;   in Loop: Header=BB6_136 Depth=3
	v_or_b32_sdwa v0, v1, s86 dst_sel:DWORD dst_unused:UNUSED_PAD src0_sel:BYTE_3 src1_sel:DWORD
	buffer_store_dword v0, off, s[0:3], s33 offset:128 ; 4-byte Folded Spill
.LBB6_364:                              ;   in Loop: Header=BB6_136 Depth=3
	s_or_b64 exec, exec, s[26:27]
	v_lshrrev_b32_e32 v8, 16, v10
	v_cmp_ne_u16_sdwa s[94:95], v8, v51 src0_sel:BYTE_0 src1_sel:DWORD
	v_mov_b32_e32 v0, 0
	s_and_saveexec_b64 s[26:27], s[94:95]
	s_cbranch_execz .LBB6_370
; %bb.365:                              ;   in Loop: Header=BB6_136 Depth=3
	v_cmp_ne_u16_sdwa vcc, v8, s96 src0_sel:BYTE_0 src1_sel:DWORD
	v_bfrev_b32_e32 v0, 1
	s_and_saveexec_b64 s[94:95], vcc
	s_cbranch_execz .LBB6_369
; %bb.366:                              ;   in Loop: Header=BB6_136 Depth=3
	v_bfe_u32 v1, v10, 16, 7
	v_cmp_ne_u32_e32 vcc, s86, v1
	v_mov_b32_e32 v0, 0x7f800001
	s_and_saveexec_b64 s[30:31], vcc
	s_cbranch_execz .LBB6_368
; %bb.367:                              ;   in Loop: Header=BB6_136 Depth=3
	v_and_b32_e32 v2, 7, v8
	v_ffbh_u32_e32 v0, v2
	v_min_u32_e32 v4, 32, v0
	v_subrev_u32_e32 v0, 28, v4
	v_lshrrev_b32_e32 v3, 3, v1
	v_cmp_gt_u32_e32 vcc, 8, v1
	v_lshlrev_b64 v[0:1], v0, v[8:9]
	v_sub_u32_e32 v1, 29, v4
	v_and_b32_e32 v0, 7, v0
	v_cndmask_b32_e32 v1, v3, v1, vcc
	v_cndmask_b32_e32 v0, v2, v0, vcc
	v_lshlrev_b32_e32 v2, 24, v8
	v_bfrev_b32_e32 v3, 60
	v_lshlrev_b32_e32 v0, 20, v0
	v_and_b32_e32 v2, 0x80000000, v2
	v_lshl_add_u32 v1, v1, 23, v3
	v_or3_b32 v0, v2, v1, v0
.LBB6_368:                              ;   in Loop: Header=BB6_136 Depth=3
	s_or_b64 exec, exec, s[30:31]
.LBB6_369:                              ;   in Loop: Header=BB6_136 Depth=3
	s_or_b64 exec, exec, s[94:95]
.LBB6_370:                              ;   in Loop: Header=BB6_136 Depth=3
	s_or_b64 exec, exec, s[26:27]
	v_mul_f32_e32 v1, v18, v0
	v_and_b32_e32 v2, 0x7f800000, v1
	v_mov_b32_e32 v3, v51
	v_cmp_ne_u64_e32 vcc, s[76:77], v[2:3]
                                        ; implicit-def: $vgpr0
                                        ; kill: killed $vgpr0
	s_and_saveexec_b64 s[26:27], vcc
	s_xor_b64 s[94:95], exec, s[26:27]
	s_cbranch_execz .LBB6_384
; %bb.371:                              ;   in Loop: Header=BB6_136 Depth=3
	v_and_b32_e32 v2, 0x7fffffff, v1
	v_mov_b32_e32 v3, v51
	v_cmp_gt_u64_e32 vcc, s[78:79], v[2:3]
	v_and_b32_sdwa v0, v1, s96 dst_sel:DWORD dst_unused:UNUSED_PAD src0_sel:BYTE_3 src1_sel:DWORD
                                        ; implicit-def: $vgpr2
                                        ; kill: killed $vgpr2
	s_and_saveexec_b64 s[26:27], vcc
	s_xor_b64 s[30:31], exec, s[26:27]
	s_cbranch_execz .LBB6_381
; %bb.372:                              ;   in Loop: Header=BB6_136 Depth=3
	v_mov_b32_e32 v2, 0
	v_cmp_ne_u32_e32 vcc, 0, v1
	buffer_store_dword v2, off, s[0:3], s33 offset:132 ; 4-byte Folded Spill
	s_and_saveexec_b64 s[34:35], vcc
	s_cbranch_execz .LBB6_380
; %bb.373:                              ;   in Loop: Header=BB6_136 Depth=3
	v_and_b32_e32 v3, 0x7fffff, v1
	v_bfe_u32 v1, v1, 23, 8
	v_cmp_gt_u32_e64 s[26:27], s97, v1
	v_sub_u32_e32 v2, 0x79, v1
	v_cmp_eq_u32_e32 vcc, 0, v1
	v_cndmask_b32_e64 v2, 0, v2, s[26:27]
	v_mov_b32_e32 v5, 0x78
	v_cndmask_b32_e32 v2, v2, v5, vcc
	v_add_u32_e32 v5, 20, v2
	v_or_b32_e32 v4, 0x800000, v3
	v_lshlrev_b64 v[5:6], v5, -1
	v_add_u32_e32 v7, 19, v2
	v_cndmask_b32_e32 v3, v4, v3, vcc
	v_lshlrev_b64 v[7:8], v7, 1
	v_mov_b32_e32 v4, v51
	v_bfi_b32 v6, v6, 0, 0
	v_bfi_b32 v5, v5, 0, v3
	v_cmp_eq_u64_e64 s[26:27], v[5:6], v[7:8]
	v_lshrrev_b64 v[8:9], v2, v[3:4]
	v_mov_b32_e32 v15, v9
	v_mov_b32_e32 v14, v8
	s_and_saveexec_b64 s[36:37], s[26:27]
; %bb.374:                              ;   in Loop: Header=BB6_136 Depth=3
	v_bfe_u32 v3, v8, 20, 1
	v_add_co_u32_e64 v3, s[26:27], v8, v3
	v_add_co_u32_e64 v14, s[26:27], -1, v3
; %bb.375:                              ;   in Loop: Header=BB6_136 Depth=3
	s_or_b64 exec, exec, s[36:37]
	v_add_u32_e32 v1, 0xffffff81, v1
	v_mov_b32_e32 v3, 0xffffff82
	v_cndmask_b32_e32 v1, v1, v3, vcc
	v_lshrrev_b32_e32 v3, 23, v8
	v_add3_u32 v3, v2, v1, v3
	v_add_u32_e32 v2, 6, v3
	v_and_b32_e32 v1, 0xfffff, v14
	v_add_u32_e32 v8, v1, v8
	v_mov_b32_e32 v9, v51
	v_cmp_ne_u32_e32 vcc, 0, v2
                                        ; implicit-def: $vgpr1
	s_and_saveexec_b64 s[26:27], vcc
	s_xor_b64 s[26:27], exec, s[26:27]
; %bb.376:                              ;   in Loop: Header=BB6_136 Depth=3
	v_cmp_lt_u64_e32 vcc, s[88:89], v[8:9]
	v_add_u32_e32 v1, 7, v3
	v_cndmask_b32_e32 v1, v2, v1, vcc
	v_cndmask_b32_e64 v2, 0, 1, vcc
	v_lshrrev_b64 v[8:9], v2, v[8:9]
; %bb.377:                              ;   in Loop: Header=BB6_136 Depth=3
	s_andn2_saveexec_b64 s[26:27], s[26:27]
; %bb.378:                              ;   in Loop: Header=BB6_136 Depth=3
	v_bfe_u32 v1, v8, 23, 1
; %bb.379:                              ;   in Loop: Header=BB6_136 Depth=3
	s_or_b64 exec, exec, s[26:27]
	v_lshrrev_b64 v[2:3], 20, v[8:9]
	v_cmp_gt_i32_e32 vcc, 16, v1
	v_cndmask_b32_e32 v3, 0, v3, vcc
	v_cndmask_b32_e32 v2, 7, v2, vcc
	v_cmp_eq_u32_e32 vcc, 0, v1
	v_min_i32_e32 v1, 15, v1
	v_cmp_eq_u64_e64 s[26:27], 0, v[2:3]
	v_lshlrev_b32_e32 v1, 3, v1
	v_and_b32_e32 v1, 0xf8, v1
	v_and_or_b32 v1, v2, 7, v1
	s_and_b64 s[26:27], vcc, s[26:27]
	v_cndmask_b32_e64 v1, v1, 0, s[26:27]
	v_or_b32_e32 v0, v1, v0
	buffer_store_dword v0, off, s[0:3], s33 offset:132 ; 4-byte Folded Spill
.LBB6_380:                              ;   in Loop: Header=BB6_136 Depth=3
	s_or_b64 exec, exec, s[34:35]
                                        ; implicit-def: $vgpr0
.LBB6_381:                              ;   in Loop: Header=BB6_136 Depth=3
	s_andn2_saveexec_b64 s[26:27], s[30:31]
	s_cbranch_execz .LBB6_383
; %bb.382:                              ;   in Loop: Header=BB6_136 Depth=3
	v_or_b32_e32 v0, 0x7e, v0
	buffer_store_dword v0, off, s[0:3], s33 offset:132 ; 4-byte Folded Spill
.LBB6_383:                              ;   in Loop: Header=BB6_136 Depth=3
	s_or_b64 exec, exec, s[26:27]
                                        ; implicit-def: $vgpr1
.LBB6_384:                              ;   in Loop: Header=BB6_136 Depth=3
	s_andn2_saveexec_b64 s[26:27], s[94:95]
	s_cbranch_execz .LBB6_386
; %bb.385:                              ;   in Loop: Header=BB6_136 Depth=3
	v_or_b32_sdwa v0, v1, s86 dst_sel:DWORD dst_unused:UNUSED_PAD src0_sel:BYTE_3 src1_sel:DWORD
	buffer_store_dword v0, off, s[0:3], s33 offset:132 ; 4-byte Folded Spill
.LBB6_386:                              ;   in Loop: Header=BB6_136 Depth=3
	s_or_b64 exec, exec, s[26:27]
	v_cmp_lt_u32_e32 vcc, s57, v10
	v_mov_b32_e32 v0, 0
	s_and_saveexec_b64 s[26:27], vcc
	s_cbranch_execz .LBB6_392
; %bb.387:                              ;   in Loop: Header=BB6_136 Depth=3
	v_lshrrev_b32_e32 v8, 24, v10
	v_cmp_ne_u32_e32 vcc, s96, v8
	v_bfrev_b32_e32 v0, 1
	s_and_saveexec_b64 s[94:95], vcc
	s_cbranch_execz .LBB6_391
; %bb.388:                              ;   in Loop: Header=BB6_136 Depth=3
	v_bfe_u32 v1, v10, 24, 7
	v_cmp_ne_u32_e32 vcc, s86, v1
	v_mov_b32_e32 v0, 0x7f800001
	s_and_saveexec_b64 s[30:31], vcc
	s_cbranch_execz .LBB6_390
; %bb.389:                              ;   in Loop: Header=BB6_136 Depth=3
	v_and_b32_e32 v2, 7, v8
	v_ffbh_u32_e32 v0, v2
	v_min_u32_e32 v4, 32, v0
	v_subrev_u32_e32 v0, 28, v4
	v_lshrrev_b32_e32 v3, 3, v1
	v_cmp_gt_u32_e32 vcc, 8, v1
	v_lshlrev_b64 v[0:1], v0, v[8:9]
	v_sub_u32_e32 v1, 29, v4
	v_and_b32_e32 v0, 7, v0
	v_cndmask_b32_e32 v1, v3, v1, vcc
	v_cndmask_b32_e32 v0, v2, v0, vcc
	v_lshlrev_b32_e32 v2, 24, v8
	v_bfrev_b32_e32 v3, 60
	v_lshlrev_b32_e32 v0, 20, v0
	v_and_b32_e32 v2, 0x80000000, v2
	v_lshl_add_u32 v1, v1, 23, v3
	v_or3_b32 v0, v2, v1, v0
.LBB6_390:                              ;   in Loop: Header=BB6_136 Depth=3
	s_or_b64 exec, exec, s[30:31]
.LBB6_391:                              ;   in Loop: Header=BB6_136 Depth=3
	s_or_b64 exec, exec, s[94:95]
.LBB6_392:                              ;   in Loop: Header=BB6_136 Depth=3
	s_or_b64 exec, exec, s[26:27]
	v_mul_f32_e32 v1, v18, v0
	v_and_b32_e32 v2, 0x7f800000, v1
	v_mov_b32_e32 v3, v51
	v_cmp_ne_u64_e32 vcc, s[76:77], v[2:3]
                                        ; implicit-def: $vgpr0
                                        ; kill: killed $vgpr0
	s_and_saveexec_b64 s[26:27], vcc
	s_xor_b64 s[94:95], exec, s[26:27]
	s_cbranch_execz .LBB6_406
; %bb.393:                              ;   in Loop: Header=BB6_136 Depth=3
	v_and_b32_e32 v2, 0x7fffffff, v1
	v_mov_b32_e32 v3, v51
	v_cmp_gt_u64_e32 vcc, s[78:79], v[2:3]
	v_and_b32_sdwa v0, v1, s96 dst_sel:DWORD dst_unused:UNUSED_PAD src0_sel:BYTE_3 src1_sel:DWORD
                                        ; implicit-def: $vgpr2
                                        ; kill: killed $vgpr2
	s_and_saveexec_b64 s[26:27], vcc
	s_xor_b64 s[30:31], exec, s[26:27]
	s_cbranch_execz .LBB6_403
; %bb.394:                              ;   in Loop: Header=BB6_136 Depth=3
	v_mov_b32_e32 v2, 0
	v_cmp_ne_u32_e32 vcc, 0, v1
	buffer_store_dword v2, off, s[0:3], s33 offset:136 ; 4-byte Folded Spill
	s_and_saveexec_b64 s[34:35], vcc
	s_cbranch_execz .LBB6_402
; %bb.395:                              ;   in Loop: Header=BB6_136 Depth=3
	v_and_b32_e32 v3, 0x7fffff, v1
	v_bfe_u32 v1, v1, 23, 8
	v_cmp_gt_u32_e64 s[26:27], s97, v1
	v_sub_u32_e32 v2, 0x79, v1
	v_cmp_eq_u32_e32 vcc, 0, v1
	v_cndmask_b32_e64 v2, 0, v2, s[26:27]
	v_mov_b32_e32 v5, 0x78
	v_cndmask_b32_e32 v2, v2, v5, vcc
	v_add_u32_e32 v5, 20, v2
	v_or_b32_e32 v4, 0x800000, v3
	v_lshlrev_b64 v[5:6], v5, -1
	v_add_u32_e32 v7, 19, v2
	v_cndmask_b32_e32 v3, v4, v3, vcc
	v_lshlrev_b64 v[7:8], v7, 1
	v_mov_b32_e32 v4, v51
	v_bfi_b32 v6, v6, 0, 0
	v_bfi_b32 v5, v5, 0, v3
	v_cmp_eq_u64_e64 s[26:27], v[5:6], v[7:8]
	v_lshrrev_b64 v[8:9], v2, v[3:4]
	v_mov_b32_e32 v15, v9
	v_mov_b32_e32 v14, v8
	s_and_saveexec_b64 s[36:37], s[26:27]
; %bb.396:                              ;   in Loop: Header=BB6_136 Depth=3
	v_bfe_u32 v3, v8, 20, 1
	v_add_co_u32_e64 v3, s[26:27], v8, v3
	v_add_co_u32_e64 v14, s[26:27], -1, v3
; %bb.397:                              ;   in Loop: Header=BB6_136 Depth=3
	s_or_b64 exec, exec, s[36:37]
	v_add_u32_e32 v1, 0xffffff81, v1
	v_mov_b32_e32 v3, 0xffffff82
	v_cndmask_b32_e32 v1, v1, v3, vcc
	v_lshrrev_b32_e32 v3, 23, v8
	v_add3_u32 v3, v2, v1, v3
	v_add_u32_e32 v2, 6, v3
	v_and_b32_e32 v1, 0xfffff, v14
	v_add_u32_e32 v8, v1, v8
	v_mov_b32_e32 v9, v51
	v_cmp_ne_u32_e32 vcc, 0, v2
                                        ; implicit-def: $vgpr1
	s_and_saveexec_b64 s[26:27], vcc
	s_xor_b64 s[26:27], exec, s[26:27]
; %bb.398:                              ;   in Loop: Header=BB6_136 Depth=3
	v_cmp_lt_u64_e32 vcc, s[88:89], v[8:9]
	v_add_u32_e32 v1, 7, v3
	v_cndmask_b32_e32 v1, v2, v1, vcc
	v_cndmask_b32_e64 v2, 0, 1, vcc
	v_lshrrev_b64 v[8:9], v2, v[8:9]
; %bb.399:                              ;   in Loop: Header=BB6_136 Depth=3
	s_andn2_saveexec_b64 s[26:27], s[26:27]
; %bb.400:                              ;   in Loop: Header=BB6_136 Depth=3
	v_bfe_u32 v1, v8, 23, 1
; %bb.401:                              ;   in Loop: Header=BB6_136 Depth=3
	s_or_b64 exec, exec, s[26:27]
	v_lshrrev_b64 v[2:3], 20, v[8:9]
	v_cmp_gt_i32_e32 vcc, 16, v1
	v_cndmask_b32_e32 v3, 0, v3, vcc
	v_cndmask_b32_e32 v2, 7, v2, vcc
	v_cmp_eq_u32_e32 vcc, 0, v1
	v_min_i32_e32 v1, 15, v1
	v_cmp_eq_u64_e64 s[26:27], 0, v[2:3]
	v_lshlrev_b32_e32 v1, 3, v1
	v_and_b32_e32 v1, 0xf8, v1
	v_and_or_b32 v1, v2, 7, v1
	s_and_b64 s[26:27], vcc, s[26:27]
	v_cndmask_b32_e64 v1, v1, 0, s[26:27]
	v_or_b32_e32 v0, v1, v0
	buffer_store_dword v0, off, s[0:3], s33 offset:136 ; 4-byte Folded Spill
.LBB6_402:                              ;   in Loop: Header=BB6_136 Depth=3
	s_or_b64 exec, exec, s[34:35]
                                        ; implicit-def: $vgpr0
.LBB6_403:                              ;   in Loop: Header=BB6_136 Depth=3
	s_andn2_saveexec_b64 s[26:27], s[30:31]
	s_cbranch_execz .LBB6_405
; %bb.404:                              ;   in Loop: Header=BB6_136 Depth=3
	v_or_b32_e32 v0, 0x7e, v0
	buffer_store_dword v0, off, s[0:3], s33 offset:136 ; 4-byte Folded Spill
.LBB6_405:                              ;   in Loop: Header=BB6_136 Depth=3
	s_or_b64 exec, exec, s[26:27]
                                        ; implicit-def: $vgpr1
.LBB6_406:                              ;   in Loop: Header=BB6_136 Depth=3
	s_andn2_saveexec_b64 s[26:27], s[94:95]
	s_cbranch_execz .LBB6_408
; %bb.407:                              ;   in Loop: Header=BB6_136 Depth=3
	v_or_b32_sdwa v0, v1, s86 dst_sel:DWORD dst_unused:UNUSED_PAD src0_sel:BYTE_3 src1_sel:DWORD
	buffer_store_dword v0, off, s[0:3], s33 offset:136 ; 4-byte Folded Spill
.LBB6_408:                              ;   in Loop: Header=BB6_136 Depth=3
	s_or_b64 exec, exec, s[26:27]
	v_mov_b32_e32 v8, v11
	v_mov_b32_e32 v9, v51
	v_cmp_ne_u16_sdwa s[94:95], v11, v51 src0_sel:BYTE_0 src1_sel:DWORD
	v_mov_b32_e32 v0, 0
	s_and_saveexec_b64 s[26:27], s[94:95]
	s_cbranch_execz .LBB6_414
; %bb.409:                              ;   in Loop: Header=BB6_136 Depth=3
	v_cmp_ne_u16_sdwa vcc, v11, s96 src0_sel:BYTE_0 src1_sel:DWORD
	v_bfrev_b32_e32 v0, 1
	s_and_saveexec_b64 s[94:95], vcc
	s_cbranch_execz .LBB6_413
; %bb.410:                              ;   in Loop: Header=BB6_136 Depth=3
	v_and_b32_e32 v1, 0x7f, v11
	v_cmp_ne_u32_e32 vcc, s86, v1
	v_mov_b32_e32 v0, 0x7f800001
	s_and_saveexec_b64 s[30:31], vcc
	s_cbranch_execz .LBB6_412
; %bb.411:                              ;   in Loop: Header=BB6_136 Depth=3
	v_and_b32_e32 v0, 7, v11
	v_ffbh_u32_e32 v0, v0
	v_min_u32_e32 v0, 32, v0
	v_lshrrev_b32_e32 v2, 3, v1
	v_cmp_gt_u32_e32 vcc, 8, v1
	v_subrev_u32_e32 v1, 28, v0
	v_sub_u32_e32 v0, 29, v0
	v_cndmask_b32_e32 v2, v2, v0, vcc
	v_cndmask_b32_e32 v0, 0, v1, vcc
	v_lshlrev_b64 v[0:1], v0, v[8:9]
	v_lshlrev_b32_e32 v1, 24, v8
	v_lshlrev_b32_e32 v0, 20, v0
	v_bfrev_b32_e32 v3, 60
	v_and_b32_e32 v0, 0x700000, v0
	v_and_b32_e32 v1, 0x80000000, v1
	v_lshl_add_u32 v2, v2, 23, v3
	v_or3_b32 v0, v1, v2, v0
.LBB6_412:                              ;   in Loop: Header=BB6_136 Depth=3
	s_or_b64 exec, exec, s[30:31]
.LBB6_413:                              ;   in Loop: Header=BB6_136 Depth=3
	s_or_b64 exec, exec, s[94:95]
.LBB6_414:                              ;   in Loop: Header=BB6_136 Depth=3
	s_or_b64 exec, exec, s[26:27]
	v_mul_f32_e32 v1, v18, v0
	v_and_b32_e32 v2, 0x7f800000, v1
	v_mov_b32_e32 v3, v51
	v_cmp_ne_u64_e32 vcc, s[76:77], v[2:3]
                                        ; implicit-def: $vgpr0
                                        ; kill: killed $vgpr0
	s_and_saveexec_b64 s[26:27], vcc
	s_xor_b64 s[94:95], exec, s[26:27]
	s_cbranch_execz .LBB6_428
; %bb.415:                              ;   in Loop: Header=BB6_136 Depth=3
	v_and_b32_e32 v2, 0x7fffffff, v1
	v_mov_b32_e32 v3, v51
	v_cmp_gt_u64_e32 vcc, s[78:79], v[2:3]
	v_and_b32_sdwa v0, v1, s96 dst_sel:DWORD dst_unused:UNUSED_PAD src0_sel:BYTE_3 src1_sel:DWORD
                                        ; implicit-def: $vgpr2
                                        ; kill: killed $vgpr2
	s_and_saveexec_b64 s[26:27], vcc
	s_xor_b64 s[30:31], exec, s[26:27]
	s_cbranch_execz .LBB6_425
; %bb.416:                              ;   in Loop: Header=BB6_136 Depth=3
	v_mov_b32_e32 v2, 0
	v_cmp_ne_u32_e32 vcc, 0, v1
	buffer_store_dword v2, off, s[0:3], s33 offset:140 ; 4-byte Folded Spill
	s_and_saveexec_b64 s[34:35], vcc
	s_cbranch_execz .LBB6_424
; %bb.417:                              ;   in Loop: Header=BB6_136 Depth=3
	v_and_b32_e32 v3, 0x7fffff, v1
	v_bfe_u32 v1, v1, 23, 8
	v_cmp_gt_u32_e64 s[26:27], s97, v1
	v_sub_u32_e32 v2, 0x79, v1
	v_cmp_eq_u32_e32 vcc, 0, v1
	v_cndmask_b32_e64 v2, 0, v2, s[26:27]
	v_mov_b32_e32 v5, 0x78
	v_cndmask_b32_e32 v2, v2, v5, vcc
	v_add_u32_e32 v5, 20, v2
	v_or_b32_e32 v4, 0x800000, v3
	v_lshlrev_b64 v[5:6], v5, -1
	v_add_u32_e32 v7, 19, v2
	v_cndmask_b32_e32 v3, v4, v3, vcc
	v_lshlrev_b64 v[14:15], v7, 1
	v_mov_b32_e32 v4, v51
	v_bfi_b32 v6, v6, 0, 0
	v_bfi_b32 v5, v5, 0, v3
	v_cmp_eq_u64_e64 s[26:27], v[5:6], v[14:15]
	v_lshrrev_b64 v[14:15], v2, v[3:4]
	v_mov_b32_e32 v16, v15
	v_mov_b32_e32 v15, v14
	s_and_saveexec_b64 s[36:37], s[26:27]
; %bb.418:                              ;   in Loop: Header=BB6_136 Depth=3
	v_bfe_u32 v3, v14, 20, 1
	v_add_co_u32_e64 v3, s[26:27], v14, v3
	v_add_co_u32_e64 v15, s[26:27], -1, v3
; %bb.419:                              ;   in Loop: Header=BB6_136 Depth=3
	s_or_b64 exec, exec, s[36:37]
	v_add_u32_e32 v1, 0xffffff81, v1
	v_mov_b32_e32 v3, 0xffffff82
	v_cndmask_b32_e32 v1, v1, v3, vcc
	v_lshrrev_b32_e32 v3, 23, v14
	v_add3_u32 v3, v2, v1, v3
	v_add_u32_e32 v2, 6, v3
	v_and_b32_e32 v1, 0xfffff, v15
	v_add_u32_e32 v14, v1, v14
	v_mov_b32_e32 v15, v51
	v_cmp_ne_u32_e32 vcc, 0, v2
                                        ; implicit-def: $vgpr1
	s_and_saveexec_b64 s[26:27], vcc
	s_xor_b64 s[26:27], exec, s[26:27]
; %bb.420:                              ;   in Loop: Header=BB6_136 Depth=3
	v_cmp_lt_u64_e32 vcc, s[88:89], v[14:15]
	v_add_u32_e32 v1, 7, v3
	v_cndmask_b32_e32 v1, v2, v1, vcc
	v_cndmask_b32_e64 v2, 0, 1, vcc
	v_lshrrev_b64 v[14:15], v2, v[14:15]
; %bb.421:                              ;   in Loop: Header=BB6_136 Depth=3
	s_andn2_saveexec_b64 s[26:27], s[26:27]
; %bb.422:                              ;   in Loop: Header=BB6_136 Depth=3
	v_bfe_u32 v1, v14, 23, 1
; %bb.423:                              ;   in Loop: Header=BB6_136 Depth=3
	s_or_b64 exec, exec, s[26:27]
	v_lshrrev_b64 v[2:3], 20, v[14:15]
	v_cmp_gt_i32_e32 vcc, 16, v1
	v_cndmask_b32_e32 v3, 0, v3, vcc
	v_cndmask_b32_e32 v2, 7, v2, vcc
	v_cmp_eq_u32_e32 vcc, 0, v1
	v_min_i32_e32 v1, 15, v1
	v_cmp_eq_u64_e64 s[26:27], 0, v[2:3]
	v_lshlrev_b32_e32 v1, 3, v1
	v_and_b32_e32 v1, 0xf8, v1
	v_and_or_b32 v1, v2, 7, v1
	s_and_b64 s[26:27], vcc, s[26:27]
	v_cndmask_b32_e64 v1, v1, 0, s[26:27]
	v_or_b32_e32 v0, v1, v0
	buffer_store_dword v0, off, s[0:3], s33 offset:140 ; 4-byte Folded Spill
.LBB6_424:                              ;   in Loop: Header=BB6_136 Depth=3
	s_or_b64 exec, exec, s[34:35]
                                        ; implicit-def: $vgpr0
.LBB6_425:                              ;   in Loop: Header=BB6_136 Depth=3
	s_andn2_saveexec_b64 s[26:27], s[30:31]
	s_cbranch_execz .LBB6_427
; %bb.426:                              ;   in Loop: Header=BB6_136 Depth=3
	v_or_b32_e32 v0, 0x7e, v0
	buffer_store_dword v0, off, s[0:3], s33 offset:140 ; 4-byte Folded Spill
.LBB6_427:                              ;   in Loop: Header=BB6_136 Depth=3
	s_or_b64 exec, exec, s[26:27]
                                        ; implicit-def: $vgpr1
.LBB6_428:                              ;   in Loop: Header=BB6_136 Depth=3
	s_andn2_saveexec_b64 s[26:27], s[94:95]
	s_cbranch_execz .LBB6_430
; %bb.429:                              ;   in Loop: Header=BB6_136 Depth=3
	v_or_b32_sdwa v0, v1, s86 dst_sel:DWORD dst_unused:UNUSED_PAD src0_sel:BYTE_3 src1_sel:DWORD
	buffer_store_dword v0, off, s[0:3], s33 offset:140 ; 4-byte Folded Spill
.LBB6_430:                              ;   in Loop: Header=BB6_136 Depth=3
	s_or_b64 exec, exec, s[26:27]
	v_lshrrev_b16_e32 v9, 8, v8
	v_cmp_ne_u16_e32 vcc, 0, v9
	v_mov_b32_e32 v0, 0
	s_and_saveexec_b64 s[26:27], vcc
	s_cbranch_execz .LBB6_436
; %bb.431:                              ;   in Loop: Header=BB6_136 Depth=3
	v_cmp_ne_u16_e32 vcc, s96, v9
	v_bfrev_b32_e32 v0, 1
	s_and_saveexec_b64 s[94:95], vcc
	s_cbranch_execz .LBB6_435
; %bb.432:                              ;   in Loop: Header=BB6_136 Depth=3
	v_and_b32_e32 v1, 0x7f, v9
	v_cmp_ne_u32_e32 vcc, s86, v1
	v_mov_b32_e32 v0, 0x7f800001
	s_and_saveexec_b64 s[30:31], vcc
	s_cbranch_execz .LBB6_434
; %bb.433:                              ;   in Loop: Header=BB6_136 Depth=3
	v_and_b32_e32 v2, 7, v9
	v_ffbh_u32_e32 v0, v2
	v_min_u32_e32 v4, 32, v0
	v_subrev_u32_e32 v0, 28, v4
	v_lshrrev_b32_e32 v3, 3, v1
	v_cmp_gt_u32_e32 vcc, 8, v1
	v_lshlrev_b64 v[0:1], v0, v[9:10]
	v_sub_u32_e32 v1, 29, v4
	v_and_b32_e32 v0, 7, v0
	v_cndmask_b32_e32 v1, v3, v1, vcc
	v_cndmask_b32_e32 v0, v2, v0, vcc
	v_lshlrev_b32_e32 v2, 16, v8
	v_bfrev_b32_e32 v3, 60
	v_lshlrev_b32_e32 v0, 20, v0
	v_and_b32_e32 v2, 0x80000000, v2
	v_lshl_add_u32 v1, v1, 23, v3
	v_or3_b32 v0, v2, v1, v0
.LBB6_434:                              ;   in Loop: Header=BB6_136 Depth=3
	s_or_b64 exec, exec, s[30:31]
.LBB6_435:                              ;   in Loop: Header=BB6_136 Depth=3
	s_or_b64 exec, exec, s[94:95]
.LBB6_436:                              ;   in Loop: Header=BB6_136 Depth=3
	s_or_b64 exec, exec, s[26:27]
	v_mul_f32_e32 v1, v18, v0
	v_and_b32_e32 v2, 0x7f800000, v1
	v_mov_b32_e32 v3, v51
	v_cmp_ne_u64_e32 vcc, s[76:77], v[2:3]
                                        ; implicit-def: $vgpr0
                                        ; kill: killed $vgpr0
	s_and_saveexec_b64 s[26:27], vcc
	s_xor_b64 s[94:95], exec, s[26:27]
	s_cbranch_execz .LBB6_450
; %bb.437:                              ;   in Loop: Header=BB6_136 Depth=3
	v_and_b32_e32 v2, 0x7fffffff, v1
	v_mov_b32_e32 v3, v51
	v_cmp_gt_u64_e32 vcc, s[78:79], v[2:3]
	v_and_b32_sdwa v0, v1, s96 dst_sel:DWORD dst_unused:UNUSED_PAD src0_sel:BYTE_3 src1_sel:DWORD
                                        ; implicit-def: $vgpr2
                                        ; kill: killed $vgpr2
	s_and_saveexec_b64 s[26:27], vcc
	s_xor_b64 s[30:31], exec, s[26:27]
	s_cbranch_execz .LBB6_447
; %bb.438:                              ;   in Loop: Header=BB6_136 Depth=3
	v_mov_b32_e32 v2, 0
	v_cmp_ne_u32_e32 vcc, 0, v1
	buffer_store_dword v2, off, s[0:3], s33 offset:144 ; 4-byte Folded Spill
	s_and_saveexec_b64 s[34:35], vcc
	s_cbranch_execz .LBB6_446
; %bb.439:                              ;   in Loop: Header=BB6_136 Depth=3
	v_and_b32_e32 v3, 0x7fffff, v1
	v_bfe_u32 v1, v1, 23, 8
	v_cmp_gt_u32_e64 s[26:27], s97, v1
	v_sub_u32_e32 v2, 0x79, v1
	v_cmp_eq_u32_e32 vcc, 0, v1
	v_cndmask_b32_e64 v2, 0, v2, s[26:27]
	v_mov_b32_e32 v5, 0x78
	v_cndmask_b32_e32 v2, v2, v5, vcc
	v_add_u32_e32 v5, 20, v2
	v_or_b32_e32 v4, 0x800000, v3
	v_lshlrev_b64 v[5:6], v5, -1
	v_add_u32_e32 v7, 19, v2
	v_cndmask_b32_e32 v3, v4, v3, vcc
	v_lshlrev_b64 v[7:8], v7, 1
	v_mov_b32_e32 v4, v51
	v_bfi_b32 v6, v6, 0, 0
	v_bfi_b32 v5, v5, 0, v3
	v_cmp_eq_u64_e64 s[26:27], v[5:6], v[7:8]
	v_lshrrev_b64 v[8:9], v2, v[3:4]
	v_mov_b32_e32 v15, v9
	v_mov_b32_e32 v14, v8
	s_and_saveexec_b64 s[36:37], s[26:27]
; %bb.440:                              ;   in Loop: Header=BB6_136 Depth=3
	v_bfe_u32 v3, v8, 20, 1
	v_add_co_u32_e64 v3, s[26:27], v8, v3
	v_add_co_u32_e64 v14, s[26:27], -1, v3
; %bb.441:                              ;   in Loop: Header=BB6_136 Depth=3
	s_or_b64 exec, exec, s[36:37]
	v_add_u32_e32 v1, 0xffffff81, v1
	v_mov_b32_e32 v3, 0xffffff82
	v_cndmask_b32_e32 v1, v1, v3, vcc
	v_lshrrev_b32_e32 v3, 23, v8
	v_add3_u32 v3, v2, v1, v3
	v_add_u32_e32 v2, 6, v3
	v_and_b32_e32 v1, 0xfffff, v14
	v_add_u32_e32 v8, v1, v8
	v_mov_b32_e32 v9, v51
	v_cmp_ne_u32_e32 vcc, 0, v2
                                        ; implicit-def: $vgpr1
	s_and_saveexec_b64 s[26:27], vcc
	s_xor_b64 s[26:27], exec, s[26:27]
; %bb.442:                              ;   in Loop: Header=BB6_136 Depth=3
	v_cmp_lt_u64_e32 vcc, s[88:89], v[8:9]
	v_add_u32_e32 v1, 7, v3
	v_cndmask_b32_e32 v1, v2, v1, vcc
	v_cndmask_b32_e64 v2, 0, 1, vcc
	v_lshrrev_b64 v[8:9], v2, v[8:9]
; %bb.443:                              ;   in Loop: Header=BB6_136 Depth=3
	s_andn2_saveexec_b64 s[26:27], s[26:27]
; %bb.444:                              ;   in Loop: Header=BB6_136 Depth=3
	v_bfe_u32 v1, v8, 23, 1
; %bb.445:                              ;   in Loop: Header=BB6_136 Depth=3
	s_or_b64 exec, exec, s[26:27]
	v_lshrrev_b64 v[2:3], 20, v[8:9]
	v_cmp_gt_i32_e32 vcc, 16, v1
	v_cndmask_b32_e32 v3, 0, v3, vcc
	v_cndmask_b32_e32 v2, 7, v2, vcc
	v_cmp_eq_u32_e32 vcc, 0, v1
	v_min_i32_e32 v1, 15, v1
	v_cmp_eq_u64_e64 s[26:27], 0, v[2:3]
	v_lshlrev_b32_e32 v1, 3, v1
	v_and_b32_e32 v1, 0xf8, v1
	v_and_or_b32 v1, v2, 7, v1
	s_and_b64 s[26:27], vcc, s[26:27]
	v_cndmask_b32_e64 v1, v1, 0, s[26:27]
	v_or_b32_e32 v0, v1, v0
	buffer_store_dword v0, off, s[0:3], s33 offset:144 ; 4-byte Folded Spill
.LBB6_446:                              ;   in Loop: Header=BB6_136 Depth=3
	s_or_b64 exec, exec, s[34:35]
                                        ; implicit-def: $vgpr0
.LBB6_447:                              ;   in Loop: Header=BB6_136 Depth=3
	s_andn2_saveexec_b64 s[26:27], s[30:31]
	s_cbranch_execz .LBB6_449
; %bb.448:                              ;   in Loop: Header=BB6_136 Depth=3
	v_or_b32_e32 v0, 0x7e, v0
	buffer_store_dword v0, off, s[0:3], s33 offset:144 ; 4-byte Folded Spill
.LBB6_449:                              ;   in Loop: Header=BB6_136 Depth=3
	s_or_b64 exec, exec, s[26:27]
                                        ; implicit-def: $vgpr1
.LBB6_450:                              ;   in Loop: Header=BB6_136 Depth=3
	s_andn2_saveexec_b64 s[26:27], s[94:95]
	s_cbranch_execz .LBB6_452
; %bb.451:                              ;   in Loop: Header=BB6_136 Depth=3
	v_or_b32_sdwa v0, v1, s86 dst_sel:DWORD dst_unused:UNUSED_PAD src0_sel:BYTE_3 src1_sel:DWORD
	buffer_store_dword v0, off, s[0:3], s33 offset:144 ; 4-byte Folded Spill
.LBB6_452:                              ;   in Loop: Header=BB6_136 Depth=3
	s_or_b64 exec, exec, s[26:27]
	v_lshrrev_b32_e32 v8, 16, v11
	v_cmp_ne_u16_sdwa s[94:95], v8, v51 src0_sel:BYTE_0 src1_sel:DWORD
	v_mov_b32_e32 v0, 0
	s_and_saveexec_b64 s[26:27], s[94:95]
	s_cbranch_execz .LBB6_458
; %bb.453:                              ;   in Loop: Header=BB6_136 Depth=3
	v_cmp_ne_u16_sdwa vcc, v8, s96 src0_sel:BYTE_0 src1_sel:DWORD
	v_bfrev_b32_e32 v0, 1
	s_and_saveexec_b64 s[94:95], vcc
	s_cbranch_execz .LBB6_457
; %bb.454:                              ;   in Loop: Header=BB6_136 Depth=3
	v_bfe_u32 v1, v11, 16, 7
	v_cmp_ne_u32_e32 vcc, s86, v1
	v_mov_b32_e32 v0, 0x7f800001
	s_and_saveexec_b64 s[30:31], vcc
	s_cbranch_execz .LBB6_456
; %bb.455:                              ;   in Loop: Header=BB6_136 Depth=3
	v_and_b32_e32 v2, 7, v8
	v_ffbh_u32_e32 v0, v2
	v_min_u32_e32 v4, 32, v0
	v_subrev_u32_e32 v0, 28, v4
	v_lshrrev_b32_e32 v3, 3, v1
	v_cmp_gt_u32_e32 vcc, 8, v1
	v_lshlrev_b64 v[0:1], v0, v[8:9]
	v_sub_u32_e32 v1, 29, v4
	v_and_b32_e32 v0, 7, v0
	v_cndmask_b32_e32 v1, v3, v1, vcc
	v_cndmask_b32_e32 v0, v2, v0, vcc
	v_lshlrev_b32_e32 v2, 24, v8
	v_bfrev_b32_e32 v3, 60
	v_lshlrev_b32_e32 v0, 20, v0
	v_and_b32_e32 v2, 0x80000000, v2
	v_lshl_add_u32 v1, v1, 23, v3
	v_or3_b32 v0, v2, v1, v0
.LBB6_456:                              ;   in Loop: Header=BB6_136 Depth=3
	s_or_b64 exec, exec, s[30:31]
.LBB6_457:                              ;   in Loop: Header=BB6_136 Depth=3
	s_or_b64 exec, exec, s[94:95]
.LBB6_458:                              ;   in Loop: Header=BB6_136 Depth=3
	s_or_b64 exec, exec, s[26:27]
	v_mul_f32_e32 v1, v18, v0
	v_and_b32_e32 v2, 0x7f800000, v1
	v_mov_b32_e32 v3, v51
	v_cmp_ne_u64_e32 vcc, s[76:77], v[2:3]
                                        ; implicit-def: $vgpr0
                                        ; kill: killed $vgpr0
	s_and_saveexec_b64 s[26:27], vcc
	s_xor_b64 s[94:95], exec, s[26:27]
	s_cbranch_execz .LBB6_472
; %bb.459:                              ;   in Loop: Header=BB6_136 Depth=3
	v_and_b32_e32 v2, 0x7fffffff, v1
	v_mov_b32_e32 v3, v51
	v_cmp_gt_u64_e32 vcc, s[78:79], v[2:3]
	v_and_b32_sdwa v0, v1, s96 dst_sel:DWORD dst_unused:UNUSED_PAD src0_sel:BYTE_3 src1_sel:DWORD
                                        ; implicit-def: $vgpr2
                                        ; kill: killed $vgpr2
	s_and_saveexec_b64 s[26:27], vcc
	s_xor_b64 s[30:31], exec, s[26:27]
	s_cbranch_execz .LBB6_469
; %bb.460:                              ;   in Loop: Header=BB6_136 Depth=3
	v_mov_b32_e32 v2, 0
	v_cmp_ne_u32_e32 vcc, 0, v1
	buffer_store_dword v2, off, s[0:3], s33 offset:148 ; 4-byte Folded Spill
	s_and_saveexec_b64 s[34:35], vcc
	s_cbranch_execz .LBB6_468
; %bb.461:                              ;   in Loop: Header=BB6_136 Depth=3
	v_and_b32_e32 v3, 0x7fffff, v1
	v_bfe_u32 v1, v1, 23, 8
	v_cmp_gt_u32_e64 s[26:27], s97, v1
	v_sub_u32_e32 v2, 0x79, v1
	v_cmp_eq_u32_e32 vcc, 0, v1
	v_cndmask_b32_e64 v2, 0, v2, s[26:27]
	v_mov_b32_e32 v5, 0x78
	v_cndmask_b32_e32 v2, v2, v5, vcc
	v_add_u32_e32 v5, 20, v2
	v_or_b32_e32 v4, 0x800000, v3
	v_lshlrev_b64 v[5:6], v5, -1
	v_add_u32_e32 v7, 19, v2
	v_cndmask_b32_e32 v3, v4, v3, vcc
	v_lshlrev_b64 v[7:8], v7, 1
	v_mov_b32_e32 v4, v51
	v_bfi_b32 v6, v6, 0, 0
	v_bfi_b32 v5, v5, 0, v3
	v_cmp_eq_u64_e64 s[26:27], v[5:6], v[7:8]
	v_lshrrev_b64 v[8:9], v2, v[3:4]
	v_mov_b32_e32 v15, v9
	v_mov_b32_e32 v14, v8
	s_and_saveexec_b64 s[36:37], s[26:27]
; %bb.462:                              ;   in Loop: Header=BB6_136 Depth=3
	v_bfe_u32 v3, v8, 20, 1
	v_add_co_u32_e64 v3, s[26:27], v8, v3
	v_add_co_u32_e64 v14, s[26:27], -1, v3
; %bb.463:                              ;   in Loop: Header=BB6_136 Depth=3
	s_or_b64 exec, exec, s[36:37]
	v_add_u32_e32 v1, 0xffffff81, v1
	v_mov_b32_e32 v3, 0xffffff82
	v_cndmask_b32_e32 v1, v1, v3, vcc
	v_lshrrev_b32_e32 v3, 23, v8
	v_add3_u32 v3, v2, v1, v3
	v_add_u32_e32 v2, 6, v3
	v_and_b32_e32 v1, 0xfffff, v14
	v_add_u32_e32 v8, v1, v8
	v_mov_b32_e32 v9, v51
	v_cmp_ne_u32_e32 vcc, 0, v2
                                        ; implicit-def: $vgpr1
	s_and_saveexec_b64 s[26:27], vcc
	s_xor_b64 s[26:27], exec, s[26:27]
; %bb.464:                              ;   in Loop: Header=BB6_136 Depth=3
	v_cmp_lt_u64_e32 vcc, s[88:89], v[8:9]
	v_add_u32_e32 v1, 7, v3
	v_cndmask_b32_e32 v1, v2, v1, vcc
	v_cndmask_b32_e64 v2, 0, 1, vcc
	v_lshrrev_b64 v[8:9], v2, v[8:9]
; %bb.465:                              ;   in Loop: Header=BB6_136 Depth=3
	s_andn2_saveexec_b64 s[26:27], s[26:27]
; %bb.466:                              ;   in Loop: Header=BB6_136 Depth=3
	v_bfe_u32 v1, v8, 23, 1
; %bb.467:                              ;   in Loop: Header=BB6_136 Depth=3
	s_or_b64 exec, exec, s[26:27]
	v_lshrrev_b64 v[2:3], 20, v[8:9]
	v_cmp_gt_i32_e32 vcc, 16, v1
	v_cndmask_b32_e32 v3, 0, v3, vcc
	v_cndmask_b32_e32 v2, 7, v2, vcc
	v_cmp_eq_u32_e32 vcc, 0, v1
	v_min_i32_e32 v1, 15, v1
	v_cmp_eq_u64_e64 s[26:27], 0, v[2:3]
	v_lshlrev_b32_e32 v1, 3, v1
	v_and_b32_e32 v1, 0xf8, v1
	v_and_or_b32 v1, v2, 7, v1
	s_and_b64 s[26:27], vcc, s[26:27]
	v_cndmask_b32_e64 v1, v1, 0, s[26:27]
	v_or_b32_e32 v0, v1, v0
	buffer_store_dword v0, off, s[0:3], s33 offset:148 ; 4-byte Folded Spill
.LBB6_468:                              ;   in Loop: Header=BB6_136 Depth=3
	s_or_b64 exec, exec, s[34:35]
                                        ; implicit-def: $vgpr0
.LBB6_469:                              ;   in Loop: Header=BB6_136 Depth=3
	s_andn2_saveexec_b64 s[26:27], s[30:31]
	s_cbranch_execz .LBB6_471
; %bb.470:                              ;   in Loop: Header=BB6_136 Depth=3
	v_or_b32_e32 v0, 0x7e, v0
	buffer_store_dword v0, off, s[0:3], s33 offset:148 ; 4-byte Folded Spill
.LBB6_471:                              ;   in Loop: Header=BB6_136 Depth=3
	s_or_b64 exec, exec, s[26:27]
                                        ; implicit-def: $vgpr1
.LBB6_472:                              ;   in Loop: Header=BB6_136 Depth=3
	s_andn2_saveexec_b64 s[26:27], s[94:95]
	s_cbranch_execz .LBB6_474
; %bb.473:                              ;   in Loop: Header=BB6_136 Depth=3
	v_or_b32_sdwa v0, v1, s86 dst_sel:DWORD dst_unused:UNUSED_PAD src0_sel:BYTE_3 src1_sel:DWORD
	buffer_store_dword v0, off, s[0:3], s33 offset:148 ; 4-byte Folded Spill
.LBB6_474:                              ;   in Loop: Header=BB6_136 Depth=3
	s_or_b64 exec, exec, s[26:27]
	v_cmp_lt_u64_e32 vcc, s[56:57], v[10:11]
	v_mov_b32_e32 v0, 0
	s_and_saveexec_b64 s[26:27], vcc
	s_cbranch_execz .LBB6_480
; %bb.475:                              ;   in Loop: Header=BB6_136 Depth=3
	v_lshrrev_b32_e32 v8, 24, v11
	v_cmp_ne_u32_e32 vcc, s96, v8
	v_bfrev_b32_e32 v0, 1
	s_and_saveexec_b64 s[94:95], vcc
	s_cbranch_execz .LBB6_479
; %bb.476:                              ;   in Loop: Header=BB6_136 Depth=3
	v_bfe_u32 v1, v11, 24, 7
	v_cmp_ne_u32_e32 vcc, s86, v1
	v_mov_b32_e32 v0, 0x7f800001
	s_and_saveexec_b64 s[30:31], vcc
	s_cbranch_execz .LBB6_478
; %bb.477:                              ;   in Loop: Header=BB6_136 Depth=3
	v_and_b32_e32 v2, 7, v8
	v_ffbh_u32_e32 v0, v2
	v_min_u32_e32 v4, 32, v0
	v_subrev_u32_e32 v0, 28, v4
	v_lshrrev_b32_e32 v3, 3, v1
	v_cmp_gt_u32_e32 vcc, 8, v1
	v_lshlrev_b64 v[0:1], v0, v[8:9]
	v_sub_u32_e32 v1, 29, v4
	v_and_b32_e32 v0, 7, v0
	v_cndmask_b32_e32 v1, v3, v1, vcc
	v_cndmask_b32_e32 v0, v2, v0, vcc
	v_lshlrev_b32_e32 v2, 24, v8
	v_bfrev_b32_e32 v3, 60
	v_lshlrev_b32_e32 v0, 20, v0
	v_and_b32_e32 v2, 0x80000000, v2
	v_lshl_add_u32 v1, v1, 23, v3
	v_or3_b32 v0, v2, v1, v0
.LBB6_478:                              ;   in Loop: Header=BB6_136 Depth=3
	s_or_b64 exec, exec, s[30:31]
.LBB6_479:                              ;   in Loop: Header=BB6_136 Depth=3
	s_or_b64 exec, exec, s[94:95]
.LBB6_480:                              ;   in Loop: Header=BB6_136 Depth=3
	s_or_b64 exec, exec, s[26:27]
	v_mul_f32_e32 v1, v18, v0
	v_and_b32_e32 v2, 0x7f800000, v1
	v_mov_b32_e32 v3, v51
	v_cmp_ne_u64_e32 vcc, s[76:77], v[2:3]
                                        ; implicit-def: $vgpr0
                                        ; kill: killed $vgpr0
	s_and_saveexec_b64 s[26:27], vcc
	s_xor_b64 s[94:95], exec, s[26:27]
	s_cbranch_execz .LBB6_494
; %bb.481:                              ;   in Loop: Header=BB6_136 Depth=3
	v_and_b32_e32 v2, 0x7fffffff, v1
	v_mov_b32_e32 v3, v51
	v_cmp_gt_u64_e32 vcc, s[78:79], v[2:3]
	v_and_b32_sdwa v0, v1, s96 dst_sel:DWORD dst_unused:UNUSED_PAD src0_sel:BYTE_3 src1_sel:DWORD
                                        ; implicit-def: $vgpr2
                                        ; kill: killed $vgpr2
	s_and_saveexec_b64 s[26:27], vcc
	s_xor_b64 s[30:31], exec, s[26:27]
	s_cbranch_execz .LBB6_491
; %bb.482:                              ;   in Loop: Header=BB6_136 Depth=3
	v_mov_b32_e32 v2, 0
	v_cmp_ne_u32_e32 vcc, 0, v1
	buffer_store_dword v2, off, s[0:3], s33 offset:152 ; 4-byte Folded Spill
	s_and_saveexec_b64 s[34:35], vcc
	s_cbranch_execz .LBB6_490
; %bb.483:                              ;   in Loop: Header=BB6_136 Depth=3
	v_and_b32_e32 v3, 0x7fffff, v1
	v_bfe_u32 v1, v1, 23, 8
	v_cmp_gt_u32_e64 s[26:27], s97, v1
	v_sub_u32_e32 v2, 0x79, v1
	v_cmp_eq_u32_e32 vcc, 0, v1
	v_cndmask_b32_e64 v2, 0, v2, s[26:27]
	v_mov_b32_e32 v5, 0x78
	v_cndmask_b32_e32 v2, v2, v5, vcc
	v_add_u32_e32 v5, 20, v2
	v_or_b32_e32 v4, 0x800000, v3
	v_lshlrev_b64 v[5:6], v5, -1
	v_add_u32_e32 v7, 19, v2
	v_cndmask_b32_e32 v3, v4, v3, vcc
	v_lshlrev_b64 v[7:8], v7, 1
	v_mov_b32_e32 v4, v51
	v_bfi_b32 v6, v6, 0, 0
	v_bfi_b32 v5, v5, 0, v3
	v_cmp_eq_u64_e64 s[26:27], v[5:6], v[7:8]
	v_lshrrev_b64 v[8:9], v2, v[3:4]
	v_mov_b32_e32 v10, v9
	v_mov_b32_e32 v9, v8
	s_and_saveexec_b64 s[36:37], s[26:27]
; %bb.484:                              ;   in Loop: Header=BB6_136 Depth=3
	v_bfe_u32 v3, v8, 20, 1
	v_add_co_u32_e64 v3, s[26:27], v8, v3
	v_add_co_u32_e64 v9, s[26:27], -1, v3
; %bb.485:                              ;   in Loop: Header=BB6_136 Depth=3
	s_or_b64 exec, exec, s[36:37]
	v_add_u32_e32 v1, 0xffffff81, v1
	v_mov_b32_e32 v3, 0xffffff82
	v_cndmask_b32_e32 v1, v1, v3, vcc
	v_lshrrev_b32_e32 v3, 23, v8
	v_add3_u32 v3, v2, v1, v3
	v_add_u32_e32 v2, 6, v3
	v_and_b32_e32 v1, 0xfffff, v9
	v_add_u32_e32 v8, v1, v8
	v_mov_b32_e32 v9, v51
	v_cmp_ne_u32_e32 vcc, 0, v2
                                        ; implicit-def: $vgpr1
	s_and_saveexec_b64 s[26:27], vcc
	s_xor_b64 s[26:27], exec, s[26:27]
; %bb.486:                              ;   in Loop: Header=BB6_136 Depth=3
	v_cmp_lt_u64_e32 vcc, s[88:89], v[8:9]
	v_add_u32_e32 v1, 7, v3
	v_cndmask_b32_e32 v1, v2, v1, vcc
	v_cndmask_b32_e64 v2, 0, 1, vcc
	v_lshrrev_b64 v[8:9], v2, v[8:9]
; %bb.487:                              ;   in Loop: Header=BB6_136 Depth=3
	s_andn2_saveexec_b64 s[26:27], s[26:27]
; %bb.488:                              ;   in Loop: Header=BB6_136 Depth=3
	v_bfe_u32 v1, v8, 23, 1
; %bb.489:                              ;   in Loop: Header=BB6_136 Depth=3
	s_or_b64 exec, exec, s[26:27]
	v_lshrrev_b64 v[2:3], 20, v[8:9]
	v_cmp_gt_i32_e32 vcc, 16, v1
	v_cndmask_b32_e32 v3, 0, v3, vcc
	v_cndmask_b32_e32 v2, 7, v2, vcc
	v_cmp_eq_u32_e32 vcc, 0, v1
	v_min_i32_e32 v1, 15, v1
	v_cmp_eq_u64_e64 s[26:27], 0, v[2:3]
	v_lshlrev_b32_e32 v1, 3, v1
	v_and_b32_e32 v1, 0xf8, v1
	v_and_or_b32 v1, v2, 7, v1
	s_and_b64 s[26:27], vcc, s[26:27]
	v_cndmask_b32_e64 v1, v1, 0, s[26:27]
	v_or_b32_e32 v0, v1, v0
	buffer_store_dword v0, off, s[0:3], s33 offset:152 ; 4-byte Folded Spill
.LBB6_490:                              ;   in Loop: Header=BB6_136 Depth=3
	s_or_b64 exec, exec, s[34:35]
                                        ; implicit-def: $vgpr0
.LBB6_491:                              ;   in Loop: Header=BB6_136 Depth=3
	s_andn2_saveexec_b64 s[26:27], s[30:31]
	s_cbranch_execz .LBB6_493
; %bb.492:                              ;   in Loop: Header=BB6_136 Depth=3
	v_or_b32_e32 v0, 0x7e, v0
	buffer_store_dword v0, off, s[0:3], s33 offset:152 ; 4-byte Folded Spill
.LBB6_493:                              ;   in Loop: Header=BB6_136 Depth=3
	s_or_b64 exec, exec, s[26:27]
                                        ; implicit-def: $vgpr1
.LBB6_494:                              ;   in Loop: Header=BB6_136 Depth=3
	s_andn2_saveexec_b64 s[26:27], s[94:95]
	s_cbranch_execz .LBB6_496
; %bb.495:                              ;   in Loop: Header=BB6_136 Depth=3
	v_or_b32_sdwa v0, v1, s86 dst_sel:DWORD dst_unused:UNUSED_PAD src0_sel:BYTE_3 src1_sel:DWORD
	buffer_store_dword v0, off, s[0:3], s33 offset:152 ; 4-byte Folded Spill
.LBB6_496:                              ;   in Loop: Header=BB6_136 Depth=3
	s_or_b64 exec, exec, s[26:27]
	global_load_dwordx4 v[8:11], v[12:13], off offset:1024 glc slc
	v_mov_b32_e32 v0, 0
	s_waitcnt vmcnt(0)
	v_cmp_ne_u16_sdwa s[94:95], v8, v51 src0_sel:BYTE_0 src1_sel:DWORD
	s_and_saveexec_b64 s[26:27], s[94:95]
	s_cbranch_execz .LBB6_502
; %bb.497:                              ;   in Loop: Header=BB6_136 Depth=3
	v_cmp_ne_u16_sdwa vcc, v8, s96 src0_sel:BYTE_0 src1_sel:DWORD
	v_bfrev_b32_e32 v0, 1
	s_and_saveexec_b64 s[94:95], vcc
	s_cbranch_execz .LBB6_501
; %bb.498:                              ;   in Loop: Header=BB6_136 Depth=3
	v_and_b32_e32 v1, 0x7f, v8
	v_cmp_ne_u32_e32 vcc, s86, v1
	v_mov_b32_e32 v0, 0x7f800001
	s_and_saveexec_b64 s[30:31], vcc
	s_cbranch_execz .LBB6_500
; %bb.499:                              ;   in Loop: Header=BB6_136 Depth=3
	v_and_b32_e32 v0, 7, v8
	v_ffbh_u32_e32 v0, v0
	v_min_u32_e32 v0, 32, v0
	v_lshrrev_b32_e32 v2, 3, v1
	v_cmp_gt_u32_e32 vcc, 8, v1
	v_subrev_u32_e32 v1, 28, v0
	v_sub_u32_e32 v0, 29, v0
	v_cndmask_b32_e32 v2, v2, v0, vcc
	v_cndmask_b32_e32 v0, 0, v1, vcc
	v_lshlrev_b64 v[0:1], v0, v[8:9]
	v_lshlrev_b32_e32 v1, 24, v8
	v_lshlrev_b32_e32 v0, 20, v0
	v_bfrev_b32_e32 v3, 60
	v_and_b32_e32 v0, 0x700000, v0
	v_and_b32_e32 v1, 0x80000000, v1
	v_lshl_add_u32 v2, v2, 23, v3
	v_or3_b32 v0, v1, v2, v0
.LBB6_500:                              ;   in Loop: Header=BB6_136 Depth=3
	s_or_b64 exec, exec, s[30:31]
.LBB6_501:                              ;   in Loop: Header=BB6_136 Depth=3
	s_or_b64 exec, exec, s[94:95]
.LBB6_502:                              ;   in Loop: Header=BB6_136 Depth=3
	s_or_b64 exec, exec, s[26:27]
	v_mul_f32_e32 v1, v18, v0
	v_and_b32_e32 v2, 0x7f800000, v1
	v_mov_b32_e32 v3, v51
	v_cmp_ne_u64_e32 vcc, s[76:77], v[2:3]
                                        ; implicit-def: $vgpr0
                                        ; kill: killed $vgpr0
	s_and_saveexec_b64 s[26:27], vcc
	s_xor_b64 s[94:95], exec, s[26:27]
	s_cbranch_execz .LBB6_516
; %bb.503:                              ;   in Loop: Header=BB6_136 Depth=3
	v_and_b32_e32 v2, 0x7fffffff, v1
	v_mov_b32_e32 v3, v51
	v_cmp_gt_u64_e32 vcc, s[78:79], v[2:3]
	v_and_b32_sdwa v0, v1, s96 dst_sel:DWORD dst_unused:UNUSED_PAD src0_sel:BYTE_3 src1_sel:DWORD
                                        ; implicit-def: $vgpr2
                                        ; kill: killed $vgpr2
	s_and_saveexec_b64 s[26:27], vcc
	s_xor_b64 s[30:31], exec, s[26:27]
	s_cbranch_execz .LBB6_513
; %bb.504:                              ;   in Loop: Header=BB6_136 Depth=3
	v_mov_b32_e32 v2, 0
	v_cmp_ne_u32_e32 vcc, 0, v1
	buffer_store_dword v2, off, s[0:3], s33 offset:156 ; 4-byte Folded Spill
	s_and_saveexec_b64 s[34:35], vcc
	s_cbranch_execz .LBB6_512
; %bb.505:                              ;   in Loop: Header=BB6_136 Depth=3
	v_and_b32_e32 v3, 0x7fffff, v1
	v_bfe_u32 v1, v1, 23, 8
	v_cmp_gt_u32_e64 s[26:27], s97, v1
	v_sub_u32_e32 v2, 0x79, v1
	v_cmp_eq_u32_e32 vcc, 0, v1
	v_cndmask_b32_e64 v2, 0, v2, s[26:27]
	v_mov_b32_e32 v5, 0x78
	v_cndmask_b32_e32 v2, v2, v5, vcc
	v_add_u32_e32 v5, 20, v2
	v_or_b32_e32 v4, 0x800000, v3
	v_lshlrev_b64 v[5:6], v5, -1
	v_add_u32_e32 v7, 19, v2
	v_cndmask_b32_e32 v3, v4, v3, vcc
	v_lshlrev_b64 v[14:15], v7, 1
	v_mov_b32_e32 v4, v51
	v_bfi_b32 v6, v6, 0, 0
	v_bfi_b32 v5, v5, 0, v3
	v_cmp_eq_u64_e64 s[26:27], v[5:6], v[14:15]
	v_lshrrev_b64 v[14:15], v2, v[3:4]
	v_mov_b32_e32 v16, v15
	v_mov_b32_e32 v15, v14
	s_and_saveexec_b64 s[36:37], s[26:27]
; %bb.506:                              ;   in Loop: Header=BB6_136 Depth=3
	v_bfe_u32 v3, v14, 20, 1
	v_add_co_u32_e64 v3, s[26:27], v14, v3
	v_add_co_u32_e64 v15, s[26:27], -1, v3
; %bb.507:                              ;   in Loop: Header=BB6_136 Depth=3
	s_or_b64 exec, exec, s[36:37]
	v_add_u32_e32 v1, 0xffffff81, v1
	v_mov_b32_e32 v3, 0xffffff82
	v_cndmask_b32_e32 v1, v1, v3, vcc
	v_lshrrev_b32_e32 v3, 23, v14
	v_add3_u32 v3, v2, v1, v3
	v_add_u32_e32 v2, 6, v3
	v_and_b32_e32 v1, 0xfffff, v15
	v_add_u32_e32 v14, v1, v14
	v_mov_b32_e32 v15, v51
	v_cmp_ne_u32_e32 vcc, 0, v2
                                        ; implicit-def: $vgpr1
	s_and_saveexec_b64 s[26:27], vcc
	s_xor_b64 s[26:27], exec, s[26:27]
; %bb.508:                              ;   in Loop: Header=BB6_136 Depth=3
	v_cmp_lt_u64_e32 vcc, s[88:89], v[14:15]
	v_add_u32_e32 v1, 7, v3
	v_cndmask_b32_e32 v1, v2, v1, vcc
	v_cndmask_b32_e64 v2, 0, 1, vcc
	v_lshrrev_b64 v[14:15], v2, v[14:15]
; %bb.509:                              ;   in Loop: Header=BB6_136 Depth=3
	s_andn2_saveexec_b64 s[26:27], s[26:27]
; %bb.510:                              ;   in Loop: Header=BB6_136 Depth=3
	v_bfe_u32 v1, v14, 23, 1
; %bb.511:                              ;   in Loop: Header=BB6_136 Depth=3
	s_or_b64 exec, exec, s[26:27]
	v_lshrrev_b64 v[2:3], 20, v[14:15]
	v_cmp_gt_i32_e32 vcc, 16, v1
	v_cndmask_b32_e32 v3, 0, v3, vcc
	v_cndmask_b32_e32 v2, 7, v2, vcc
	v_cmp_eq_u32_e32 vcc, 0, v1
	v_min_i32_e32 v1, 15, v1
	v_cmp_eq_u64_e64 s[26:27], 0, v[2:3]
	v_lshlrev_b32_e32 v1, 3, v1
	v_and_b32_e32 v1, 0xf8, v1
	v_and_or_b32 v1, v2, 7, v1
	s_and_b64 s[26:27], vcc, s[26:27]
	v_cndmask_b32_e64 v1, v1, 0, s[26:27]
	v_or_b32_e32 v0, v1, v0
	buffer_store_dword v0, off, s[0:3], s33 offset:156 ; 4-byte Folded Spill
.LBB6_512:                              ;   in Loop: Header=BB6_136 Depth=3
	s_or_b64 exec, exec, s[34:35]
                                        ; implicit-def: $vgpr0
.LBB6_513:                              ;   in Loop: Header=BB6_136 Depth=3
	s_andn2_saveexec_b64 s[26:27], s[30:31]
	s_cbranch_execz .LBB6_515
; %bb.514:                              ;   in Loop: Header=BB6_136 Depth=3
	v_or_b32_e32 v0, 0x7e, v0
	buffer_store_dword v0, off, s[0:3], s33 offset:156 ; 4-byte Folded Spill
.LBB6_515:                              ;   in Loop: Header=BB6_136 Depth=3
	s_or_b64 exec, exec, s[26:27]
                                        ; implicit-def: $vgpr1
.LBB6_516:                              ;   in Loop: Header=BB6_136 Depth=3
	s_andn2_saveexec_b64 s[26:27], s[94:95]
	s_cbranch_execz .LBB6_518
; %bb.517:                              ;   in Loop: Header=BB6_136 Depth=3
	v_or_b32_sdwa v0, v1, s86 dst_sel:DWORD dst_unused:UNUSED_PAD src0_sel:BYTE_3 src1_sel:DWORD
	buffer_store_dword v0, off, s[0:3], s33 offset:156 ; 4-byte Folded Spill
.LBB6_518:                              ;   in Loop: Header=BB6_136 Depth=3
	s_or_b64 exec, exec, s[26:27]
	v_lshrrev_b16_e32 v14, 8, v8
	v_cmp_ne_u16_e32 vcc, 0, v14
	v_mov_b32_e32 v0, 0
	s_and_saveexec_b64 s[26:27], vcc
	s_cbranch_execz .LBB6_524
; %bb.519:                              ;   in Loop: Header=BB6_136 Depth=3
	v_cmp_ne_u16_e32 vcc, s96, v14
	v_bfrev_b32_e32 v0, 1
	s_and_saveexec_b64 s[94:95], vcc
	s_cbranch_execz .LBB6_523
; %bb.520:                              ;   in Loop: Header=BB6_136 Depth=3
	v_and_b32_e32 v1, 0x7f, v14
	v_cmp_ne_u32_e32 vcc, s86, v1
	v_mov_b32_e32 v0, 0x7f800001
	s_and_saveexec_b64 s[30:31], vcc
	s_cbranch_execz .LBB6_522
; %bb.521:                              ;   in Loop: Header=BB6_136 Depth=3
	v_and_b32_e32 v2, 7, v14
	v_ffbh_u32_e32 v0, v2
	v_min_u32_e32 v4, 32, v0
	v_subrev_u32_e32 v0, 28, v4
	v_lshrrev_b32_e32 v3, 3, v1
	v_cmp_gt_u32_e32 vcc, 8, v1
	v_lshlrev_b64 v[0:1], v0, v[14:15]
	v_sub_u32_e32 v1, 29, v4
	v_and_b32_e32 v0, 7, v0
	v_cndmask_b32_e32 v1, v3, v1, vcc
	v_cndmask_b32_e32 v0, v2, v0, vcc
	v_lshlrev_b32_e32 v2, 16, v8
	v_bfrev_b32_e32 v3, 60
	v_lshlrev_b32_e32 v0, 20, v0
	v_and_b32_e32 v2, 0x80000000, v2
	v_lshl_add_u32 v1, v1, 23, v3
	v_or3_b32 v0, v2, v1, v0
.LBB6_522:                              ;   in Loop: Header=BB6_136 Depth=3
	s_or_b64 exec, exec, s[30:31]
.LBB6_523:                              ;   in Loop: Header=BB6_136 Depth=3
	s_or_b64 exec, exec, s[94:95]
.LBB6_524:                              ;   in Loop: Header=BB6_136 Depth=3
	s_or_b64 exec, exec, s[26:27]
	v_mul_f32_e32 v1, v18, v0
	v_and_b32_e32 v2, 0x7f800000, v1
	v_mov_b32_e32 v3, v51
	v_cmp_ne_u64_e32 vcc, s[76:77], v[2:3]
                                        ; implicit-def: $vgpr0
                                        ; kill: killed $vgpr0
	s_and_saveexec_b64 s[26:27], vcc
	s_xor_b64 s[94:95], exec, s[26:27]
	s_cbranch_execz .LBB6_538
; %bb.525:                              ;   in Loop: Header=BB6_136 Depth=3
	v_and_b32_e32 v2, 0x7fffffff, v1
	v_mov_b32_e32 v3, v51
	v_cmp_gt_u64_e32 vcc, s[78:79], v[2:3]
	v_and_b32_sdwa v0, v1, s96 dst_sel:DWORD dst_unused:UNUSED_PAD src0_sel:BYTE_3 src1_sel:DWORD
                                        ; implicit-def: $vgpr2
                                        ; kill: killed $vgpr2
	s_and_saveexec_b64 s[26:27], vcc
	s_xor_b64 s[30:31], exec, s[26:27]
	s_cbranch_execz .LBB6_535
; %bb.526:                              ;   in Loop: Header=BB6_136 Depth=3
	v_mov_b32_e32 v2, 0
	v_cmp_ne_u32_e32 vcc, 0, v1
	buffer_store_dword v2, off, s[0:3], s33 offset:160 ; 4-byte Folded Spill
	s_and_saveexec_b64 s[34:35], vcc
	s_cbranch_execz .LBB6_534
; %bb.527:                              ;   in Loop: Header=BB6_136 Depth=3
	v_and_b32_e32 v3, 0x7fffff, v1
	v_bfe_u32 v1, v1, 23, 8
	v_cmp_gt_u32_e64 s[26:27], s97, v1
	v_sub_u32_e32 v2, 0x79, v1
	v_cmp_eq_u32_e32 vcc, 0, v1
	v_cndmask_b32_e64 v2, 0, v2, s[26:27]
	v_mov_b32_e32 v5, 0x78
	v_cndmask_b32_e32 v2, v2, v5, vcc
	v_add_u32_e32 v5, 20, v2
	v_or_b32_e32 v4, 0x800000, v3
	v_lshlrev_b64 v[5:6], v5, -1
	v_add_u32_e32 v7, 19, v2
	v_cndmask_b32_e32 v3, v4, v3, vcc
	v_lshlrev_b64 v[14:15], v7, 1
	v_mov_b32_e32 v4, v51
	v_bfi_b32 v6, v6, 0, 0
	v_bfi_b32 v5, v5, 0, v3
	v_cmp_eq_u64_e64 s[26:27], v[5:6], v[14:15]
	v_lshrrev_b64 v[14:15], v2, v[3:4]
	v_mov_b32_e32 v16, v15
	v_mov_b32_e32 v15, v14
	s_and_saveexec_b64 s[36:37], s[26:27]
; %bb.528:                              ;   in Loop: Header=BB6_136 Depth=3
	v_bfe_u32 v3, v14, 20, 1
	v_add_co_u32_e64 v3, s[26:27], v14, v3
	v_add_co_u32_e64 v15, s[26:27], -1, v3
; %bb.529:                              ;   in Loop: Header=BB6_136 Depth=3
	s_or_b64 exec, exec, s[36:37]
	v_add_u32_e32 v1, 0xffffff81, v1
	v_mov_b32_e32 v3, 0xffffff82
	v_cndmask_b32_e32 v1, v1, v3, vcc
	v_lshrrev_b32_e32 v3, 23, v14
	v_add3_u32 v3, v2, v1, v3
	v_add_u32_e32 v2, 6, v3
	v_and_b32_e32 v1, 0xfffff, v15
	v_add_u32_e32 v14, v1, v14
	v_mov_b32_e32 v15, v51
	v_cmp_ne_u32_e32 vcc, 0, v2
                                        ; implicit-def: $vgpr1
	s_and_saveexec_b64 s[26:27], vcc
	s_xor_b64 s[26:27], exec, s[26:27]
; %bb.530:                              ;   in Loop: Header=BB6_136 Depth=3
	v_cmp_lt_u64_e32 vcc, s[88:89], v[14:15]
	v_add_u32_e32 v1, 7, v3
	v_cndmask_b32_e32 v1, v2, v1, vcc
	v_cndmask_b32_e64 v2, 0, 1, vcc
	v_lshrrev_b64 v[14:15], v2, v[14:15]
; %bb.531:                              ;   in Loop: Header=BB6_136 Depth=3
	s_andn2_saveexec_b64 s[26:27], s[26:27]
; %bb.532:                              ;   in Loop: Header=BB6_136 Depth=3
	v_bfe_u32 v1, v14, 23, 1
; %bb.533:                              ;   in Loop: Header=BB6_136 Depth=3
	s_or_b64 exec, exec, s[26:27]
	v_lshrrev_b64 v[2:3], 20, v[14:15]
	v_cmp_gt_i32_e32 vcc, 16, v1
	v_cndmask_b32_e32 v3, 0, v3, vcc
	v_cndmask_b32_e32 v2, 7, v2, vcc
	v_cmp_eq_u32_e32 vcc, 0, v1
	v_min_i32_e32 v1, 15, v1
	v_cmp_eq_u64_e64 s[26:27], 0, v[2:3]
	v_lshlrev_b32_e32 v1, 3, v1
	v_and_b32_e32 v1, 0xf8, v1
	v_and_or_b32 v1, v2, 7, v1
	s_and_b64 s[26:27], vcc, s[26:27]
	v_cndmask_b32_e64 v1, v1, 0, s[26:27]
	v_or_b32_e32 v0, v1, v0
	buffer_store_dword v0, off, s[0:3], s33 offset:160 ; 4-byte Folded Spill
.LBB6_534:                              ;   in Loop: Header=BB6_136 Depth=3
	s_or_b64 exec, exec, s[34:35]
                                        ; implicit-def: $vgpr0
.LBB6_535:                              ;   in Loop: Header=BB6_136 Depth=3
	s_andn2_saveexec_b64 s[26:27], s[30:31]
	s_cbranch_execz .LBB6_537
; %bb.536:                              ;   in Loop: Header=BB6_136 Depth=3
	v_or_b32_e32 v0, 0x7e, v0
	buffer_store_dword v0, off, s[0:3], s33 offset:160 ; 4-byte Folded Spill
.LBB6_537:                              ;   in Loop: Header=BB6_136 Depth=3
	s_or_b64 exec, exec, s[26:27]
                                        ; implicit-def: $vgpr1
.LBB6_538:                              ;   in Loop: Header=BB6_136 Depth=3
	s_andn2_saveexec_b64 s[26:27], s[94:95]
	s_cbranch_execz .LBB6_540
; %bb.539:                              ;   in Loop: Header=BB6_136 Depth=3
	v_or_b32_sdwa v0, v1, s86 dst_sel:DWORD dst_unused:UNUSED_PAD src0_sel:BYTE_3 src1_sel:DWORD
	buffer_store_dword v0, off, s[0:3], s33 offset:160 ; 4-byte Folded Spill
.LBB6_540:                              ;   in Loop: Header=BB6_136 Depth=3
	s_or_b64 exec, exec, s[26:27]
	v_lshrrev_b32_e32 v14, 16, v8
	v_cmp_ne_u16_sdwa s[94:95], v14, v51 src0_sel:BYTE_0 src1_sel:DWORD
	v_mov_b32_e32 v0, 0
	s_and_saveexec_b64 s[26:27], s[94:95]
	s_cbranch_execz .LBB6_546
; %bb.541:                              ;   in Loop: Header=BB6_136 Depth=3
	v_cmp_ne_u16_sdwa vcc, v14, s96 src0_sel:BYTE_0 src1_sel:DWORD
	v_bfrev_b32_e32 v0, 1
	s_and_saveexec_b64 s[94:95], vcc
	s_cbranch_execz .LBB6_545
; %bb.542:                              ;   in Loop: Header=BB6_136 Depth=3
	v_bfe_u32 v1, v8, 16, 7
	v_cmp_ne_u32_e32 vcc, s86, v1
	v_mov_b32_e32 v0, 0x7f800001
	s_and_saveexec_b64 s[30:31], vcc
	s_cbranch_execz .LBB6_544
; %bb.543:                              ;   in Loop: Header=BB6_136 Depth=3
	v_and_b32_e32 v2, 7, v14
	v_ffbh_u32_e32 v0, v2
	v_min_u32_e32 v4, 32, v0
	v_subrev_u32_e32 v0, 28, v4
	v_lshrrev_b32_e32 v3, 3, v1
	v_cmp_gt_u32_e32 vcc, 8, v1
	v_lshlrev_b64 v[0:1], v0, v[14:15]
	v_sub_u32_e32 v1, 29, v4
	v_and_b32_e32 v0, 7, v0
	v_cndmask_b32_e32 v1, v3, v1, vcc
	v_cndmask_b32_e32 v0, v2, v0, vcc
	v_lshlrev_b32_e32 v2, 24, v14
	v_bfrev_b32_e32 v3, 60
	v_lshlrev_b32_e32 v0, 20, v0
	v_and_b32_e32 v2, 0x80000000, v2
	v_lshl_add_u32 v1, v1, 23, v3
	v_or3_b32 v0, v2, v1, v0
.LBB6_544:                              ;   in Loop: Header=BB6_136 Depth=3
	s_or_b64 exec, exec, s[30:31]
.LBB6_545:                              ;   in Loop: Header=BB6_136 Depth=3
	s_or_b64 exec, exec, s[94:95]
.LBB6_546:                              ;   in Loop: Header=BB6_136 Depth=3
	s_or_b64 exec, exec, s[26:27]
	v_mul_f32_e32 v1, v18, v0
	v_and_b32_e32 v2, 0x7f800000, v1
	v_mov_b32_e32 v3, v51
	v_cmp_ne_u64_e32 vcc, s[76:77], v[2:3]
                                        ; implicit-def: $vgpr0
                                        ; kill: killed $vgpr0
	s_and_saveexec_b64 s[26:27], vcc
	s_xor_b64 s[94:95], exec, s[26:27]
	s_cbranch_execz .LBB6_560
; %bb.547:                              ;   in Loop: Header=BB6_136 Depth=3
	v_and_b32_e32 v2, 0x7fffffff, v1
	v_mov_b32_e32 v3, v51
	v_cmp_gt_u64_e32 vcc, s[78:79], v[2:3]
	v_and_b32_sdwa v0, v1, s96 dst_sel:DWORD dst_unused:UNUSED_PAD src0_sel:BYTE_3 src1_sel:DWORD
                                        ; implicit-def: $vgpr2
                                        ; kill: killed $vgpr2
	s_and_saveexec_b64 s[26:27], vcc
	s_xor_b64 s[30:31], exec, s[26:27]
	s_cbranch_execz .LBB6_557
; %bb.548:                              ;   in Loop: Header=BB6_136 Depth=3
	v_mov_b32_e32 v2, 0
	v_cmp_ne_u32_e32 vcc, 0, v1
	buffer_store_dword v2, off, s[0:3], s33 offset:164 ; 4-byte Folded Spill
	s_and_saveexec_b64 s[34:35], vcc
	s_cbranch_execz .LBB6_556
; %bb.549:                              ;   in Loop: Header=BB6_136 Depth=3
	v_and_b32_e32 v3, 0x7fffff, v1
	v_bfe_u32 v1, v1, 23, 8
	v_cmp_gt_u32_e64 s[26:27], s97, v1
	v_sub_u32_e32 v2, 0x79, v1
	v_cmp_eq_u32_e32 vcc, 0, v1
	v_cndmask_b32_e64 v2, 0, v2, s[26:27]
	v_mov_b32_e32 v5, 0x78
	v_cndmask_b32_e32 v2, v2, v5, vcc
	v_add_u32_e32 v5, 20, v2
	v_or_b32_e32 v4, 0x800000, v3
	v_lshlrev_b64 v[5:6], v5, -1
	v_add_u32_e32 v7, 19, v2
	v_cndmask_b32_e32 v3, v4, v3, vcc
	v_lshlrev_b64 v[14:15], v7, 1
	v_mov_b32_e32 v4, v51
	v_bfi_b32 v6, v6, 0, 0
	v_bfi_b32 v5, v5, 0, v3
	v_cmp_eq_u64_e64 s[26:27], v[5:6], v[14:15]
	v_lshrrev_b64 v[14:15], v2, v[3:4]
	v_mov_b32_e32 v16, v15
	v_mov_b32_e32 v15, v14
	s_and_saveexec_b64 s[36:37], s[26:27]
; %bb.550:                              ;   in Loop: Header=BB6_136 Depth=3
	v_bfe_u32 v3, v14, 20, 1
	v_add_co_u32_e64 v3, s[26:27], v14, v3
	v_add_co_u32_e64 v15, s[26:27], -1, v3
; %bb.551:                              ;   in Loop: Header=BB6_136 Depth=3
	s_or_b64 exec, exec, s[36:37]
	v_add_u32_e32 v1, 0xffffff81, v1
	v_mov_b32_e32 v3, 0xffffff82
	v_cndmask_b32_e32 v1, v1, v3, vcc
	v_lshrrev_b32_e32 v3, 23, v14
	v_add3_u32 v3, v2, v1, v3
	v_add_u32_e32 v2, 6, v3
	v_and_b32_e32 v1, 0xfffff, v15
	v_add_u32_e32 v14, v1, v14
	v_mov_b32_e32 v15, v51
	v_cmp_ne_u32_e32 vcc, 0, v2
                                        ; implicit-def: $vgpr1
	s_and_saveexec_b64 s[26:27], vcc
	s_xor_b64 s[26:27], exec, s[26:27]
; %bb.552:                              ;   in Loop: Header=BB6_136 Depth=3
	v_cmp_lt_u64_e32 vcc, s[88:89], v[14:15]
	v_add_u32_e32 v1, 7, v3
	v_cndmask_b32_e32 v1, v2, v1, vcc
	v_cndmask_b32_e64 v2, 0, 1, vcc
	v_lshrrev_b64 v[14:15], v2, v[14:15]
; %bb.553:                              ;   in Loop: Header=BB6_136 Depth=3
	s_andn2_saveexec_b64 s[26:27], s[26:27]
; %bb.554:                              ;   in Loop: Header=BB6_136 Depth=3
	v_bfe_u32 v1, v14, 23, 1
; %bb.555:                              ;   in Loop: Header=BB6_136 Depth=3
	s_or_b64 exec, exec, s[26:27]
	v_lshrrev_b64 v[2:3], 20, v[14:15]
	v_cmp_gt_i32_e32 vcc, 16, v1
	v_cndmask_b32_e32 v3, 0, v3, vcc
	v_cndmask_b32_e32 v2, 7, v2, vcc
	v_cmp_eq_u32_e32 vcc, 0, v1
	v_min_i32_e32 v1, 15, v1
	v_cmp_eq_u64_e64 s[26:27], 0, v[2:3]
	v_lshlrev_b32_e32 v1, 3, v1
	v_and_b32_e32 v1, 0xf8, v1
	v_and_or_b32 v1, v2, 7, v1
	s_and_b64 s[26:27], vcc, s[26:27]
	v_cndmask_b32_e64 v1, v1, 0, s[26:27]
	v_or_b32_e32 v0, v1, v0
	buffer_store_dword v0, off, s[0:3], s33 offset:164 ; 4-byte Folded Spill
.LBB6_556:                              ;   in Loop: Header=BB6_136 Depth=3
	s_or_b64 exec, exec, s[34:35]
                                        ; implicit-def: $vgpr0
.LBB6_557:                              ;   in Loop: Header=BB6_136 Depth=3
	s_andn2_saveexec_b64 s[26:27], s[30:31]
	s_cbranch_execz .LBB6_559
; %bb.558:                              ;   in Loop: Header=BB6_136 Depth=3
	v_or_b32_e32 v0, 0x7e, v0
	buffer_store_dword v0, off, s[0:3], s33 offset:164 ; 4-byte Folded Spill
.LBB6_559:                              ;   in Loop: Header=BB6_136 Depth=3
	s_or_b64 exec, exec, s[26:27]
                                        ; implicit-def: $vgpr1
.LBB6_560:                              ;   in Loop: Header=BB6_136 Depth=3
	s_andn2_saveexec_b64 s[26:27], s[94:95]
	s_cbranch_execz .LBB6_562
; %bb.561:                              ;   in Loop: Header=BB6_136 Depth=3
	v_or_b32_sdwa v0, v1, s86 dst_sel:DWORD dst_unused:UNUSED_PAD src0_sel:BYTE_3 src1_sel:DWORD
	buffer_store_dword v0, off, s[0:3], s33 offset:164 ; 4-byte Folded Spill
.LBB6_562:                              ;   in Loop: Header=BB6_136 Depth=3
	s_or_b64 exec, exec, s[26:27]
	v_cmp_lt_u32_e32 vcc, s57, v8
	v_mov_b32_e32 v0, 0
	s_and_saveexec_b64 s[26:27], vcc
	s_cbranch_execz .LBB6_568
; %bb.563:                              ;   in Loop: Header=BB6_136 Depth=3
	v_lshrrev_b32_e32 v14, 24, v8
	v_cmp_ne_u32_e32 vcc, s96, v14
	v_bfrev_b32_e32 v0, 1
	s_and_saveexec_b64 s[94:95], vcc
	s_cbranch_execz .LBB6_567
; %bb.564:                              ;   in Loop: Header=BB6_136 Depth=3
	v_bfe_u32 v1, v8, 24, 7
	v_cmp_ne_u32_e32 vcc, s86, v1
	v_mov_b32_e32 v0, 0x7f800001
	s_and_saveexec_b64 s[30:31], vcc
	s_cbranch_execz .LBB6_566
; %bb.565:                              ;   in Loop: Header=BB6_136 Depth=3
	v_and_b32_e32 v2, 7, v14
	v_ffbh_u32_e32 v0, v2
	v_min_u32_e32 v4, 32, v0
	v_subrev_u32_e32 v0, 28, v4
	v_lshrrev_b32_e32 v3, 3, v1
	v_cmp_gt_u32_e32 vcc, 8, v1
	v_lshlrev_b64 v[0:1], v0, v[14:15]
	v_sub_u32_e32 v1, 29, v4
	v_and_b32_e32 v0, 7, v0
	v_cndmask_b32_e32 v1, v3, v1, vcc
	v_cndmask_b32_e32 v0, v2, v0, vcc
	v_lshlrev_b32_e32 v2, 24, v14
	v_bfrev_b32_e32 v3, 60
	v_lshlrev_b32_e32 v0, 20, v0
	v_and_b32_e32 v2, 0x80000000, v2
	v_lshl_add_u32 v1, v1, 23, v3
	v_or3_b32 v0, v2, v1, v0
.LBB6_566:                              ;   in Loop: Header=BB6_136 Depth=3
	s_or_b64 exec, exec, s[30:31]
.LBB6_567:                              ;   in Loop: Header=BB6_136 Depth=3
	s_or_b64 exec, exec, s[94:95]
.LBB6_568:                              ;   in Loop: Header=BB6_136 Depth=3
	s_or_b64 exec, exec, s[26:27]
	v_mul_f32_e32 v1, v18, v0
	v_and_b32_e32 v2, 0x7f800000, v1
	v_mov_b32_e32 v3, v51
	v_cmp_ne_u64_e32 vcc, s[76:77], v[2:3]
                                        ; implicit-def: $vgpr0
                                        ; kill: killed $vgpr0
	s_and_saveexec_b64 s[26:27], vcc
	s_xor_b64 s[94:95], exec, s[26:27]
	s_cbranch_execz .LBB6_582
; %bb.569:                              ;   in Loop: Header=BB6_136 Depth=3
	v_and_b32_e32 v2, 0x7fffffff, v1
	v_mov_b32_e32 v3, v51
	v_cmp_gt_u64_e32 vcc, s[78:79], v[2:3]
	v_and_b32_sdwa v0, v1, s96 dst_sel:DWORD dst_unused:UNUSED_PAD src0_sel:BYTE_3 src1_sel:DWORD
                                        ; implicit-def: $vgpr2
                                        ; kill: killed $vgpr2
	s_and_saveexec_b64 s[26:27], vcc
	s_xor_b64 s[30:31], exec, s[26:27]
	s_cbranch_execz .LBB6_579
; %bb.570:                              ;   in Loop: Header=BB6_136 Depth=3
	v_mov_b32_e32 v2, 0
	v_cmp_ne_u32_e32 vcc, 0, v1
	buffer_store_dword v2, off, s[0:3], s33 offset:168 ; 4-byte Folded Spill
	s_and_saveexec_b64 s[34:35], vcc
	s_cbranch_execz .LBB6_578
; %bb.571:                              ;   in Loop: Header=BB6_136 Depth=3
	v_and_b32_e32 v3, 0x7fffff, v1
	v_bfe_u32 v1, v1, 23, 8
	v_cmp_gt_u32_e64 s[26:27], s97, v1
	v_sub_u32_e32 v2, 0x79, v1
	v_cmp_eq_u32_e32 vcc, 0, v1
	v_cndmask_b32_e64 v2, 0, v2, s[26:27]
	v_mov_b32_e32 v5, 0x78
	v_cndmask_b32_e32 v2, v2, v5, vcc
	v_add_u32_e32 v5, 20, v2
	v_or_b32_e32 v4, 0x800000, v3
	v_lshlrev_b64 v[5:6], v5, -1
	v_add_u32_e32 v7, 19, v2
	v_cndmask_b32_e32 v3, v4, v3, vcc
	v_lshlrev_b64 v[14:15], v7, 1
	v_mov_b32_e32 v4, v51
	v_bfi_b32 v6, v6, 0, 0
	v_bfi_b32 v5, v5, 0, v3
	v_cmp_eq_u64_e64 s[26:27], v[5:6], v[14:15]
	v_lshrrev_b64 v[14:15], v2, v[3:4]
	v_mov_b32_e32 v16, v15
	v_mov_b32_e32 v15, v14
	s_and_saveexec_b64 s[36:37], s[26:27]
; %bb.572:                              ;   in Loop: Header=BB6_136 Depth=3
	v_bfe_u32 v3, v14, 20, 1
	v_add_co_u32_e64 v3, s[26:27], v14, v3
	v_add_co_u32_e64 v15, s[26:27], -1, v3
; %bb.573:                              ;   in Loop: Header=BB6_136 Depth=3
	s_or_b64 exec, exec, s[36:37]
	v_add_u32_e32 v1, 0xffffff81, v1
	v_mov_b32_e32 v3, 0xffffff82
	v_cndmask_b32_e32 v1, v1, v3, vcc
	v_lshrrev_b32_e32 v3, 23, v14
	v_add3_u32 v3, v2, v1, v3
	v_add_u32_e32 v2, 6, v3
	v_and_b32_e32 v1, 0xfffff, v15
	v_add_u32_e32 v14, v1, v14
	v_mov_b32_e32 v15, v51
	v_cmp_ne_u32_e32 vcc, 0, v2
                                        ; implicit-def: $vgpr1
	s_and_saveexec_b64 s[26:27], vcc
	s_xor_b64 s[26:27], exec, s[26:27]
; %bb.574:                              ;   in Loop: Header=BB6_136 Depth=3
	v_cmp_lt_u64_e32 vcc, s[88:89], v[14:15]
	v_add_u32_e32 v1, 7, v3
	v_cndmask_b32_e32 v1, v2, v1, vcc
	v_cndmask_b32_e64 v2, 0, 1, vcc
	v_lshrrev_b64 v[14:15], v2, v[14:15]
; %bb.575:                              ;   in Loop: Header=BB6_136 Depth=3
	s_andn2_saveexec_b64 s[26:27], s[26:27]
; %bb.576:                              ;   in Loop: Header=BB6_136 Depth=3
	v_bfe_u32 v1, v14, 23, 1
; %bb.577:                              ;   in Loop: Header=BB6_136 Depth=3
	s_or_b64 exec, exec, s[26:27]
	v_lshrrev_b64 v[2:3], 20, v[14:15]
	v_cmp_gt_i32_e32 vcc, 16, v1
	v_cndmask_b32_e32 v3, 0, v3, vcc
	v_cndmask_b32_e32 v2, 7, v2, vcc
	v_cmp_eq_u32_e32 vcc, 0, v1
	v_min_i32_e32 v1, 15, v1
	v_cmp_eq_u64_e64 s[26:27], 0, v[2:3]
	v_lshlrev_b32_e32 v1, 3, v1
	v_and_b32_e32 v1, 0xf8, v1
	v_and_or_b32 v1, v2, 7, v1
	s_and_b64 s[26:27], vcc, s[26:27]
	v_cndmask_b32_e64 v1, v1, 0, s[26:27]
	v_or_b32_e32 v0, v1, v0
	buffer_store_dword v0, off, s[0:3], s33 offset:168 ; 4-byte Folded Spill
.LBB6_578:                              ;   in Loop: Header=BB6_136 Depth=3
	s_or_b64 exec, exec, s[34:35]
                                        ; implicit-def: $vgpr0
.LBB6_579:                              ;   in Loop: Header=BB6_136 Depth=3
	s_andn2_saveexec_b64 s[26:27], s[30:31]
	s_cbranch_execz .LBB6_581
; %bb.580:                              ;   in Loop: Header=BB6_136 Depth=3
	v_or_b32_e32 v0, 0x7e, v0
	buffer_store_dword v0, off, s[0:3], s33 offset:168 ; 4-byte Folded Spill
.LBB6_581:                              ;   in Loop: Header=BB6_136 Depth=3
	s_or_b64 exec, exec, s[26:27]
                                        ; implicit-def: $vgpr1
.LBB6_582:                              ;   in Loop: Header=BB6_136 Depth=3
	s_andn2_saveexec_b64 s[26:27], s[94:95]
	s_cbranch_execz .LBB6_584
; %bb.583:                              ;   in Loop: Header=BB6_136 Depth=3
	v_or_b32_sdwa v0, v1, s86 dst_sel:DWORD dst_unused:UNUSED_PAD src0_sel:BYTE_3 src1_sel:DWORD
	buffer_store_dword v0, off, s[0:3], s33 offset:168 ; 4-byte Folded Spill
.LBB6_584:                              ;   in Loop: Header=BB6_136 Depth=3
	s_or_b64 exec, exec, s[26:27]
	v_mov_b32_e32 v14, v9
	v_mov_b32_e32 v15, v51
	v_cmp_ne_u16_sdwa s[94:95], v9, v51 src0_sel:BYTE_0 src1_sel:DWORD
	v_mov_b32_e32 v0, 0
	s_and_saveexec_b64 s[26:27], s[94:95]
	s_cbranch_execz .LBB6_590
; %bb.585:                              ;   in Loop: Header=BB6_136 Depth=3
	v_cmp_ne_u16_sdwa vcc, v9, s96 src0_sel:BYTE_0 src1_sel:DWORD
	v_bfrev_b32_e32 v0, 1
	s_and_saveexec_b64 s[94:95], vcc
	s_cbranch_execz .LBB6_589
; %bb.586:                              ;   in Loop: Header=BB6_136 Depth=3
	v_and_b32_e32 v1, 0x7f, v9
	v_cmp_ne_u32_e32 vcc, s86, v1
	v_mov_b32_e32 v0, 0x7f800001
	s_and_saveexec_b64 s[30:31], vcc
	s_cbranch_execz .LBB6_588
; %bb.587:                              ;   in Loop: Header=BB6_136 Depth=3
	v_and_b32_e32 v0, 7, v9
	v_ffbh_u32_e32 v0, v0
	v_min_u32_e32 v0, 32, v0
	v_lshrrev_b32_e32 v2, 3, v1
	v_cmp_gt_u32_e32 vcc, 8, v1
	v_subrev_u32_e32 v1, 28, v0
	v_sub_u32_e32 v0, 29, v0
	v_cndmask_b32_e32 v2, v2, v0, vcc
	v_cndmask_b32_e32 v0, 0, v1, vcc
	v_lshlrev_b64 v[0:1], v0, v[14:15]
	v_lshlrev_b32_e32 v1, 24, v14
	v_lshlrev_b32_e32 v0, 20, v0
	v_bfrev_b32_e32 v3, 60
	v_and_b32_e32 v0, 0x700000, v0
	v_and_b32_e32 v1, 0x80000000, v1
	v_lshl_add_u32 v2, v2, 23, v3
	v_or3_b32 v0, v1, v2, v0
.LBB6_588:                              ;   in Loop: Header=BB6_136 Depth=3
	s_or_b64 exec, exec, s[30:31]
.LBB6_589:                              ;   in Loop: Header=BB6_136 Depth=3
	s_or_b64 exec, exec, s[94:95]
.LBB6_590:                              ;   in Loop: Header=BB6_136 Depth=3
	s_or_b64 exec, exec, s[26:27]
	v_mul_f32_e32 v1, v18, v0
	v_and_b32_e32 v2, 0x7f800000, v1
	v_mov_b32_e32 v3, v51
	v_cmp_ne_u64_e32 vcc, s[76:77], v[2:3]
                                        ; implicit-def: $vgpr0
                                        ; kill: killed $vgpr0
	s_and_saveexec_b64 s[26:27], vcc
	s_xor_b64 s[94:95], exec, s[26:27]
	s_cbranch_execz .LBB6_604
; %bb.591:                              ;   in Loop: Header=BB6_136 Depth=3
	v_and_b32_e32 v2, 0x7fffffff, v1
	v_mov_b32_e32 v3, v51
	v_cmp_gt_u64_e32 vcc, s[78:79], v[2:3]
	v_and_b32_sdwa v0, v1, s96 dst_sel:DWORD dst_unused:UNUSED_PAD src0_sel:BYTE_3 src1_sel:DWORD
                                        ; implicit-def: $vgpr2
                                        ; kill: killed $vgpr2
	s_and_saveexec_b64 s[26:27], vcc
	s_xor_b64 s[30:31], exec, s[26:27]
	s_cbranch_execz .LBB6_601
; %bb.592:                              ;   in Loop: Header=BB6_136 Depth=3
	v_mov_b32_e32 v2, 0
	v_cmp_ne_u32_e32 vcc, 0, v1
	buffer_store_dword v2, off, s[0:3], s33 offset:172 ; 4-byte Folded Spill
	s_and_saveexec_b64 s[34:35], vcc
	s_cbranch_execz .LBB6_600
; %bb.593:                              ;   in Loop: Header=BB6_136 Depth=3
	v_and_b32_e32 v3, 0x7fffff, v1
	v_bfe_u32 v1, v1, 23, 8
	v_cmp_gt_u32_e64 s[26:27], s97, v1
	v_sub_u32_e32 v2, 0x79, v1
	v_cmp_eq_u32_e32 vcc, 0, v1
	v_cndmask_b32_e64 v2, 0, v2, s[26:27]
	v_mov_b32_e32 v5, 0x78
	v_cndmask_b32_e32 v2, v2, v5, vcc
	v_add_u32_e32 v5, 20, v2
	v_or_b32_e32 v4, 0x800000, v3
	v_lshlrev_b64 v[5:6], v5, -1
	v_add_u32_e32 v7, 19, v2
	v_cndmask_b32_e32 v3, v4, v3, vcc
	v_lshlrev_b64 v[15:16], v7, 1
	v_mov_b32_e32 v4, v51
	v_bfi_b32 v6, v6, 0, 0
	v_bfi_b32 v5, v5, 0, v3
	v_cmp_eq_u64_e64 s[26:27], v[5:6], v[15:16]
	v_lshrrev_b64 v[15:16], v2, v[3:4]
	v_mov_b32_e32 v17, v16
	v_mov_b32_e32 v16, v15
	s_and_saveexec_b64 s[36:37], s[26:27]
; %bb.594:                              ;   in Loop: Header=BB6_136 Depth=3
	v_bfe_u32 v3, v15, 20, 1
	v_add_co_u32_e64 v3, s[26:27], v15, v3
	v_add_co_u32_e64 v16, s[26:27], -1, v3
; %bb.595:                              ;   in Loop: Header=BB6_136 Depth=3
	s_or_b64 exec, exec, s[36:37]
	v_add_u32_e32 v1, 0xffffff81, v1
	v_mov_b32_e32 v3, 0xffffff82
	v_cndmask_b32_e32 v1, v1, v3, vcc
	v_lshrrev_b32_e32 v3, 23, v15
	v_add3_u32 v3, v2, v1, v3
	v_add_u32_e32 v2, 6, v3
	v_and_b32_e32 v1, 0xfffff, v16
	v_add_u32_e32 v15, v1, v15
	v_mov_b32_e32 v16, v51
	v_cmp_ne_u32_e32 vcc, 0, v2
                                        ; implicit-def: $vgpr1
	s_and_saveexec_b64 s[26:27], vcc
	s_xor_b64 s[26:27], exec, s[26:27]
; %bb.596:                              ;   in Loop: Header=BB6_136 Depth=3
	v_cmp_lt_u64_e32 vcc, s[88:89], v[15:16]
	v_add_u32_e32 v1, 7, v3
	v_cndmask_b32_e32 v1, v2, v1, vcc
	v_cndmask_b32_e64 v2, 0, 1, vcc
	v_lshrrev_b64 v[15:16], v2, v[15:16]
; %bb.597:                              ;   in Loop: Header=BB6_136 Depth=3
	s_andn2_saveexec_b64 s[26:27], s[26:27]
; %bb.598:                              ;   in Loop: Header=BB6_136 Depth=3
	v_bfe_u32 v1, v15, 23, 1
; %bb.599:                              ;   in Loop: Header=BB6_136 Depth=3
	s_or_b64 exec, exec, s[26:27]
	v_lshrrev_b64 v[2:3], 20, v[15:16]
	v_cmp_gt_i32_e32 vcc, 16, v1
	v_cndmask_b32_e32 v3, 0, v3, vcc
	v_cndmask_b32_e32 v2, 7, v2, vcc
	v_cmp_eq_u32_e32 vcc, 0, v1
	v_min_i32_e32 v1, 15, v1
	v_cmp_eq_u64_e64 s[26:27], 0, v[2:3]
	v_lshlrev_b32_e32 v1, 3, v1
	v_and_b32_e32 v1, 0xf8, v1
	v_and_or_b32 v1, v2, 7, v1
	s_and_b64 s[26:27], vcc, s[26:27]
	v_cndmask_b32_e64 v1, v1, 0, s[26:27]
	v_or_b32_e32 v0, v1, v0
	buffer_store_dword v0, off, s[0:3], s33 offset:172 ; 4-byte Folded Spill
.LBB6_600:                              ;   in Loop: Header=BB6_136 Depth=3
	s_or_b64 exec, exec, s[34:35]
                                        ; implicit-def: $vgpr0
.LBB6_601:                              ;   in Loop: Header=BB6_136 Depth=3
	s_andn2_saveexec_b64 s[26:27], s[30:31]
	s_cbranch_execz .LBB6_603
; %bb.602:                              ;   in Loop: Header=BB6_136 Depth=3
	v_or_b32_e32 v0, 0x7e, v0
	buffer_store_dword v0, off, s[0:3], s33 offset:172 ; 4-byte Folded Spill
.LBB6_603:                              ;   in Loop: Header=BB6_136 Depth=3
	s_or_b64 exec, exec, s[26:27]
                                        ; implicit-def: $vgpr1
.LBB6_604:                              ;   in Loop: Header=BB6_136 Depth=3
	s_andn2_saveexec_b64 s[26:27], s[94:95]
	s_cbranch_execz .LBB6_606
; %bb.605:                              ;   in Loop: Header=BB6_136 Depth=3
	v_or_b32_sdwa v0, v1, s86 dst_sel:DWORD dst_unused:UNUSED_PAD src0_sel:BYTE_3 src1_sel:DWORD
	buffer_store_dword v0, off, s[0:3], s33 offset:172 ; 4-byte Folded Spill
.LBB6_606:                              ;   in Loop: Header=BB6_136 Depth=3
	s_or_b64 exec, exec, s[26:27]
	v_lshrrev_b16_e32 v15, 8, v14
	v_cmp_ne_u16_e32 vcc, 0, v15
	v_mov_b32_e32 v0, 0
	s_and_saveexec_b64 s[26:27], vcc
	s_cbranch_execz .LBB6_612
; %bb.607:                              ;   in Loop: Header=BB6_136 Depth=3
	v_cmp_ne_u16_e32 vcc, s96, v15
	v_bfrev_b32_e32 v0, 1
	s_and_saveexec_b64 s[94:95], vcc
	s_cbranch_execz .LBB6_611
; %bb.608:                              ;   in Loop: Header=BB6_136 Depth=3
	v_and_b32_e32 v1, 0x7f, v15
	v_cmp_ne_u32_e32 vcc, s86, v1
	v_mov_b32_e32 v0, 0x7f800001
	s_and_saveexec_b64 s[30:31], vcc
	s_cbranch_execz .LBB6_610
; %bb.609:                              ;   in Loop: Header=BB6_136 Depth=3
	v_and_b32_e32 v2, 7, v15
	v_ffbh_u32_e32 v0, v2
	v_min_u32_e32 v4, 32, v0
	v_subrev_u32_e32 v0, 28, v4
	v_lshrrev_b32_e32 v3, 3, v1
	v_cmp_gt_u32_e32 vcc, 8, v1
	v_lshlrev_b64 v[0:1], v0, v[15:16]
	v_sub_u32_e32 v1, 29, v4
	v_and_b32_e32 v0, 7, v0
	v_cndmask_b32_e32 v1, v3, v1, vcc
	v_cndmask_b32_e32 v0, v2, v0, vcc
	v_lshlrev_b32_e32 v2, 16, v14
	v_bfrev_b32_e32 v3, 60
	v_lshlrev_b32_e32 v0, 20, v0
	v_and_b32_e32 v2, 0x80000000, v2
	v_lshl_add_u32 v1, v1, 23, v3
	v_or3_b32 v0, v2, v1, v0
.LBB6_610:                              ;   in Loop: Header=BB6_136 Depth=3
	s_or_b64 exec, exec, s[30:31]
.LBB6_611:                              ;   in Loop: Header=BB6_136 Depth=3
	s_or_b64 exec, exec, s[94:95]
.LBB6_612:                              ;   in Loop: Header=BB6_136 Depth=3
	s_or_b64 exec, exec, s[26:27]
	v_mul_f32_e32 v1, v18, v0
	v_and_b32_e32 v2, 0x7f800000, v1
	v_mov_b32_e32 v3, v51
	v_cmp_ne_u64_e32 vcc, s[76:77], v[2:3]
                                        ; implicit-def: $vgpr0
                                        ; kill: killed $vgpr0
	s_and_saveexec_b64 s[26:27], vcc
	s_xor_b64 s[94:95], exec, s[26:27]
	s_cbranch_execz .LBB6_626
; %bb.613:                              ;   in Loop: Header=BB6_136 Depth=3
	v_and_b32_e32 v2, 0x7fffffff, v1
	v_mov_b32_e32 v3, v51
	v_cmp_gt_u64_e32 vcc, s[78:79], v[2:3]
	v_and_b32_sdwa v0, v1, s96 dst_sel:DWORD dst_unused:UNUSED_PAD src0_sel:BYTE_3 src1_sel:DWORD
                                        ; implicit-def: $vgpr2
                                        ; kill: killed $vgpr2
	s_and_saveexec_b64 s[26:27], vcc
	s_xor_b64 s[30:31], exec, s[26:27]
	s_cbranch_execz .LBB6_623
; %bb.614:                              ;   in Loop: Header=BB6_136 Depth=3
	v_mov_b32_e32 v2, 0
	v_cmp_ne_u32_e32 vcc, 0, v1
	buffer_store_dword v2, off, s[0:3], s33 offset:176 ; 4-byte Folded Spill
	s_and_saveexec_b64 s[34:35], vcc
	s_cbranch_execz .LBB6_622
; %bb.615:                              ;   in Loop: Header=BB6_136 Depth=3
	v_and_b32_e32 v3, 0x7fffff, v1
	v_bfe_u32 v1, v1, 23, 8
	v_cmp_gt_u32_e64 s[26:27], s97, v1
	v_sub_u32_e32 v2, 0x79, v1
	v_cmp_eq_u32_e32 vcc, 0, v1
	v_cndmask_b32_e64 v2, 0, v2, s[26:27]
	v_mov_b32_e32 v5, 0x78
	v_cndmask_b32_e32 v2, v2, v5, vcc
	v_add_u32_e32 v5, 20, v2
	v_or_b32_e32 v4, 0x800000, v3
	v_lshlrev_b64 v[5:6], v5, -1
	v_add_u32_e32 v7, 19, v2
	v_cndmask_b32_e32 v3, v4, v3, vcc
	v_lshlrev_b64 v[14:15], v7, 1
	v_mov_b32_e32 v4, v51
	v_bfi_b32 v6, v6, 0, 0
	v_bfi_b32 v5, v5, 0, v3
	v_cmp_eq_u64_e64 s[26:27], v[5:6], v[14:15]
	v_lshrrev_b64 v[14:15], v2, v[3:4]
	v_mov_b32_e32 v16, v15
	v_mov_b32_e32 v15, v14
	s_and_saveexec_b64 s[36:37], s[26:27]
; %bb.616:                              ;   in Loop: Header=BB6_136 Depth=3
	v_bfe_u32 v3, v14, 20, 1
	v_add_co_u32_e64 v3, s[26:27], v14, v3
	v_add_co_u32_e64 v15, s[26:27], -1, v3
; %bb.617:                              ;   in Loop: Header=BB6_136 Depth=3
	s_or_b64 exec, exec, s[36:37]
	v_add_u32_e32 v1, 0xffffff81, v1
	v_mov_b32_e32 v3, 0xffffff82
	v_cndmask_b32_e32 v1, v1, v3, vcc
	v_lshrrev_b32_e32 v3, 23, v14
	v_add3_u32 v3, v2, v1, v3
	v_add_u32_e32 v2, 6, v3
	v_and_b32_e32 v1, 0xfffff, v15
	v_add_u32_e32 v14, v1, v14
	v_mov_b32_e32 v15, v51
	v_cmp_ne_u32_e32 vcc, 0, v2
                                        ; implicit-def: $vgpr1
	s_and_saveexec_b64 s[26:27], vcc
	s_xor_b64 s[26:27], exec, s[26:27]
; %bb.618:                              ;   in Loop: Header=BB6_136 Depth=3
	v_cmp_lt_u64_e32 vcc, s[88:89], v[14:15]
	v_add_u32_e32 v1, 7, v3
	v_cndmask_b32_e32 v1, v2, v1, vcc
	v_cndmask_b32_e64 v2, 0, 1, vcc
	v_lshrrev_b64 v[14:15], v2, v[14:15]
; %bb.619:                              ;   in Loop: Header=BB6_136 Depth=3
	s_andn2_saveexec_b64 s[26:27], s[26:27]
; %bb.620:                              ;   in Loop: Header=BB6_136 Depth=3
	v_bfe_u32 v1, v14, 23, 1
; %bb.621:                              ;   in Loop: Header=BB6_136 Depth=3
	s_or_b64 exec, exec, s[26:27]
	v_lshrrev_b64 v[2:3], 20, v[14:15]
	v_cmp_gt_i32_e32 vcc, 16, v1
	v_cndmask_b32_e32 v3, 0, v3, vcc
	v_cndmask_b32_e32 v2, 7, v2, vcc
	v_cmp_eq_u32_e32 vcc, 0, v1
	v_min_i32_e32 v1, 15, v1
	v_cmp_eq_u64_e64 s[26:27], 0, v[2:3]
	v_lshlrev_b32_e32 v1, 3, v1
	v_and_b32_e32 v1, 0xf8, v1
	v_and_or_b32 v1, v2, 7, v1
	s_and_b64 s[26:27], vcc, s[26:27]
	v_cndmask_b32_e64 v1, v1, 0, s[26:27]
	v_or_b32_e32 v0, v1, v0
	buffer_store_dword v0, off, s[0:3], s33 offset:176 ; 4-byte Folded Spill
.LBB6_622:                              ;   in Loop: Header=BB6_136 Depth=3
	s_or_b64 exec, exec, s[34:35]
                                        ; implicit-def: $vgpr0
.LBB6_623:                              ;   in Loop: Header=BB6_136 Depth=3
	s_andn2_saveexec_b64 s[26:27], s[30:31]
	s_cbranch_execz .LBB6_625
; %bb.624:                              ;   in Loop: Header=BB6_136 Depth=3
	v_or_b32_e32 v0, 0x7e, v0
	buffer_store_dword v0, off, s[0:3], s33 offset:176 ; 4-byte Folded Spill
.LBB6_625:                              ;   in Loop: Header=BB6_136 Depth=3
	s_or_b64 exec, exec, s[26:27]
                                        ; implicit-def: $vgpr1
.LBB6_626:                              ;   in Loop: Header=BB6_136 Depth=3
	s_andn2_saveexec_b64 s[26:27], s[94:95]
	s_cbranch_execz .LBB6_628
; %bb.627:                              ;   in Loop: Header=BB6_136 Depth=3
	v_or_b32_sdwa v0, v1, s86 dst_sel:DWORD dst_unused:UNUSED_PAD src0_sel:BYTE_3 src1_sel:DWORD
	buffer_store_dword v0, off, s[0:3], s33 offset:176 ; 4-byte Folded Spill
.LBB6_628:                              ;   in Loop: Header=BB6_136 Depth=3
	s_or_b64 exec, exec, s[26:27]
	v_lshrrev_b32_e32 v14, 16, v9
	v_cmp_ne_u16_sdwa s[94:95], v14, v51 src0_sel:BYTE_0 src1_sel:DWORD
	v_mov_b32_e32 v0, 0
	s_and_saveexec_b64 s[26:27], s[94:95]
	s_cbranch_execz .LBB6_634
; %bb.629:                              ;   in Loop: Header=BB6_136 Depth=3
	v_cmp_ne_u16_sdwa vcc, v14, s96 src0_sel:BYTE_0 src1_sel:DWORD
	v_bfrev_b32_e32 v0, 1
	s_and_saveexec_b64 s[94:95], vcc
	s_cbranch_execz .LBB6_633
; %bb.630:                              ;   in Loop: Header=BB6_136 Depth=3
	v_bfe_u32 v1, v9, 16, 7
	v_cmp_ne_u32_e32 vcc, s86, v1
	v_mov_b32_e32 v0, 0x7f800001
	s_and_saveexec_b64 s[30:31], vcc
	s_cbranch_execz .LBB6_632
; %bb.631:                              ;   in Loop: Header=BB6_136 Depth=3
	v_and_b32_e32 v2, 7, v14
	v_ffbh_u32_e32 v0, v2
	v_min_u32_e32 v4, 32, v0
	v_subrev_u32_e32 v0, 28, v4
	v_lshrrev_b32_e32 v3, 3, v1
	v_cmp_gt_u32_e32 vcc, 8, v1
	v_lshlrev_b64 v[0:1], v0, v[14:15]
	v_sub_u32_e32 v1, 29, v4
	v_and_b32_e32 v0, 7, v0
	v_cndmask_b32_e32 v1, v3, v1, vcc
	v_cndmask_b32_e32 v0, v2, v0, vcc
	v_lshlrev_b32_e32 v2, 24, v14
	v_bfrev_b32_e32 v3, 60
	v_lshlrev_b32_e32 v0, 20, v0
	v_and_b32_e32 v2, 0x80000000, v2
	v_lshl_add_u32 v1, v1, 23, v3
	v_or3_b32 v0, v2, v1, v0
.LBB6_632:                              ;   in Loop: Header=BB6_136 Depth=3
	s_or_b64 exec, exec, s[30:31]
.LBB6_633:                              ;   in Loop: Header=BB6_136 Depth=3
	s_or_b64 exec, exec, s[94:95]
.LBB6_634:                              ;   in Loop: Header=BB6_136 Depth=3
	s_or_b64 exec, exec, s[26:27]
	v_mul_f32_e32 v1, v18, v0
	v_and_b32_e32 v2, 0x7f800000, v1
	v_mov_b32_e32 v3, v51
	v_cmp_ne_u64_e32 vcc, s[76:77], v[2:3]
                                        ; implicit-def: $vgpr0
                                        ; kill: killed $vgpr0
	s_and_saveexec_b64 s[26:27], vcc
	s_xor_b64 s[94:95], exec, s[26:27]
	s_cbranch_execz .LBB6_648
; %bb.635:                              ;   in Loop: Header=BB6_136 Depth=3
	v_and_b32_e32 v2, 0x7fffffff, v1
	v_mov_b32_e32 v3, v51
	v_cmp_gt_u64_e32 vcc, s[78:79], v[2:3]
	v_and_b32_sdwa v0, v1, s96 dst_sel:DWORD dst_unused:UNUSED_PAD src0_sel:BYTE_3 src1_sel:DWORD
                                        ; implicit-def: $vgpr2
                                        ; kill: killed $vgpr2
	s_and_saveexec_b64 s[26:27], vcc
	s_xor_b64 s[30:31], exec, s[26:27]
	s_cbranch_execz .LBB6_645
; %bb.636:                              ;   in Loop: Header=BB6_136 Depth=3
	v_mov_b32_e32 v2, 0
	v_cmp_ne_u32_e32 vcc, 0, v1
	buffer_store_dword v2, off, s[0:3], s33 offset:180 ; 4-byte Folded Spill
	s_and_saveexec_b64 s[34:35], vcc
	s_cbranch_execz .LBB6_644
; %bb.637:                              ;   in Loop: Header=BB6_136 Depth=3
	v_and_b32_e32 v3, 0x7fffff, v1
	v_bfe_u32 v1, v1, 23, 8
	v_cmp_gt_u32_e64 s[26:27], s97, v1
	v_sub_u32_e32 v2, 0x79, v1
	v_cmp_eq_u32_e32 vcc, 0, v1
	v_cndmask_b32_e64 v2, 0, v2, s[26:27]
	v_mov_b32_e32 v5, 0x78
	v_cndmask_b32_e32 v2, v2, v5, vcc
	v_add_u32_e32 v5, 20, v2
	v_or_b32_e32 v4, 0x800000, v3
	v_lshlrev_b64 v[5:6], v5, -1
	v_add_u32_e32 v7, 19, v2
	v_cndmask_b32_e32 v3, v4, v3, vcc
	v_lshlrev_b64 v[14:15], v7, 1
	v_mov_b32_e32 v4, v51
	v_bfi_b32 v6, v6, 0, 0
	v_bfi_b32 v5, v5, 0, v3
	v_cmp_eq_u64_e64 s[26:27], v[5:6], v[14:15]
	v_lshrrev_b64 v[14:15], v2, v[3:4]
	v_mov_b32_e32 v16, v15
	v_mov_b32_e32 v15, v14
	s_and_saveexec_b64 s[36:37], s[26:27]
; %bb.638:                              ;   in Loop: Header=BB6_136 Depth=3
	v_bfe_u32 v3, v14, 20, 1
	v_add_co_u32_e64 v3, s[26:27], v14, v3
	v_add_co_u32_e64 v15, s[26:27], -1, v3
; %bb.639:                              ;   in Loop: Header=BB6_136 Depth=3
	s_or_b64 exec, exec, s[36:37]
	v_add_u32_e32 v1, 0xffffff81, v1
	v_mov_b32_e32 v3, 0xffffff82
	v_cndmask_b32_e32 v1, v1, v3, vcc
	v_lshrrev_b32_e32 v3, 23, v14
	v_add3_u32 v3, v2, v1, v3
	v_add_u32_e32 v2, 6, v3
	v_and_b32_e32 v1, 0xfffff, v15
	v_add_u32_e32 v14, v1, v14
	v_mov_b32_e32 v15, v51
	v_cmp_ne_u32_e32 vcc, 0, v2
                                        ; implicit-def: $vgpr1
	s_and_saveexec_b64 s[26:27], vcc
	s_xor_b64 s[26:27], exec, s[26:27]
; %bb.640:                              ;   in Loop: Header=BB6_136 Depth=3
	v_cmp_lt_u64_e32 vcc, s[88:89], v[14:15]
	v_add_u32_e32 v1, 7, v3
	v_cndmask_b32_e32 v1, v2, v1, vcc
	v_cndmask_b32_e64 v2, 0, 1, vcc
	v_lshrrev_b64 v[14:15], v2, v[14:15]
; %bb.641:                              ;   in Loop: Header=BB6_136 Depth=3
	s_andn2_saveexec_b64 s[26:27], s[26:27]
; %bb.642:                              ;   in Loop: Header=BB6_136 Depth=3
	v_bfe_u32 v1, v14, 23, 1
; %bb.643:                              ;   in Loop: Header=BB6_136 Depth=3
	s_or_b64 exec, exec, s[26:27]
	v_lshrrev_b64 v[2:3], 20, v[14:15]
	v_cmp_gt_i32_e32 vcc, 16, v1
	v_cndmask_b32_e32 v3, 0, v3, vcc
	v_cndmask_b32_e32 v2, 7, v2, vcc
	v_cmp_eq_u32_e32 vcc, 0, v1
	v_min_i32_e32 v1, 15, v1
	v_cmp_eq_u64_e64 s[26:27], 0, v[2:3]
	v_lshlrev_b32_e32 v1, 3, v1
	v_and_b32_e32 v1, 0xf8, v1
	v_and_or_b32 v1, v2, 7, v1
	s_and_b64 s[26:27], vcc, s[26:27]
	v_cndmask_b32_e64 v1, v1, 0, s[26:27]
	v_or_b32_e32 v0, v1, v0
	buffer_store_dword v0, off, s[0:3], s33 offset:180 ; 4-byte Folded Spill
.LBB6_644:                              ;   in Loop: Header=BB6_136 Depth=3
	s_or_b64 exec, exec, s[34:35]
                                        ; implicit-def: $vgpr0
.LBB6_645:                              ;   in Loop: Header=BB6_136 Depth=3
	s_andn2_saveexec_b64 s[26:27], s[30:31]
	s_cbranch_execz .LBB6_647
; %bb.646:                              ;   in Loop: Header=BB6_136 Depth=3
	v_or_b32_e32 v0, 0x7e, v0
	buffer_store_dword v0, off, s[0:3], s33 offset:180 ; 4-byte Folded Spill
.LBB6_647:                              ;   in Loop: Header=BB6_136 Depth=3
	s_or_b64 exec, exec, s[26:27]
                                        ; implicit-def: $vgpr1
.LBB6_648:                              ;   in Loop: Header=BB6_136 Depth=3
	s_andn2_saveexec_b64 s[26:27], s[94:95]
	s_cbranch_execz .LBB6_650
; %bb.649:                              ;   in Loop: Header=BB6_136 Depth=3
	v_or_b32_sdwa v0, v1, s86 dst_sel:DWORD dst_unused:UNUSED_PAD src0_sel:BYTE_3 src1_sel:DWORD
	buffer_store_dword v0, off, s[0:3], s33 offset:180 ; 4-byte Folded Spill
.LBB6_650:                              ;   in Loop: Header=BB6_136 Depth=3
	s_or_b64 exec, exec, s[26:27]
	v_cmp_lt_u64_e32 vcc, s[56:57], v[8:9]
	v_mov_b32_e32 v0, 0
	s_and_saveexec_b64 s[26:27], vcc
	s_cbranch_execz .LBB6_656
; %bb.651:                              ;   in Loop: Header=BB6_136 Depth=3
	v_lshrrev_b32_e32 v8, 24, v9
	v_cmp_ne_u32_e32 vcc, s96, v8
	v_bfrev_b32_e32 v0, 1
	s_and_saveexec_b64 s[94:95], vcc
	s_cbranch_execz .LBB6_655
; %bb.652:                              ;   in Loop: Header=BB6_136 Depth=3
	v_bfe_u32 v1, v9, 24, 7
	v_cmp_ne_u32_e32 vcc, s86, v1
	v_mov_b32_e32 v0, 0x7f800001
	s_and_saveexec_b64 s[30:31], vcc
	s_cbranch_execz .LBB6_654
; %bb.653:                              ;   in Loop: Header=BB6_136 Depth=3
	v_and_b32_e32 v2, 7, v8
	v_ffbh_u32_e32 v0, v2
	v_min_u32_e32 v4, 32, v0
	v_subrev_u32_e32 v0, 28, v4
	v_lshrrev_b32_e32 v3, 3, v1
	v_cmp_gt_u32_e32 vcc, 8, v1
	v_lshlrev_b64 v[0:1], v0, v[8:9]
	v_sub_u32_e32 v1, 29, v4
	v_and_b32_e32 v0, 7, v0
	v_cndmask_b32_e32 v1, v3, v1, vcc
	v_cndmask_b32_e32 v0, v2, v0, vcc
	v_lshlrev_b32_e32 v2, 24, v8
	v_bfrev_b32_e32 v3, 60
	v_lshlrev_b32_e32 v0, 20, v0
	v_and_b32_e32 v2, 0x80000000, v2
	v_lshl_add_u32 v1, v1, 23, v3
	v_or3_b32 v0, v2, v1, v0
.LBB6_654:                              ;   in Loop: Header=BB6_136 Depth=3
	s_or_b64 exec, exec, s[30:31]
.LBB6_655:                              ;   in Loop: Header=BB6_136 Depth=3
	s_or_b64 exec, exec, s[94:95]
.LBB6_656:                              ;   in Loop: Header=BB6_136 Depth=3
	s_or_b64 exec, exec, s[26:27]
	v_mul_f32_e32 v1, v18, v0
	v_and_b32_e32 v2, 0x7f800000, v1
	v_mov_b32_e32 v3, v51
	v_cmp_ne_u64_e32 vcc, s[76:77], v[2:3]
                                        ; implicit-def: $vgpr0
                                        ; kill: killed $vgpr0
	s_and_saveexec_b64 s[26:27], vcc
	s_xor_b64 s[94:95], exec, s[26:27]
	s_cbranch_execz .LBB6_670
; %bb.657:                              ;   in Loop: Header=BB6_136 Depth=3
	v_and_b32_e32 v2, 0x7fffffff, v1
	v_mov_b32_e32 v3, v51
	v_cmp_gt_u64_e32 vcc, s[78:79], v[2:3]
	v_and_b32_sdwa v0, v1, s96 dst_sel:DWORD dst_unused:UNUSED_PAD src0_sel:BYTE_3 src1_sel:DWORD
                                        ; implicit-def: $vgpr2
                                        ; kill: killed $vgpr2
	s_and_saveexec_b64 s[26:27], vcc
	s_xor_b64 s[30:31], exec, s[26:27]
	s_cbranch_execz .LBB6_667
; %bb.658:                              ;   in Loop: Header=BB6_136 Depth=3
	v_mov_b32_e32 v2, 0
	v_cmp_ne_u32_e32 vcc, 0, v1
	buffer_store_dword v2, off, s[0:3], s33 offset:184 ; 4-byte Folded Spill
	s_and_saveexec_b64 s[34:35], vcc
	s_cbranch_execz .LBB6_666
; %bb.659:                              ;   in Loop: Header=BB6_136 Depth=3
	v_and_b32_e32 v3, 0x7fffff, v1
	v_bfe_u32 v1, v1, 23, 8
	v_cmp_gt_u32_e64 s[26:27], s97, v1
	v_sub_u32_e32 v2, 0x79, v1
	v_cmp_eq_u32_e32 vcc, 0, v1
	v_cndmask_b32_e64 v2, 0, v2, s[26:27]
	v_mov_b32_e32 v5, 0x78
	v_cndmask_b32_e32 v2, v2, v5, vcc
	v_add_u32_e32 v5, 20, v2
	v_or_b32_e32 v4, 0x800000, v3
	v_lshlrev_b64 v[5:6], v5, -1
	v_add_u32_e32 v7, 19, v2
	v_cndmask_b32_e32 v3, v4, v3, vcc
	v_lshlrev_b64 v[7:8], v7, 1
	v_mov_b32_e32 v4, v51
	v_bfi_b32 v6, v6, 0, 0
	v_bfi_b32 v5, v5, 0, v3
	v_cmp_eq_u64_e64 s[26:27], v[5:6], v[7:8]
	v_lshrrev_b64 v[8:9], v2, v[3:4]
	v_mov_b32_e32 v15, v9
	v_mov_b32_e32 v14, v8
	s_and_saveexec_b64 s[36:37], s[26:27]
; %bb.660:                              ;   in Loop: Header=BB6_136 Depth=3
	v_bfe_u32 v3, v8, 20, 1
	v_add_co_u32_e64 v3, s[26:27], v8, v3
	v_add_co_u32_e64 v14, s[26:27], -1, v3
; %bb.661:                              ;   in Loop: Header=BB6_136 Depth=3
	s_or_b64 exec, exec, s[36:37]
	v_add_u32_e32 v1, 0xffffff81, v1
	v_mov_b32_e32 v3, 0xffffff82
	v_cndmask_b32_e32 v1, v1, v3, vcc
	v_lshrrev_b32_e32 v3, 23, v8
	v_add3_u32 v3, v2, v1, v3
	v_add_u32_e32 v2, 6, v3
	v_and_b32_e32 v1, 0xfffff, v14
	v_add_u32_e32 v8, v1, v8
	v_mov_b32_e32 v9, v51
	v_cmp_ne_u32_e32 vcc, 0, v2
                                        ; implicit-def: $vgpr1
	s_and_saveexec_b64 s[26:27], vcc
	s_xor_b64 s[26:27], exec, s[26:27]
; %bb.662:                              ;   in Loop: Header=BB6_136 Depth=3
	v_cmp_lt_u64_e32 vcc, s[88:89], v[8:9]
	v_add_u32_e32 v1, 7, v3
	v_cndmask_b32_e32 v1, v2, v1, vcc
	v_cndmask_b32_e64 v2, 0, 1, vcc
	v_lshrrev_b64 v[8:9], v2, v[8:9]
; %bb.663:                              ;   in Loop: Header=BB6_136 Depth=3
	s_andn2_saveexec_b64 s[26:27], s[26:27]
; %bb.664:                              ;   in Loop: Header=BB6_136 Depth=3
	v_bfe_u32 v1, v8, 23, 1
; %bb.665:                              ;   in Loop: Header=BB6_136 Depth=3
	s_or_b64 exec, exec, s[26:27]
	v_lshrrev_b64 v[2:3], 20, v[8:9]
	v_cmp_gt_i32_e32 vcc, 16, v1
	v_cndmask_b32_e32 v3, 0, v3, vcc
	v_cndmask_b32_e32 v2, 7, v2, vcc
	v_cmp_eq_u32_e32 vcc, 0, v1
	v_min_i32_e32 v1, 15, v1
	v_cmp_eq_u64_e64 s[26:27], 0, v[2:3]
	v_lshlrev_b32_e32 v1, 3, v1
	v_and_b32_e32 v1, 0xf8, v1
	v_and_or_b32 v1, v2, 7, v1
	s_and_b64 s[26:27], vcc, s[26:27]
	v_cndmask_b32_e64 v1, v1, 0, s[26:27]
	v_or_b32_e32 v0, v1, v0
	buffer_store_dword v0, off, s[0:3], s33 offset:184 ; 4-byte Folded Spill
.LBB6_666:                              ;   in Loop: Header=BB6_136 Depth=3
	s_or_b64 exec, exec, s[34:35]
                                        ; implicit-def: $vgpr0
.LBB6_667:                              ;   in Loop: Header=BB6_136 Depth=3
	s_andn2_saveexec_b64 s[26:27], s[30:31]
	s_cbranch_execz .LBB6_669
; %bb.668:                              ;   in Loop: Header=BB6_136 Depth=3
	v_or_b32_e32 v0, 0x7e, v0
	buffer_store_dword v0, off, s[0:3], s33 offset:184 ; 4-byte Folded Spill
.LBB6_669:                              ;   in Loop: Header=BB6_136 Depth=3
	s_or_b64 exec, exec, s[26:27]
                                        ; implicit-def: $vgpr1
.LBB6_670:                              ;   in Loop: Header=BB6_136 Depth=3
	s_andn2_saveexec_b64 s[26:27], s[94:95]
	s_cbranch_execz .LBB6_672
; %bb.671:                              ;   in Loop: Header=BB6_136 Depth=3
	v_or_b32_sdwa v0, v1, s86 dst_sel:DWORD dst_unused:UNUSED_PAD src0_sel:BYTE_3 src1_sel:DWORD
	buffer_store_dword v0, off, s[0:3], s33 offset:184 ; 4-byte Folded Spill
.LBB6_672:                              ;   in Loop: Header=BB6_136 Depth=3
	s_or_b64 exec, exec, s[26:27]
	v_cmp_ne_u16_sdwa s[94:95], v10, v51 src0_sel:BYTE_0 src1_sel:DWORD
	v_mov_b32_e32 v0, 0
	s_and_saveexec_b64 s[26:27], s[94:95]
	s_cbranch_execz .LBB6_678
; %bb.673:                              ;   in Loop: Header=BB6_136 Depth=3
	v_cmp_ne_u16_sdwa vcc, v10, s96 src0_sel:BYTE_0 src1_sel:DWORD
	v_bfrev_b32_e32 v0, 1
	s_and_saveexec_b64 s[94:95], vcc
	s_cbranch_execz .LBB6_677
; %bb.674:                              ;   in Loop: Header=BB6_136 Depth=3
	v_and_b32_e32 v1, 0x7f, v10
	v_cmp_ne_u32_e32 vcc, s86, v1
	v_mov_b32_e32 v0, 0x7f800001
	s_and_saveexec_b64 s[30:31], vcc
	s_cbranch_execz .LBB6_676
; %bb.675:                              ;   in Loop: Header=BB6_136 Depth=3
	v_and_b32_e32 v0, 7, v10
	v_ffbh_u32_e32 v0, v0
	v_min_u32_e32 v0, 32, v0
	v_lshrrev_b32_e32 v2, 3, v1
	v_cmp_gt_u32_e32 vcc, 8, v1
	v_subrev_u32_e32 v1, 28, v0
	v_sub_u32_e32 v0, 29, v0
	v_cndmask_b32_e32 v2, v2, v0, vcc
	v_cndmask_b32_e32 v0, 0, v1, vcc
	v_lshlrev_b64 v[0:1], v0, v[10:11]
	v_lshlrev_b32_e32 v1, 24, v10
	v_lshlrev_b32_e32 v0, 20, v0
	v_bfrev_b32_e32 v3, 60
	v_and_b32_e32 v0, 0x700000, v0
	v_and_b32_e32 v1, 0x80000000, v1
	v_lshl_add_u32 v2, v2, 23, v3
	v_or3_b32 v0, v1, v2, v0
.LBB6_676:                              ;   in Loop: Header=BB6_136 Depth=3
	s_or_b64 exec, exec, s[30:31]
.LBB6_677:                              ;   in Loop: Header=BB6_136 Depth=3
	s_or_b64 exec, exec, s[94:95]
.LBB6_678:                              ;   in Loop: Header=BB6_136 Depth=3
	s_or_b64 exec, exec, s[26:27]
	v_mul_f32_e32 v1, v18, v0
	v_and_b32_e32 v2, 0x7f800000, v1
	v_mov_b32_e32 v3, v51
	v_cmp_ne_u64_e32 vcc, s[76:77], v[2:3]
                                        ; implicit-def: $vgpr0
                                        ; kill: killed $vgpr0
	s_and_saveexec_b64 s[26:27], vcc
	s_xor_b64 s[94:95], exec, s[26:27]
	s_cbranch_execz .LBB6_692
; %bb.679:                              ;   in Loop: Header=BB6_136 Depth=3
	v_and_b32_e32 v2, 0x7fffffff, v1
	v_mov_b32_e32 v3, v51
	v_cmp_gt_u64_e32 vcc, s[78:79], v[2:3]
	v_and_b32_sdwa v0, v1, s96 dst_sel:DWORD dst_unused:UNUSED_PAD src0_sel:BYTE_3 src1_sel:DWORD
                                        ; implicit-def: $vgpr2
                                        ; kill: killed $vgpr2
	s_and_saveexec_b64 s[26:27], vcc
	s_xor_b64 s[30:31], exec, s[26:27]
	s_cbranch_execz .LBB6_689
; %bb.680:                              ;   in Loop: Header=BB6_136 Depth=3
	v_mov_b32_e32 v2, 0
	v_cmp_ne_u32_e32 vcc, 0, v1
	buffer_store_dword v2, off, s[0:3], s33 offset:188 ; 4-byte Folded Spill
	s_and_saveexec_b64 s[34:35], vcc
	s_cbranch_execz .LBB6_688
; %bb.681:                              ;   in Loop: Header=BB6_136 Depth=3
	v_and_b32_e32 v3, 0x7fffff, v1
	v_bfe_u32 v1, v1, 23, 8
	v_cmp_gt_u32_e64 s[26:27], s97, v1
	v_sub_u32_e32 v2, 0x79, v1
	v_cmp_eq_u32_e32 vcc, 0, v1
	v_cndmask_b32_e64 v2, 0, v2, s[26:27]
	v_mov_b32_e32 v5, 0x78
	v_cndmask_b32_e32 v2, v2, v5, vcc
	v_add_u32_e32 v5, 20, v2
	v_or_b32_e32 v4, 0x800000, v3
	v_lshlrev_b64 v[5:6], v5, -1
	v_add_u32_e32 v7, 19, v2
	v_cndmask_b32_e32 v3, v4, v3, vcc
	v_lshlrev_b64 v[7:8], v7, 1
	v_mov_b32_e32 v4, v51
	v_bfi_b32 v6, v6, 0, 0
	v_bfi_b32 v5, v5, 0, v3
	v_cmp_eq_u64_e64 s[26:27], v[5:6], v[7:8]
	v_lshrrev_b64 v[8:9], v2, v[3:4]
	v_mov_b32_e32 v15, v9
	v_mov_b32_e32 v14, v8
	s_and_saveexec_b64 s[36:37], s[26:27]
; %bb.682:                              ;   in Loop: Header=BB6_136 Depth=3
	v_bfe_u32 v3, v8, 20, 1
	v_add_co_u32_e64 v3, s[26:27], v8, v3
	v_add_co_u32_e64 v14, s[26:27], -1, v3
; %bb.683:                              ;   in Loop: Header=BB6_136 Depth=3
	s_or_b64 exec, exec, s[36:37]
	v_add_u32_e32 v1, 0xffffff81, v1
	v_mov_b32_e32 v3, 0xffffff82
	v_cndmask_b32_e32 v1, v1, v3, vcc
	v_lshrrev_b32_e32 v3, 23, v8
	v_add3_u32 v3, v2, v1, v3
	v_add_u32_e32 v2, 6, v3
	v_and_b32_e32 v1, 0xfffff, v14
	v_add_u32_e32 v8, v1, v8
	v_mov_b32_e32 v9, v51
	v_cmp_ne_u32_e32 vcc, 0, v2
                                        ; implicit-def: $vgpr1
	s_and_saveexec_b64 s[26:27], vcc
	s_xor_b64 s[26:27], exec, s[26:27]
; %bb.684:                              ;   in Loop: Header=BB6_136 Depth=3
	v_cmp_lt_u64_e32 vcc, s[88:89], v[8:9]
	v_add_u32_e32 v1, 7, v3
	v_cndmask_b32_e32 v1, v2, v1, vcc
	v_cndmask_b32_e64 v2, 0, 1, vcc
	v_lshrrev_b64 v[8:9], v2, v[8:9]
; %bb.685:                              ;   in Loop: Header=BB6_136 Depth=3
	s_andn2_saveexec_b64 s[26:27], s[26:27]
; %bb.686:                              ;   in Loop: Header=BB6_136 Depth=3
	v_bfe_u32 v1, v8, 23, 1
; %bb.687:                              ;   in Loop: Header=BB6_136 Depth=3
	s_or_b64 exec, exec, s[26:27]
	v_lshrrev_b64 v[2:3], 20, v[8:9]
	v_cmp_gt_i32_e32 vcc, 16, v1
	v_cndmask_b32_e32 v3, 0, v3, vcc
	v_cndmask_b32_e32 v2, 7, v2, vcc
	v_cmp_eq_u32_e32 vcc, 0, v1
	v_min_i32_e32 v1, 15, v1
	v_cmp_eq_u64_e64 s[26:27], 0, v[2:3]
	v_lshlrev_b32_e32 v1, 3, v1
	v_and_b32_e32 v1, 0xf8, v1
	v_and_or_b32 v1, v2, 7, v1
	s_and_b64 s[26:27], vcc, s[26:27]
	v_cndmask_b32_e64 v1, v1, 0, s[26:27]
	v_or_b32_e32 v0, v1, v0
	buffer_store_dword v0, off, s[0:3], s33 offset:188 ; 4-byte Folded Spill
.LBB6_688:                              ;   in Loop: Header=BB6_136 Depth=3
	s_or_b64 exec, exec, s[34:35]
                                        ; implicit-def: $vgpr0
.LBB6_689:                              ;   in Loop: Header=BB6_136 Depth=3
	s_andn2_saveexec_b64 s[26:27], s[30:31]
	s_cbranch_execz .LBB6_691
; %bb.690:                              ;   in Loop: Header=BB6_136 Depth=3
	v_or_b32_e32 v0, 0x7e, v0
	buffer_store_dword v0, off, s[0:3], s33 offset:188 ; 4-byte Folded Spill
.LBB6_691:                              ;   in Loop: Header=BB6_136 Depth=3
	s_or_b64 exec, exec, s[26:27]
                                        ; implicit-def: $vgpr1
.LBB6_692:                              ;   in Loop: Header=BB6_136 Depth=3
	s_andn2_saveexec_b64 s[26:27], s[94:95]
	s_cbranch_execz .LBB6_694
; %bb.693:                              ;   in Loop: Header=BB6_136 Depth=3
	v_or_b32_sdwa v0, v1, s86 dst_sel:DWORD dst_unused:UNUSED_PAD src0_sel:BYTE_3 src1_sel:DWORD
	buffer_store_dword v0, off, s[0:3], s33 offset:188 ; 4-byte Folded Spill
.LBB6_694:                              ;   in Loop: Header=BB6_136 Depth=3
	s_or_b64 exec, exec, s[26:27]
	v_lshrrev_b16_e32 v8, 8, v10
	v_cmp_ne_u16_e32 vcc, 0, v8
	v_mov_b32_e32 v0, 0
	s_and_saveexec_b64 s[26:27], vcc
	s_cbranch_execz .LBB6_700
; %bb.695:                              ;   in Loop: Header=BB6_136 Depth=3
	v_cmp_ne_u16_e32 vcc, s96, v8
	v_bfrev_b32_e32 v0, 1
	s_and_saveexec_b64 s[94:95], vcc
	s_cbranch_execz .LBB6_699
; %bb.696:                              ;   in Loop: Header=BB6_136 Depth=3
	v_and_b32_e32 v1, 0x7f, v8
	v_cmp_ne_u32_e32 vcc, s86, v1
	v_mov_b32_e32 v0, 0x7f800001
	s_and_saveexec_b64 s[30:31], vcc
	s_cbranch_execz .LBB6_698
; %bb.697:                              ;   in Loop: Header=BB6_136 Depth=3
	v_and_b32_e32 v2, 7, v8
	v_ffbh_u32_e32 v0, v2
	v_min_u32_e32 v4, 32, v0
	v_subrev_u32_e32 v0, 28, v4
	v_lshrrev_b32_e32 v3, 3, v1
	v_cmp_gt_u32_e32 vcc, 8, v1
	v_lshlrev_b64 v[0:1], v0, v[8:9]
	v_sub_u32_e32 v1, 29, v4
	v_and_b32_e32 v0, 7, v0
	v_cndmask_b32_e32 v1, v3, v1, vcc
	v_cndmask_b32_e32 v0, v2, v0, vcc
	v_lshlrev_b32_e32 v2, 16, v10
	v_bfrev_b32_e32 v3, 60
	v_lshlrev_b32_e32 v0, 20, v0
	v_and_b32_e32 v2, 0x80000000, v2
	v_lshl_add_u32 v1, v1, 23, v3
	v_or3_b32 v0, v2, v1, v0
.LBB6_698:                              ;   in Loop: Header=BB6_136 Depth=3
	s_or_b64 exec, exec, s[30:31]
.LBB6_699:                              ;   in Loop: Header=BB6_136 Depth=3
	s_or_b64 exec, exec, s[94:95]
.LBB6_700:                              ;   in Loop: Header=BB6_136 Depth=3
	s_or_b64 exec, exec, s[26:27]
	v_mul_f32_e32 v1, v18, v0
	v_and_b32_e32 v2, 0x7f800000, v1
	v_mov_b32_e32 v3, v51
	v_cmp_ne_u64_e32 vcc, s[76:77], v[2:3]
                                        ; implicit-def: $vgpr0
                                        ; kill: killed $vgpr0
	s_and_saveexec_b64 s[26:27], vcc
	s_xor_b64 s[94:95], exec, s[26:27]
	s_cbranch_execz .LBB6_714
; %bb.701:                              ;   in Loop: Header=BB6_136 Depth=3
	v_and_b32_e32 v2, 0x7fffffff, v1
	v_mov_b32_e32 v3, v51
	v_cmp_gt_u64_e32 vcc, s[78:79], v[2:3]
	v_and_b32_sdwa v0, v1, s96 dst_sel:DWORD dst_unused:UNUSED_PAD src0_sel:BYTE_3 src1_sel:DWORD
                                        ; implicit-def: $vgpr2
                                        ; kill: killed $vgpr2
	s_and_saveexec_b64 s[26:27], vcc
	s_xor_b64 s[30:31], exec, s[26:27]
	s_cbranch_execz .LBB6_711
; %bb.702:                              ;   in Loop: Header=BB6_136 Depth=3
	v_mov_b32_e32 v2, 0
	v_cmp_ne_u32_e32 vcc, 0, v1
	buffer_store_dword v2, off, s[0:3], s33 offset:192 ; 4-byte Folded Spill
	s_and_saveexec_b64 s[34:35], vcc
	s_cbranch_execz .LBB6_710
; %bb.703:                              ;   in Loop: Header=BB6_136 Depth=3
	v_and_b32_e32 v3, 0x7fffff, v1
	v_bfe_u32 v1, v1, 23, 8
	v_cmp_gt_u32_e64 s[26:27], s97, v1
	v_sub_u32_e32 v2, 0x79, v1
	v_cmp_eq_u32_e32 vcc, 0, v1
	v_cndmask_b32_e64 v2, 0, v2, s[26:27]
	v_mov_b32_e32 v5, 0x78
	v_cndmask_b32_e32 v2, v2, v5, vcc
	v_add_u32_e32 v5, 20, v2
	v_or_b32_e32 v4, 0x800000, v3
	v_lshlrev_b64 v[5:6], v5, -1
	v_add_u32_e32 v7, 19, v2
	v_cndmask_b32_e32 v3, v4, v3, vcc
	v_lshlrev_b64 v[7:8], v7, 1
	v_mov_b32_e32 v4, v51
	v_bfi_b32 v6, v6, 0, 0
	v_bfi_b32 v5, v5, 0, v3
	v_cmp_eq_u64_e64 s[26:27], v[5:6], v[7:8]
	v_lshrrev_b64 v[8:9], v2, v[3:4]
	v_mov_b32_e32 v15, v9
	v_mov_b32_e32 v14, v8
	s_and_saveexec_b64 s[36:37], s[26:27]
; %bb.704:                              ;   in Loop: Header=BB6_136 Depth=3
	v_bfe_u32 v3, v8, 20, 1
	v_add_co_u32_e64 v3, s[26:27], v8, v3
	v_add_co_u32_e64 v14, s[26:27], -1, v3
; %bb.705:                              ;   in Loop: Header=BB6_136 Depth=3
	s_or_b64 exec, exec, s[36:37]
	v_add_u32_e32 v1, 0xffffff81, v1
	v_mov_b32_e32 v3, 0xffffff82
	v_cndmask_b32_e32 v1, v1, v3, vcc
	v_lshrrev_b32_e32 v3, 23, v8
	v_add3_u32 v3, v2, v1, v3
	v_add_u32_e32 v2, 6, v3
	v_and_b32_e32 v1, 0xfffff, v14
	v_add_u32_e32 v8, v1, v8
	v_mov_b32_e32 v9, v51
	v_cmp_ne_u32_e32 vcc, 0, v2
                                        ; implicit-def: $vgpr1
	s_and_saveexec_b64 s[26:27], vcc
	s_xor_b64 s[26:27], exec, s[26:27]
; %bb.706:                              ;   in Loop: Header=BB6_136 Depth=3
	v_cmp_lt_u64_e32 vcc, s[88:89], v[8:9]
	v_add_u32_e32 v1, 7, v3
	v_cndmask_b32_e32 v1, v2, v1, vcc
	v_cndmask_b32_e64 v2, 0, 1, vcc
	v_lshrrev_b64 v[8:9], v2, v[8:9]
; %bb.707:                              ;   in Loop: Header=BB6_136 Depth=3
	s_andn2_saveexec_b64 s[26:27], s[26:27]
; %bb.708:                              ;   in Loop: Header=BB6_136 Depth=3
	v_bfe_u32 v1, v8, 23, 1
; %bb.709:                              ;   in Loop: Header=BB6_136 Depth=3
	s_or_b64 exec, exec, s[26:27]
	v_lshrrev_b64 v[2:3], 20, v[8:9]
	v_cmp_gt_i32_e32 vcc, 16, v1
	v_cndmask_b32_e32 v3, 0, v3, vcc
	v_cndmask_b32_e32 v2, 7, v2, vcc
	v_cmp_eq_u32_e32 vcc, 0, v1
	v_min_i32_e32 v1, 15, v1
	v_cmp_eq_u64_e64 s[26:27], 0, v[2:3]
	v_lshlrev_b32_e32 v1, 3, v1
	v_and_b32_e32 v1, 0xf8, v1
	v_and_or_b32 v1, v2, 7, v1
	s_and_b64 s[26:27], vcc, s[26:27]
	v_cndmask_b32_e64 v1, v1, 0, s[26:27]
	v_or_b32_e32 v0, v1, v0
	buffer_store_dword v0, off, s[0:3], s33 offset:192 ; 4-byte Folded Spill
.LBB6_710:                              ;   in Loop: Header=BB6_136 Depth=3
	s_or_b64 exec, exec, s[34:35]
                                        ; implicit-def: $vgpr0
.LBB6_711:                              ;   in Loop: Header=BB6_136 Depth=3
	s_andn2_saveexec_b64 s[26:27], s[30:31]
	s_cbranch_execz .LBB6_713
; %bb.712:                              ;   in Loop: Header=BB6_136 Depth=3
	v_or_b32_e32 v0, 0x7e, v0
	buffer_store_dword v0, off, s[0:3], s33 offset:192 ; 4-byte Folded Spill
.LBB6_713:                              ;   in Loop: Header=BB6_136 Depth=3
	s_or_b64 exec, exec, s[26:27]
                                        ; implicit-def: $vgpr1
.LBB6_714:                              ;   in Loop: Header=BB6_136 Depth=3
	s_andn2_saveexec_b64 s[26:27], s[94:95]
	s_cbranch_execz .LBB6_716
; %bb.715:                              ;   in Loop: Header=BB6_136 Depth=3
	v_or_b32_sdwa v0, v1, s86 dst_sel:DWORD dst_unused:UNUSED_PAD src0_sel:BYTE_3 src1_sel:DWORD
	buffer_store_dword v0, off, s[0:3], s33 offset:192 ; 4-byte Folded Spill
.LBB6_716:                              ;   in Loop: Header=BB6_136 Depth=3
	s_or_b64 exec, exec, s[26:27]
	v_lshrrev_b32_e32 v8, 16, v10
	v_cmp_ne_u16_sdwa s[94:95], v8, v51 src0_sel:BYTE_0 src1_sel:DWORD
	v_mov_b32_e32 v0, 0
	s_and_saveexec_b64 s[26:27], s[94:95]
	s_cbranch_execz .LBB6_722
; %bb.717:                              ;   in Loop: Header=BB6_136 Depth=3
	v_cmp_ne_u16_sdwa vcc, v8, s96 src0_sel:BYTE_0 src1_sel:DWORD
	v_bfrev_b32_e32 v0, 1
	s_and_saveexec_b64 s[94:95], vcc
	s_cbranch_execz .LBB6_721
; %bb.718:                              ;   in Loop: Header=BB6_136 Depth=3
	v_bfe_u32 v1, v10, 16, 7
	v_cmp_ne_u32_e32 vcc, s86, v1
	v_mov_b32_e32 v0, 0x7f800001
	s_and_saveexec_b64 s[30:31], vcc
	s_cbranch_execz .LBB6_720
; %bb.719:                              ;   in Loop: Header=BB6_136 Depth=3
	v_and_b32_e32 v2, 7, v8
	v_ffbh_u32_e32 v0, v2
	v_min_u32_e32 v4, 32, v0
	v_subrev_u32_e32 v0, 28, v4
	v_lshrrev_b32_e32 v3, 3, v1
	v_cmp_gt_u32_e32 vcc, 8, v1
	v_lshlrev_b64 v[0:1], v0, v[8:9]
	v_sub_u32_e32 v1, 29, v4
	v_and_b32_e32 v0, 7, v0
	v_cndmask_b32_e32 v1, v3, v1, vcc
	v_cndmask_b32_e32 v0, v2, v0, vcc
	v_lshlrev_b32_e32 v2, 24, v8
	v_bfrev_b32_e32 v3, 60
	v_lshlrev_b32_e32 v0, 20, v0
	v_and_b32_e32 v2, 0x80000000, v2
	v_lshl_add_u32 v1, v1, 23, v3
	v_or3_b32 v0, v2, v1, v0
.LBB6_720:                              ;   in Loop: Header=BB6_136 Depth=3
	s_or_b64 exec, exec, s[30:31]
.LBB6_721:                              ;   in Loop: Header=BB6_136 Depth=3
	s_or_b64 exec, exec, s[94:95]
.LBB6_722:                              ;   in Loop: Header=BB6_136 Depth=3
	s_or_b64 exec, exec, s[26:27]
	v_mul_f32_e32 v1, v18, v0
	v_and_b32_e32 v2, 0x7f800000, v1
	v_mov_b32_e32 v3, v51
	v_cmp_ne_u64_e32 vcc, s[76:77], v[2:3]
                                        ; implicit-def: $vgpr0
                                        ; kill: killed $vgpr0
	s_and_saveexec_b64 s[26:27], vcc
	s_xor_b64 s[94:95], exec, s[26:27]
	s_cbranch_execz .LBB6_736
; %bb.723:                              ;   in Loop: Header=BB6_136 Depth=3
	v_and_b32_e32 v2, 0x7fffffff, v1
	v_mov_b32_e32 v3, v51
	v_cmp_gt_u64_e32 vcc, s[78:79], v[2:3]
	v_and_b32_sdwa v0, v1, s96 dst_sel:DWORD dst_unused:UNUSED_PAD src0_sel:BYTE_3 src1_sel:DWORD
                                        ; implicit-def: $vgpr2
                                        ; kill: killed $vgpr2
	s_and_saveexec_b64 s[26:27], vcc
	s_xor_b64 s[30:31], exec, s[26:27]
	s_cbranch_execz .LBB6_733
; %bb.724:                              ;   in Loop: Header=BB6_136 Depth=3
	v_mov_b32_e32 v2, 0
	v_cmp_ne_u32_e32 vcc, 0, v1
	buffer_store_dword v2, off, s[0:3], s33 offset:196 ; 4-byte Folded Spill
	s_and_saveexec_b64 s[34:35], vcc
	s_cbranch_execz .LBB6_732
; %bb.725:                              ;   in Loop: Header=BB6_136 Depth=3
	v_and_b32_e32 v3, 0x7fffff, v1
	v_bfe_u32 v1, v1, 23, 8
	v_cmp_gt_u32_e64 s[26:27], s97, v1
	v_sub_u32_e32 v2, 0x79, v1
	v_cmp_eq_u32_e32 vcc, 0, v1
	v_cndmask_b32_e64 v2, 0, v2, s[26:27]
	v_mov_b32_e32 v5, 0x78
	v_cndmask_b32_e32 v2, v2, v5, vcc
	v_add_u32_e32 v5, 20, v2
	v_or_b32_e32 v4, 0x800000, v3
	v_lshlrev_b64 v[5:6], v5, -1
	v_add_u32_e32 v7, 19, v2
	v_cndmask_b32_e32 v3, v4, v3, vcc
	v_lshlrev_b64 v[7:8], v7, 1
	v_mov_b32_e32 v4, v51
	v_bfi_b32 v6, v6, 0, 0
	v_bfi_b32 v5, v5, 0, v3
	v_cmp_eq_u64_e64 s[26:27], v[5:6], v[7:8]
	v_lshrrev_b64 v[8:9], v2, v[3:4]
	v_mov_b32_e32 v15, v9
	v_mov_b32_e32 v14, v8
	s_and_saveexec_b64 s[36:37], s[26:27]
; %bb.726:                              ;   in Loop: Header=BB6_136 Depth=3
	v_bfe_u32 v3, v8, 20, 1
	v_add_co_u32_e64 v3, s[26:27], v8, v3
	v_add_co_u32_e64 v14, s[26:27], -1, v3
; %bb.727:                              ;   in Loop: Header=BB6_136 Depth=3
	s_or_b64 exec, exec, s[36:37]
	v_add_u32_e32 v1, 0xffffff81, v1
	v_mov_b32_e32 v3, 0xffffff82
	v_cndmask_b32_e32 v1, v1, v3, vcc
	v_lshrrev_b32_e32 v3, 23, v8
	v_add3_u32 v3, v2, v1, v3
	v_add_u32_e32 v2, 6, v3
	v_and_b32_e32 v1, 0xfffff, v14
	v_add_u32_e32 v8, v1, v8
	v_mov_b32_e32 v9, v51
	v_cmp_ne_u32_e32 vcc, 0, v2
                                        ; implicit-def: $vgpr1
	s_and_saveexec_b64 s[26:27], vcc
	s_xor_b64 s[26:27], exec, s[26:27]
; %bb.728:                              ;   in Loop: Header=BB6_136 Depth=3
	v_cmp_lt_u64_e32 vcc, s[88:89], v[8:9]
	v_add_u32_e32 v1, 7, v3
	v_cndmask_b32_e32 v1, v2, v1, vcc
	v_cndmask_b32_e64 v2, 0, 1, vcc
	v_lshrrev_b64 v[8:9], v2, v[8:9]
; %bb.729:                              ;   in Loop: Header=BB6_136 Depth=3
	s_andn2_saveexec_b64 s[26:27], s[26:27]
; %bb.730:                              ;   in Loop: Header=BB6_136 Depth=3
	v_bfe_u32 v1, v8, 23, 1
; %bb.731:                              ;   in Loop: Header=BB6_136 Depth=3
	s_or_b64 exec, exec, s[26:27]
	v_lshrrev_b64 v[2:3], 20, v[8:9]
	v_cmp_gt_i32_e32 vcc, 16, v1
	v_cndmask_b32_e32 v3, 0, v3, vcc
	v_cndmask_b32_e32 v2, 7, v2, vcc
	v_cmp_eq_u32_e32 vcc, 0, v1
	v_min_i32_e32 v1, 15, v1
	v_cmp_eq_u64_e64 s[26:27], 0, v[2:3]
	v_lshlrev_b32_e32 v1, 3, v1
	v_and_b32_e32 v1, 0xf8, v1
	v_and_or_b32 v1, v2, 7, v1
	s_and_b64 s[26:27], vcc, s[26:27]
	v_cndmask_b32_e64 v1, v1, 0, s[26:27]
	v_or_b32_e32 v0, v1, v0
	buffer_store_dword v0, off, s[0:3], s33 offset:196 ; 4-byte Folded Spill
.LBB6_732:                              ;   in Loop: Header=BB6_136 Depth=3
	s_or_b64 exec, exec, s[34:35]
                                        ; implicit-def: $vgpr0
.LBB6_733:                              ;   in Loop: Header=BB6_136 Depth=3
	s_andn2_saveexec_b64 s[26:27], s[30:31]
	s_cbranch_execz .LBB6_735
; %bb.734:                              ;   in Loop: Header=BB6_136 Depth=3
	v_or_b32_e32 v0, 0x7e, v0
	buffer_store_dword v0, off, s[0:3], s33 offset:196 ; 4-byte Folded Spill
.LBB6_735:                              ;   in Loop: Header=BB6_136 Depth=3
	s_or_b64 exec, exec, s[26:27]
                                        ; implicit-def: $vgpr1
.LBB6_736:                              ;   in Loop: Header=BB6_136 Depth=3
	s_andn2_saveexec_b64 s[26:27], s[94:95]
	s_cbranch_execz .LBB6_738
; %bb.737:                              ;   in Loop: Header=BB6_136 Depth=3
	v_or_b32_sdwa v0, v1, s86 dst_sel:DWORD dst_unused:UNUSED_PAD src0_sel:BYTE_3 src1_sel:DWORD
	buffer_store_dword v0, off, s[0:3], s33 offset:196 ; 4-byte Folded Spill
.LBB6_738:                              ;   in Loop: Header=BB6_136 Depth=3
	s_or_b64 exec, exec, s[26:27]
	v_cmp_lt_u32_e32 vcc, s57, v10
	v_mov_b32_e32 v0, 0
	s_and_saveexec_b64 s[26:27], vcc
	s_cbranch_execz .LBB6_744
; %bb.739:                              ;   in Loop: Header=BB6_136 Depth=3
	v_lshrrev_b32_e32 v8, 24, v10
	v_cmp_ne_u32_e32 vcc, s96, v8
	v_bfrev_b32_e32 v0, 1
	s_and_saveexec_b64 s[94:95], vcc
	s_cbranch_execz .LBB6_743
; %bb.740:                              ;   in Loop: Header=BB6_136 Depth=3
	v_bfe_u32 v1, v10, 24, 7
	v_cmp_ne_u32_e32 vcc, s86, v1
	v_mov_b32_e32 v0, 0x7f800001
	s_and_saveexec_b64 s[30:31], vcc
	s_cbranch_execz .LBB6_742
; %bb.741:                              ;   in Loop: Header=BB6_136 Depth=3
	v_and_b32_e32 v2, 7, v8
	v_ffbh_u32_e32 v0, v2
	v_min_u32_e32 v4, 32, v0
	v_subrev_u32_e32 v0, 28, v4
	v_lshrrev_b32_e32 v3, 3, v1
	v_cmp_gt_u32_e32 vcc, 8, v1
	v_lshlrev_b64 v[0:1], v0, v[8:9]
	v_sub_u32_e32 v1, 29, v4
	v_and_b32_e32 v0, 7, v0
	v_cndmask_b32_e32 v1, v3, v1, vcc
	v_cndmask_b32_e32 v0, v2, v0, vcc
	v_lshlrev_b32_e32 v2, 24, v8
	v_bfrev_b32_e32 v3, 60
	v_lshlrev_b32_e32 v0, 20, v0
	v_and_b32_e32 v2, 0x80000000, v2
	v_lshl_add_u32 v1, v1, 23, v3
	v_or3_b32 v0, v2, v1, v0
.LBB6_742:                              ;   in Loop: Header=BB6_136 Depth=3
	s_or_b64 exec, exec, s[30:31]
.LBB6_743:                              ;   in Loop: Header=BB6_136 Depth=3
	s_or_b64 exec, exec, s[94:95]
.LBB6_744:                              ;   in Loop: Header=BB6_136 Depth=3
	s_or_b64 exec, exec, s[26:27]
	v_mul_f32_e32 v1, v18, v0
	v_and_b32_e32 v2, 0x7f800000, v1
	v_mov_b32_e32 v3, v51
	v_cmp_ne_u64_e32 vcc, s[76:77], v[2:3]
                                        ; implicit-def: $vgpr0
                                        ; kill: killed $vgpr0
	s_and_saveexec_b64 s[26:27], vcc
	s_xor_b64 s[94:95], exec, s[26:27]
	s_cbranch_execz .LBB6_758
; %bb.745:                              ;   in Loop: Header=BB6_136 Depth=3
	v_and_b32_e32 v2, 0x7fffffff, v1
	v_mov_b32_e32 v3, v51
	v_cmp_gt_u64_e32 vcc, s[78:79], v[2:3]
	v_and_b32_sdwa v0, v1, s96 dst_sel:DWORD dst_unused:UNUSED_PAD src0_sel:BYTE_3 src1_sel:DWORD
                                        ; implicit-def: $vgpr2
                                        ; kill: killed $vgpr2
	s_and_saveexec_b64 s[26:27], vcc
	s_xor_b64 s[30:31], exec, s[26:27]
	s_cbranch_execz .LBB6_755
; %bb.746:                              ;   in Loop: Header=BB6_136 Depth=3
	v_mov_b32_e32 v2, 0
	v_cmp_ne_u32_e32 vcc, 0, v1
	buffer_store_dword v2, off, s[0:3], s33 offset:200 ; 4-byte Folded Spill
	s_and_saveexec_b64 s[34:35], vcc
	s_cbranch_execz .LBB6_754
; %bb.747:                              ;   in Loop: Header=BB6_136 Depth=3
	v_and_b32_e32 v3, 0x7fffff, v1
	v_bfe_u32 v1, v1, 23, 8
	v_cmp_gt_u32_e64 s[26:27], s97, v1
	v_sub_u32_e32 v2, 0x79, v1
	v_cmp_eq_u32_e32 vcc, 0, v1
	v_cndmask_b32_e64 v2, 0, v2, s[26:27]
	v_mov_b32_e32 v5, 0x78
	v_cndmask_b32_e32 v2, v2, v5, vcc
	v_add_u32_e32 v5, 20, v2
	v_or_b32_e32 v4, 0x800000, v3
	v_lshlrev_b64 v[5:6], v5, -1
	v_add_u32_e32 v7, 19, v2
	v_cndmask_b32_e32 v3, v4, v3, vcc
	v_lshlrev_b64 v[7:8], v7, 1
	v_mov_b32_e32 v4, v51
	v_bfi_b32 v6, v6, 0, 0
	v_bfi_b32 v5, v5, 0, v3
	v_cmp_eq_u64_e64 s[26:27], v[5:6], v[7:8]
	v_lshrrev_b64 v[8:9], v2, v[3:4]
	v_mov_b32_e32 v15, v9
	v_mov_b32_e32 v14, v8
	s_and_saveexec_b64 s[36:37], s[26:27]
; %bb.748:                              ;   in Loop: Header=BB6_136 Depth=3
	v_bfe_u32 v3, v8, 20, 1
	v_add_co_u32_e64 v3, s[26:27], v8, v3
	v_add_co_u32_e64 v14, s[26:27], -1, v3
; %bb.749:                              ;   in Loop: Header=BB6_136 Depth=3
	s_or_b64 exec, exec, s[36:37]
	v_add_u32_e32 v1, 0xffffff81, v1
	v_mov_b32_e32 v3, 0xffffff82
	v_cndmask_b32_e32 v1, v1, v3, vcc
	v_lshrrev_b32_e32 v3, 23, v8
	v_add3_u32 v3, v2, v1, v3
	v_add_u32_e32 v2, 6, v3
	v_and_b32_e32 v1, 0xfffff, v14
	v_add_u32_e32 v8, v1, v8
	v_mov_b32_e32 v9, v51
	v_cmp_ne_u32_e32 vcc, 0, v2
                                        ; implicit-def: $vgpr1
	s_and_saveexec_b64 s[26:27], vcc
	s_xor_b64 s[26:27], exec, s[26:27]
; %bb.750:                              ;   in Loop: Header=BB6_136 Depth=3
	v_cmp_lt_u64_e32 vcc, s[88:89], v[8:9]
	v_add_u32_e32 v1, 7, v3
	v_cndmask_b32_e32 v1, v2, v1, vcc
	v_cndmask_b32_e64 v2, 0, 1, vcc
	v_lshrrev_b64 v[8:9], v2, v[8:9]
; %bb.751:                              ;   in Loop: Header=BB6_136 Depth=3
	s_andn2_saveexec_b64 s[26:27], s[26:27]
; %bb.752:                              ;   in Loop: Header=BB6_136 Depth=3
	v_bfe_u32 v1, v8, 23, 1
; %bb.753:                              ;   in Loop: Header=BB6_136 Depth=3
	s_or_b64 exec, exec, s[26:27]
	v_lshrrev_b64 v[2:3], 20, v[8:9]
	v_cmp_gt_i32_e32 vcc, 16, v1
	v_cndmask_b32_e32 v3, 0, v3, vcc
	v_cndmask_b32_e32 v2, 7, v2, vcc
	v_cmp_eq_u32_e32 vcc, 0, v1
	v_min_i32_e32 v1, 15, v1
	v_cmp_eq_u64_e64 s[26:27], 0, v[2:3]
	v_lshlrev_b32_e32 v1, 3, v1
	v_and_b32_e32 v1, 0xf8, v1
	v_and_or_b32 v1, v2, 7, v1
	s_and_b64 s[26:27], vcc, s[26:27]
	v_cndmask_b32_e64 v1, v1, 0, s[26:27]
	v_or_b32_e32 v0, v1, v0
	buffer_store_dword v0, off, s[0:3], s33 offset:200 ; 4-byte Folded Spill
.LBB6_754:                              ;   in Loop: Header=BB6_136 Depth=3
	s_or_b64 exec, exec, s[34:35]
                                        ; implicit-def: $vgpr0
.LBB6_755:                              ;   in Loop: Header=BB6_136 Depth=3
	s_andn2_saveexec_b64 s[26:27], s[30:31]
	s_cbranch_execz .LBB6_757
; %bb.756:                              ;   in Loop: Header=BB6_136 Depth=3
	v_or_b32_e32 v0, 0x7e, v0
	buffer_store_dword v0, off, s[0:3], s33 offset:200 ; 4-byte Folded Spill
.LBB6_757:                              ;   in Loop: Header=BB6_136 Depth=3
	s_or_b64 exec, exec, s[26:27]
                                        ; implicit-def: $vgpr1
.LBB6_758:                              ;   in Loop: Header=BB6_136 Depth=3
	s_andn2_saveexec_b64 s[26:27], s[94:95]
	s_cbranch_execz .LBB6_760
; %bb.759:                              ;   in Loop: Header=BB6_136 Depth=3
	v_or_b32_sdwa v0, v1, s86 dst_sel:DWORD dst_unused:UNUSED_PAD src0_sel:BYTE_3 src1_sel:DWORD
	buffer_store_dword v0, off, s[0:3], s33 offset:200 ; 4-byte Folded Spill
.LBB6_760:                              ;   in Loop: Header=BB6_136 Depth=3
	s_or_b64 exec, exec, s[26:27]
	v_mov_b32_e32 v8, v11
	v_mov_b32_e32 v9, v51
	v_cmp_ne_u16_sdwa s[94:95], v11, v51 src0_sel:BYTE_0 src1_sel:DWORD
	v_mov_b32_e32 v0, 0
	s_and_saveexec_b64 s[26:27], s[94:95]
	s_cbranch_execz .LBB6_766
; %bb.761:                              ;   in Loop: Header=BB6_136 Depth=3
	v_cmp_ne_u16_sdwa vcc, v11, s96 src0_sel:BYTE_0 src1_sel:DWORD
	v_bfrev_b32_e32 v0, 1
	s_and_saveexec_b64 s[94:95], vcc
	s_cbranch_execz .LBB6_765
; %bb.762:                              ;   in Loop: Header=BB6_136 Depth=3
	v_and_b32_e32 v1, 0x7f, v11
	v_cmp_ne_u32_e32 vcc, s86, v1
	v_mov_b32_e32 v0, 0x7f800001
	s_and_saveexec_b64 s[30:31], vcc
	s_cbranch_execz .LBB6_764
; %bb.763:                              ;   in Loop: Header=BB6_136 Depth=3
	v_and_b32_e32 v0, 7, v11
	v_ffbh_u32_e32 v0, v0
	v_min_u32_e32 v0, 32, v0
	v_lshrrev_b32_e32 v2, 3, v1
	v_cmp_gt_u32_e32 vcc, 8, v1
	v_subrev_u32_e32 v1, 28, v0
	v_sub_u32_e32 v0, 29, v0
	v_cndmask_b32_e32 v2, v2, v0, vcc
	v_cndmask_b32_e32 v0, 0, v1, vcc
	v_lshlrev_b64 v[0:1], v0, v[8:9]
	v_lshlrev_b32_e32 v1, 24, v8
	v_lshlrev_b32_e32 v0, 20, v0
	v_bfrev_b32_e32 v3, 60
	v_and_b32_e32 v0, 0x700000, v0
	v_and_b32_e32 v1, 0x80000000, v1
	v_lshl_add_u32 v2, v2, 23, v3
	v_or3_b32 v0, v1, v2, v0
.LBB6_764:                              ;   in Loop: Header=BB6_136 Depth=3
	s_or_b64 exec, exec, s[30:31]
.LBB6_765:                              ;   in Loop: Header=BB6_136 Depth=3
	s_or_b64 exec, exec, s[94:95]
.LBB6_766:                              ;   in Loop: Header=BB6_136 Depth=3
	s_or_b64 exec, exec, s[26:27]
	v_mul_f32_e32 v1, v18, v0
	v_and_b32_e32 v2, 0x7f800000, v1
	v_mov_b32_e32 v3, v51
	v_cmp_ne_u64_e32 vcc, s[76:77], v[2:3]
                                        ; implicit-def: $vgpr0
                                        ; kill: killed $vgpr0
	s_and_saveexec_b64 s[26:27], vcc
	s_xor_b64 s[94:95], exec, s[26:27]
	s_cbranch_execz .LBB6_780
; %bb.767:                              ;   in Loop: Header=BB6_136 Depth=3
	v_and_b32_e32 v2, 0x7fffffff, v1
	v_mov_b32_e32 v3, v51
	v_cmp_gt_u64_e32 vcc, s[78:79], v[2:3]
	v_and_b32_sdwa v0, v1, s96 dst_sel:DWORD dst_unused:UNUSED_PAD src0_sel:BYTE_3 src1_sel:DWORD
                                        ; implicit-def: $vgpr2
                                        ; kill: killed $vgpr2
	s_and_saveexec_b64 s[26:27], vcc
	s_xor_b64 s[30:31], exec, s[26:27]
	s_cbranch_execz .LBB6_777
; %bb.768:                              ;   in Loop: Header=BB6_136 Depth=3
	v_mov_b32_e32 v2, 0
	v_cmp_ne_u32_e32 vcc, 0, v1
	buffer_store_dword v2, off, s[0:3], s33 offset:204 ; 4-byte Folded Spill
	s_and_saveexec_b64 s[34:35], vcc
	s_cbranch_execz .LBB6_776
; %bb.769:                              ;   in Loop: Header=BB6_136 Depth=3
	v_and_b32_e32 v3, 0x7fffff, v1
	v_bfe_u32 v1, v1, 23, 8
	v_cmp_gt_u32_e64 s[26:27], s97, v1
	v_sub_u32_e32 v2, 0x79, v1
	v_cmp_eq_u32_e32 vcc, 0, v1
	v_cndmask_b32_e64 v2, 0, v2, s[26:27]
	v_mov_b32_e32 v5, 0x78
	v_cndmask_b32_e32 v2, v2, v5, vcc
	v_add_u32_e32 v5, 20, v2
	v_or_b32_e32 v4, 0x800000, v3
	v_lshlrev_b64 v[5:6], v5, -1
	v_add_u32_e32 v7, 19, v2
	v_cndmask_b32_e32 v3, v4, v3, vcc
	v_lshlrev_b64 v[14:15], v7, 1
	v_mov_b32_e32 v4, v51
	v_bfi_b32 v6, v6, 0, 0
	v_bfi_b32 v5, v5, 0, v3
	v_cmp_eq_u64_e64 s[26:27], v[5:6], v[14:15]
	v_lshrrev_b64 v[14:15], v2, v[3:4]
	v_mov_b32_e32 v16, v15
	v_mov_b32_e32 v15, v14
	s_and_saveexec_b64 s[36:37], s[26:27]
; %bb.770:                              ;   in Loop: Header=BB6_136 Depth=3
	v_bfe_u32 v3, v14, 20, 1
	v_add_co_u32_e64 v3, s[26:27], v14, v3
	v_add_co_u32_e64 v15, s[26:27], -1, v3
; %bb.771:                              ;   in Loop: Header=BB6_136 Depth=3
	s_or_b64 exec, exec, s[36:37]
	v_add_u32_e32 v1, 0xffffff81, v1
	v_mov_b32_e32 v3, 0xffffff82
	v_cndmask_b32_e32 v1, v1, v3, vcc
	v_lshrrev_b32_e32 v3, 23, v14
	v_add3_u32 v3, v2, v1, v3
	v_add_u32_e32 v2, 6, v3
	v_and_b32_e32 v1, 0xfffff, v15
	v_add_u32_e32 v14, v1, v14
	v_mov_b32_e32 v15, v51
	v_cmp_ne_u32_e32 vcc, 0, v2
                                        ; implicit-def: $vgpr1
	s_and_saveexec_b64 s[26:27], vcc
	s_xor_b64 s[26:27], exec, s[26:27]
; %bb.772:                              ;   in Loop: Header=BB6_136 Depth=3
	v_cmp_lt_u64_e32 vcc, s[88:89], v[14:15]
	v_add_u32_e32 v1, 7, v3
	v_cndmask_b32_e32 v1, v2, v1, vcc
	v_cndmask_b32_e64 v2, 0, 1, vcc
	v_lshrrev_b64 v[14:15], v2, v[14:15]
; %bb.773:                              ;   in Loop: Header=BB6_136 Depth=3
	s_andn2_saveexec_b64 s[26:27], s[26:27]
; %bb.774:                              ;   in Loop: Header=BB6_136 Depth=3
	v_bfe_u32 v1, v14, 23, 1
; %bb.775:                              ;   in Loop: Header=BB6_136 Depth=3
	s_or_b64 exec, exec, s[26:27]
	v_lshrrev_b64 v[2:3], 20, v[14:15]
	v_cmp_gt_i32_e32 vcc, 16, v1
	v_cndmask_b32_e32 v3, 0, v3, vcc
	v_cndmask_b32_e32 v2, 7, v2, vcc
	v_cmp_eq_u32_e32 vcc, 0, v1
	v_min_i32_e32 v1, 15, v1
	v_cmp_eq_u64_e64 s[26:27], 0, v[2:3]
	v_lshlrev_b32_e32 v1, 3, v1
	v_and_b32_e32 v1, 0xf8, v1
	v_and_or_b32 v1, v2, 7, v1
	s_and_b64 s[26:27], vcc, s[26:27]
	v_cndmask_b32_e64 v1, v1, 0, s[26:27]
	v_or_b32_e32 v0, v1, v0
	buffer_store_dword v0, off, s[0:3], s33 offset:204 ; 4-byte Folded Spill
.LBB6_776:                              ;   in Loop: Header=BB6_136 Depth=3
	s_or_b64 exec, exec, s[34:35]
                                        ; implicit-def: $vgpr0
.LBB6_777:                              ;   in Loop: Header=BB6_136 Depth=3
	s_andn2_saveexec_b64 s[26:27], s[30:31]
	s_cbranch_execz .LBB6_779
; %bb.778:                              ;   in Loop: Header=BB6_136 Depth=3
	v_or_b32_e32 v0, 0x7e, v0
	buffer_store_dword v0, off, s[0:3], s33 offset:204 ; 4-byte Folded Spill
.LBB6_779:                              ;   in Loop: Header=BB6_136 Depth=3
	s_or_b64 exec, exec, s[26:27]
                                        ; implicit-def: $vgpr1
.LBB6_780:                              ;   in Loop: Header=BB6_136 Depth=3
	s_andn2_saveexec_b64 s[26:27], s[94:95]
	s_cbranch_execz .LBB6_782
; %bb.781:                              ;   in Loop: Header=BB6_136 Depth=3
	v_or_b32_sdwa v0, v1, s86 dst_sel:DWORD dst_unused:UNUSED_PAD src0_sel:BYTE_3 src1_sel:DWORD
	buffer_store_dword v0, off, s[0:3], s33 offset:204 ; 4-byte Folded Spill
.LBB6_782:                              ;   in Loop: Header=BB6_136 Depth=3
	s_or_b64 exec, exec, s[26:27]
	v_lshrrev_b16_e32 v9, 8, v8
	v_cmp_ne_u16_e32 vcc, 0, v9
	v_mov_b32_e32 v0, 0
	s_and_saveexec_b64 s[26:27], vcc
	s_cbranch_execz .LBB6_788
; %bb.783:                              ;   in Loop: Header=BB6_136 Depth=3
	v_cmp_ne_u16_e32 vcc, s96, v9
	v_bfrev_b32_e32 v0, 1
	s_and_saveexec_b64 s[94:95], vcc
	s_cbranch_execz .LBB6_787
; %bb.784:                              ;   in Loop: Header=BB6_136 Depth=3
	v_and_b32_e32 v1, 0x7f, v9
	v_cmp_ne_u32_e32 vcc, s86, v1
	v_mov_b32_e32 v0, 0x7f800001
	s_and_saveexec_b64 s[30:31], vcc
	s_cbranch_execz .LBB6_786
; %bb.785:                              ;   in Loop: Header=BB6_136 Depth=3
	v_and_b32_e32 v2, 7, v9
	v_ffbh_u32_e32 v0, v2
	v_min_u32_e32 v4, 32, v0
	v_subrev_u32_e32 v0, 28, v4
	v_lshrrev_b32_e32 v3, 3, v1
	v_cmp_gt_u32_e32 vcc, 8, v1
	v_lshlrev_b64 v[0:1], v0, v[9:10]
	v_sub_u32_e32 v1, 29, v4
	v_and_b32_e32 v0, 7, v0
	v_cndmask_b32_e32 v1, v3, v1, vcc
	v_cndmask_b32_e32 v0, v2, v0, vcc
	v_lshlrev_b32_e32 v2, 16, v8
	v_bfrev_b32_e32 v3, 60
	v_lshlrev_b32_e32 v0, 20, v0
	v_and_b32_e32 v2, 0x80000000, v2
	v_lshl_add_u32 v1, v1, 23, v3
	v_or3_b32 v0, v2, v1, v0
.LBB6_786:                              ;   in Loop: Header=BB6_136 Depth=3
	s_or_b64 exec, exec, s[30:31]
.LBB6_787:                              ;   in Loop: Header=BB6_136 Depth=3
	s_or_b64 exec, exec, s[94:95]
.LBB6_788:                              ;   in Loop: Header=BB6_136 Depth=3
	s_or_b64 exec, exec, s[26:27]
	v_mul_f32_e32 v1, v18, v0
	v_and_b32_e32 v2, 0x7f800000, v1
	v_mov_b32_e32 v3, v51
	v_cmp_ne_u64_e32 vcc, s[76:77], v[2:3]
                                        ; implicit-def: $vgpr0
                                        ; kill: killed $vgpr0
	s_and_saveexec_b64 s[26:27], vcc
	s_xor_b64 s[94:95], exec, s[26:27]
	s_cbranch_execz .LBB6_802
; %bb.789:                              ;   in Loop: Header=BB6_136 Depth=3
	v_and_b32_e32 v2, 0x7fffffff, v1
	v_mov_b32_e32 v3, v51
	v_cmp_gt_u64_e32 vcc, s[78:79], v[2:3]
	v_and_b32_sdwa v0, v1, s96 dst_sel:DWORD dst_unused:UNUSED_PAD src0_sel:BYTE_3 src1_sel:DWORD
                                        ; implicit-def: $vgpr2
                                        ; kill: killed $vgpr2
	s_and_saveexec_b64 s[26:27], vcc
	s_xor_b64 s[30:31], exec, s[26:27]
	s_cbranch_execz .LBB6_799
; %bb.790:                              ;   in Loop: Header=BB6_136 Depth=3
	v_mov_b32_e32 v2, 0
	v_cmp_ne_u32_e32 vcc, 0, v1
	buffer_store_dword v2, off, s[0:3], s33 offset:208 ; 4-byte Folded Spill
	s_and_saveexec_b64 s[34:35], vcc
	s_cbranch_execz .LBB6_798
; %bb.791:                              ;   in Loop: Header=BB6_136 Depth=3
	v_and_b32_e32 v3, 0x7fffff, v1
	v_bfe_u32 v1, v1, 23, 8
	v_cmp_gt_u32_e64 s[26:27], s97, v1
	v_sub_u32_e32 v2, 0x79, v1
	v_cmp_eq_u32_e32 vcc, 0, v1
	v_cndmask_b32_e64 v2, 0, v2, s[26:27]
	v_mov_b32_e32 v5, 0x78
	v_cndmask_b32_e32 v2, v2, v5, vcc
	v_add_u32_e32 v5, 20, v2
	v_or_b32_e32 v4, 0x800000, v3
	v_lshlrev_b64 v[5:6], v5, -1
	v_add_u32_e32 v7, 19, v2
	v_cndmask_b32_e32 v3, v4, v3, vcc
	v_lshlrev_b64 v[7:8], v7, 1
	v_mov_b32_e32 v4, v51
	v_bfi_b32 v6, v6, 0, 0
	v_bfi_b32 v5, v5, 0, v3
	v_cmp_eq_u64_e64 s[26:27], v[5:6], v[7:8]
	v_lshrrev_b64 v[8:9], v2, v[3:4]
	v_mov_b32_e32 v15, v9
	v_mov_b32_e32 v14, v8
	s_and_saveexec_b64 s[36:37], s[26:27]
; %bb.792:                              ;   in Loop: Header=BB6_136 Depth=3
	v_bfe_u32 v3, v8, 20, 1
	v_add_co_u32_e64 v3, s[26:27], v8, v3
	v_add_co_u32_e64 v14, s[26:27], -1, v3
; %bb.793:                              ;   in Loop: Header=BB6_136 Depth=3
	s_or_b64 exec, exec, s[36:37]
	v_add_u32_e32 v1, 0xffffff81, v1
	v_mov_b32_e32 v3, 0xffffff82
	v_cndmask_b32_e32 v1, v1, v3, vcc
	v_lshrrev_b32_e32 v3, 23, v8
	v_add3_u32 v3, v2, v1, v3
	v_add_u32_e32 v2, 6, v3
	v_and_b32_e32 v1, 0xfffff, v14
	v_add_u32_e32 v8, v1, v8
	v_mov_b32_e32 v9, v51
	v_cmp_ne_u32_e32 vcc, 0, v2
                                        ; implicit-def: $vgpr1
	s_and_saveexec_b64 s[26:27], vcc
	s_xor_b64 s[26:27], exec, s[26:27]
; %bb.794:                              ;   in Loop: Header=BB6_136 Depth=3
	v_cmp_lt_u64_e32 vcc, s[88:89], v[8:9]
	v_add_u32_e32 v1, 7, v3
	v_cndmask_b32_e32 v1, v2, v1, vcc
	v_cndmask_b32_e64 v2, 0, 1, vcc
	v_lshrrev_b64 v[8:9], v2, v[8:9]
; %bb.795:                              ;   in Loop: Header=BB6_136 Depth=3
	s_andn2_saveexec_b64 s[26:27], s[26:27]
; %bb.796:                              ;   in Loop: Header=BB6_136 Depth=3
	v_bfe_u32 v1, v8, 23, 1
; %bb.797:                              ;   in Loop: Header=BB6_136 Depth=3
	s_or_b64 exec, exec, s[26:27]
	v_lshrrev_b64 v[2:3], 20, v[8:9]
	v_cmp_gt_i32_e32 vcc, 16, v1
	v_cndmask_b32_e32 v3, 0, v3, vcc
	v_cndmask_b32_e32 v2, 7, v2, vcc
	v_cmp_eq_u32_e32 vcc, 0, v1
	v_min_i32_e32 v1, 15, v1
	v_cmp_eq_u64_e64 s[26:27], 0, v[2:3]
	v_lshlrev_b32_e32 v1, 3, v1
	v_and_b32_e32 v1, 0xf8, v1
	v_and_or_b32 v1, v2, 7, v1
	s_and_b64 s[26:27], vcc, s[26:27]
	v_cndmask_b32_e64 v1, v1, 0, s[26:27]
	v_or_b32_e32 v0, v1, v0
	buffer_store_dword v0, off, s[0:3], s33 offset:208 ; 4-byte Folded Spill
.LBB6_798:                              ;   in Loop: Header=BB6_136 Depth=3
	s_or_b64 exec, exec, s[34:35]
                                        ; implicit-def: $vgpr0
.LBB6_799:                              ;   in Loop: Header=BB6_136 Depth=3
	s_andn2_saveexec_b64 s[26:27], s[30:31]
	s_cbranch_execz .LBB6_801
; %bb.800:                              ;   in Loop: Header=BB6_136 Depth=3
	v_or_b32_e32 v0, 0x7e, v0
	buffer_store_dword v0, off, s[0:3], s33 offset:208 ; 4-byte Folded Spill
.LBB6_801:                              ;   in Loop: Header=BB6_136 Depth=3
	s_or_b64 exec, exec, s[26:27]
                                        ; implicit-def: $vgpr1
.LBB6_802:                              ;   in Loop: Header=BB6_136 Depth=3
	s_andn2_saveexec_b64 s[26:27], s[94:95]
	s_cbranch_execz .LBB6_804
; %bb.803:                              ;   in Loop: Header=BB6_136 Depth=3
	v_or_b32_sdwa v0, v1, s86 dst_sel:DWORD dst_unused:UNUSED_PAD src0_sel:BYTE_3 src1_sel:DWORD
	buffer_store_dword v0, off, s[0:3], s33 offset:208 ; 4-byte Folded Spill
.LBB6_804:                              ;   in Loop: Header=BB6_136 Depth=3
	s_or_b64 exec, exec, s[26:27]
	v_lshrrev_b32_e32 v8, 16, v11
	v_cmp_ne_u16_sdwa s[94:95], v8, v51 src0_sel:BYTE_0 src1_sel:DWORD
	v_mov_b32_e32 v0, 0
	s_and_saveexec_b64 s[26:27], s[94:95]
	s_cbranch_execz .LBB6_810
; %bb.805:                              ;   in Loop: Header=BB6_136 Depth=3
	v_cmp_ne_u16_sdwa vcc, v8, s96 src0_sel:BYTE_0 src1_sel:DWORD
	v_bfrev_b32_e32 v0, 1
	s_and_saveexec_b64 s[94:95], vcc
	s_cbranch_execz .LBB6_809
; %bb.806:                              ;   in Loop: Header=BB6_136 Depth=3
	v_bfe_u32 v1, v11, 16, 7
	v_cmp_ne_u32_e32 vcc, s86, v1
	v_mov_b32_e32 v0, 0x7f800001
	s_and_saveexec_b64 s[30:31], vcc
	s_cbranch_execz .LBB6_808
; %bb.807:                              ;   in Loop: Header=BB6_136 Depth=3
	v_and_b32_e32 v2, 7, v8
	v_ffbh_u32_e32 v0, v2
	v_min_u32_e32 v4, 32, v0
	v_subrev_u32_e32 v0, 28, v4
	v_lshrrev_b32_e32 v3, 3, v1
	v_cmp_gt_u32_e32 vcc, 8, v1
	v_lshlrev_b64 v[0:1], v0, v[8:9]
	v_sub_u32_e32 v1, 29, v4
	v_and_b32_e32 v0, 7, v0
	v_cndmask_b32_e32 v1, v3, v1, vcc
	v_cndmask_b32_e32 v0, v2, v0, vcc
	v_lshlrev_b32_e32 v2, 24, v8
	v_bfrev_b32_e32 v3, 60
	v_lshlrev_b32_e32 v0, 20, v0
	v_and_b32_e32 v2, 0x80000000, v2
	v_lshl_add_u32 v1, v1, 23, v3
	v_or3_b32 v0, v2, v1, v0
.LBB6_808:                              ;   in Loop: Header=BB6_136 Depth=3
	s_or_b64 exec, exec, s[30:31]
.LBB6_809:                              ;   in Loop: Header=BB6_136 Depth=3
	s_or_b64 exec, exec, s[94:95]
.LBB6_810:                              ;   in Loop: Header=BB6_136 Depth=3
	s_or_b64 exec, exec, s[26:27]
	v_mul_f32_e32 v1, v18, v0
	v_and_b32_e32 v2, 0x7f800000, v1
	v_mov_b32_e32 v3, v51
	v_cmp_ne_u64_e32 vcc, s[76:77], v[2:3]
                                        ; implicit-def: $vgpr0
                                        ; kill: killed $vgpr0
	s_and_saveexec_b64 s[26:27], vcc
	s_xor_b64 s[94:95], exec, s[26:27]
	s_cbranch_execz .LBB6_824
; %bb.811:                              ;   in Loop: Header=BB6_136 Depth=3
	v_and_b32_e32 v2, 0x7fffffff, v1
	v_mov_b32_e32 v3, v51
	v_cmp_gt_u64_e32 vcc, s[78:79], v[2:3]
	v_and_b32_sdwa v0, v1, s96 dst_sel:DWORD dst_unused:UNUSED_PAD src0_sel:BYTE_3 src1_sel:DWORD
                                        ; implicit-def: $vgpr2
                                        ; kill: killed $vgpr2
	s_and_saveexec_b64 s[26:27], vcc
	s_xor_b64 s[30:31], exec, s[26:27]
	s_cbranch_execz .LBB6_821
; %bb.812:                              ;   in Loop: Header=BB6_136 Depth=3
	v_mov_b32_e32 v2, 0
	v_cmp_ne_u32_e32 vcc, 0, v1
	buffer_store_dword v2, off, s[0:3], s33 offset:212 ; 4-byte Folded Spill
	s_and_saveexec_b64 s[34:35], vcc
	s_cbranch_execz .LBB6_820
; %bb.813:                              ;   in Loop: Header=BB6_136 Depth=3
	v_and_b32_e32 v3, 0x7fffff, v1
	v_bfe_u32 v1, v1, 23, 8
	v_cmp_gt_u32_e64 s[26:27], s97, v1
	v_sub_u32_e32 v2, 0x79, v1
	v_cmp_eq_u32_e32 vcc, 0, v1
	v_cndmask_b32_e64 v2, 0, v2, s[26:27]
	v_mov_b32_e32 v5, 0x78
	v_cndmask_b32_e32 v2, v2, v5, vcc
	v_add_u32_e32 v5, 20, v2
	v_or_b32_e32 v4, 0x800000, v3
	v_lshlrev_b64 v[5:6], v5, -1
	v_add_u32_e32 v7, 19, v2
	v_cndmask_b32_e32 v3, v4, v3, vcc
	v_lshlrev_b64 v[7:8], v7, 1
	v_mov_b32_e32 v4, v51
	v_bfi_b32 v6, v6, 0, 0
	v_bfi_b32 v5, v5, 0, v3
	v_cmp_eq_u64_e64 s[26:27], v[5:6], v[7:8]
	v_lshrrev_b64 v[8:9], v2, v[3:4]
	v_mov_b32_e32 v15, v9
	v_mov_b32_e32 v14, v8
	s_and_saveexec_b64 s[36:37], s[26:27]
; %bb.814:                              ;   in Loop: Header=BB6_136 Depth=3
	v_bfe_u32 v3, v8, 20, 1
	v_add_co_u32_e64 v3, s[26:27], v8, v3
	v_add_co_u32_e64 v14, s[26:27], -1, v3
; %bb.815:                              ;   in Loop: Header=BB6_136 Depth=3
	s_or_b64 exec, exec, s[36:37]
	v_add_u32_e32 v1, 0xffffff81, v1
	v_mov_b32_e32 v3, 0xffffff82
	v_cndmask_b32_e32 v1, v1, v3, vcc
	v_lshrrev_b32_e32 v3, 23, v8
	v_add3_u32 v3, v2, v1, v3
	v_add_u32_e32 v2, 6, v3
	v_and_b32_e32 v1, 0xfffff, v14
	v_add_u32_e32 v8, v1, v8
	v_mov_b32_e32 v9, v51
	v_cmp_ne_u32_e32 vcc, 0, v2
                                        ; implicit-def: $vgpr1
	s_and_saveexec_b64 s[26:27], vcc
	s_xor_b64 s[26:27], exec, s[26:27]
; %bb.816:                              ;   in Loop: Header=BB6_136 Depth=3
	v_cmp_lt_u64_e32 vcc, s[88:89], v[8:9]
	v_add_u32_e32 v1, 7, v3
	v_cndmask_b32_e32 v1, v2, v1, vcc
	v_cndmask_b32_e64 v2, 0, 1, vcc
	v_lshrrev_b64 v[8:9], v2, v[8:9]
; %bb.817:                              ;   in Loop: Header=BB6_136 Depth=3
	s_andn2_saveexec_b64 s[26:27], s[26:27]
; %bb.818:                              ;   in Loop: Header=BB6_136 Depth=3
	v_bfe_u32 v1, v8, 23, 1
; %bb.819:                              ;   in Loop: Header=BB6_136 Depth=3
	s_or_b64 exec, exec, s[26:27]
	v_lshrrev_b64 v[2:3], 20, v[8:9]
	v_cmp_gt_i32_e32 vcc, 16, v1
	v_cndmask_b32_e32 v3, 0, v3, vcc
	v_cndmask_b32_e32 v2, 7, v2, vcc
	v_cmp_eq_u32_e32 vcc, 0, v1
	v_min_i32_e32 v1, 15, v1
	v_cmp_eq_u64_e64 s[26:27], 0, v[2:3]
	v_lshlrev_b32_e32 v1, 3, v1
	v_and_b32_e32 v1, 0xf8, v1
	v_and_or_b32 v1, v2, 7, v1
	s_and_b64 s[26:27], vcc, s[26:27]
	v_cndmask_b32_e64 v1, v1, 0, s[26:27]
	v_or_b32_e32 v0, v1, v0
	buffer_store_dword v0, off, s[0:3], s33 offset:212 ; 4-byte Folded Spill
.LBB6_820:                              ;   in Loop: Header=BB6_136 Depth=3
	s_or_b64 exec, exec, s[34:35]
                                        ; implicit-def: $vgpr0
.LBB6_821:                              ;   in Loop: Header=BB6_136 Depth=3
	s_andn2_saveexec_b64 s[26:27], s[30:31]
	s_cbranch_execz .LBB6_823
; %bb.822:                              ;   in Loop: Header=BB6_136 Depth=3
	v_or_b32_e32 v0, 0x7e, v0
	buffer_store_dword v0, off, s[0:3], s33 offset:212 ; 4-byte Folded Spill
.LBB6_823:                              ;   in Loop: Header=BB6_136 Depth=3
	s_or_b64 exec, exec, s[26:27]
                                        ; implicit-def: $vgpr1
.LBB6_824:                              ;   in Loop: Header=BB6_136 Depth=3
	s_andn2_saveexec_b64 s[26:27], s[94:95]
	s_cbranch_execz .LBB6_826
; %bb.825:                              ;   in Loop: Header=BB6_136 Depth=3
	v_or_b32_sdwa v0, v1, s86 dst_sel:DWORD dst_unused:UNUSED_PAD src0_sel:BYTE_3 src1_sel:DWORD
	buffer_store_dword v0, off, s[0:3], s33 offset:212 ; 4-byte Folded Spill
.LBB6_826:                              ;   in Loop: Header=BB6_136 Depth=3
	s_or_b64 exec, exec, s[26:27]
	v_cmp_lt_u64_e32 vcc, s[56:57], v[10:11]
	v_mov_b32_e32 v0, 0
	s_and_saveexec_b64 s[26:27], vcc
	s_cbranch_execz .LBB6_832
; %bb.827:                              ;   in Loop: Header=BB6_136 Depth=3
	v_lshrrev_b32_e32 v8, 24, v11
	v_cmp_ne_u32_e32 vcc, s96, v8
	v_bfrev_b32_e32 v0, 1
	s_and_saveexec_b64 s[94:95], vcc
	s_cbranch_execz .LBB6_831
; %bb.828:                              ;   in Loop: Header=BB6_136 Depth=3
	v_bfe_u32 v1, v11, 24, 7
	v_cmp_ne_u32_e32 vcc, s86, v1
	v_mov_b32_e32 v0, 0x7f800001
	s_and_saveexec_b64 s[30:31], vcc
	s_cbranch_execz .LBB6_830
; %bb.829:                              ;   in Loop: Header=BB6_136 Depth=3
	v_and_b32_e32 v2, 7, v8
	v_ffbh_u32_e32 v0, v2
	v_min_u32_e32 v4, 32, v0
	v_subrev_u32_e32 v0, 28, v4
	v_lshrrev_b32_e32 v3, 3, v1
	v_cmp_gt_u32_e32 vcc, 8, v1
	v_lshlrev_b64 v[0:1], v0, v[8:9]
	v_sub_u32_e32 v1, 29, v4
	v_and_b32_e32 v0, 7, v0
	v_cndmask_b32_e32 v1, v3, v1, vcc
	v_cndmask_b32_e32 v0, v2, v0, vcc
	v_lshlrev_b32_e32 v2, 24, v8
	v_bfrev_b32_e32 v3, 60
	v_lshlrev_b32_e32 v0, 20, v0
	v_and_b32_e32 v2, 0x80000000, v2
	v_lshl_add_u32 v1, v1, 23, v3
	v_or3_b32 v0, v2, v1, v0
.LBB6_830:                              ;   in Loop: Header=BB6_136 Depth=3
	s_or_b64 exec, exec, s[30:31]
.LBB6_831:                              ;   in Loop: Header=BB6_136 Depth=3
	s_or_b64 exec, exec, s[94:95]
.LBB6_832:                              ;   in Loop: Header=BB6_136 Depth=3
	s_or_b64 exec, exec, s[26:27]
	v_mul_f32_e32 v1, v18, v0
	v_and_b32_e32 v2, 0x7f800000, v1
	v_mov_b32_e32 v3, v51
	v_cmp_ne_u64_e32 vcc, s[76:77], v[2:3]
                                        ; implicit-def: $vgpr0
                                        ; kill: killed $vgpr0
	s_and_saveexec_b64 s[26:27], vcc
	s_xor_b64 s[94:95], exec, s[26:27]
	s_cbranch_execz .LBB6_846
; %bb.833:                              ;   in Loop: Header=BB6_136 Depth=3
	v_and_b32_e32 v2, 0x7fffffff, v1
	v_mov_b32_e32 v3, v51
	v_cmp_gt_u64_e32 vcc, s[78:79], v[2:3]
	v_and_b32_sdwa v0, v1, s96 dst_sel:DWORD dst_unused:UNUSED_PAD src0_sel:BYTE_3 src1_sel:DWORD
                                        ; implicit-def: $vgpr2
                                        ; kill: killed $vgpr2
	s_and_saveexec_b64 s[26:27], vcc
	s_xor_b64 s[30:31], exec, s[26:27]
	s_cbranch_execz .LBB6_843
; %bb.834:                              ;   in Loop: Header=BB6_136 Depth=3
	v_mov_b32_e32 v2, 0
	v_cmp_ne_u32_e32 vcc, 0, v1
	buffer_store_dword v2, off, s[0:3], s33 offset:216 ; 4-byte Folded Spill
	s_and_saveexec_b64 s[34:35], vcc
	s_cbranch_execz .LBB6_842
; %bb.835:                              ;   in Loop: Header=BB6_136 Depth=3
	v_and_b32_e32 v3, 0x7fffff, v1
	v_bfe_u32 v1, v1, 23, 8
	v_cmp_gt_u32_e64 s[26:27], s97, v1
	v_sub_u32_e32 v2, 0x79, v1
	v_cmp_eq_u32_e32 vcc, 0, v1
	v_cndmask_b32_e64 v2, 0, v2, s[26:27]
	v_mov_b32_e32 v5, 0x78
	v_cndmask_b32_e32 v2, v2, v5, vcc
	v_add_u32_e32 v5, 20, v2
	v_or_b32_e32 v4, 0x800000, v3
	v_lshlrev_b64 v[5:6], v5, -1
	v_add_u32_e32 v7, 19, v2
	v_cndmask_b32_e32 v3, v4, v3, vcc
	v_lshlrev_b64 v[7:8], v7, 1
	v_mov_b32_e32 v4, v51
	v_bfi_b32 v6, v6, 0, 0
	v_bfi_b32 v5, v5, 0, v3
	v_cmp_eq_u64_e64 s[26:27], v[5:6], v[7:8]
	v_lshrrev_b64 v[8:9], v2, v[3:4]
	v_mov_b32_e32 v10, v9
	v_mov_b32_e32 v9, v8
	s_and_saveexec_b64 s[36:37], s[26:27]
; %bb.836:                              ;   in Loop: Header=BB6_136 Depth=3
	v_bfe_u32 v3, v8, 20, 1
	v_add_co_u32_e64 v3, s[26:27], v8, v3
	v_add_co_u32_e64 v9, s[26:27], -1, v3
; %bb.837:                              ;   in Loop: Header=BB6_136 Depth=3
	s_or_b64 exec, exec, s[36:37]
	v_add_u32_e32 v1, 0xffffff81, v1
	v_mov_b32_e32 v3, 0xffffff82
	v_cndmask_b32_e32 v1, v1, v3, vcc
	v_lshrrev_b32_e32 v3, 23, v8
	v_add3_u32 v3, v2, v1, v3
	v_add_u32_e32 v2, 6, v3
	v_and_b32_e32 v1, 0xfffff, v9
	v_add_u32_e32 v8, v1, v8
	v_mov_b32_e32 v9, v51
	v_cmp_ne_u32_e32 vcc, 0, v2
                                        ; implicit-def: $vgpr1
	s_and_saveexec_b64 s[26:27], vcc
	s_xor_b64 s[26:27], exec, s[26:27]
; %bb.838:                              ;   in Loop: Header=BB6_136 Depth=3
	v_cmp_lt_u64_e32 vcc, s[88:89], v[8:9]
	v_add_u32_e32 v1, 7, v3
	v_cndmask_b32_e32 v1, v2, v1, vcc
	v_cndmask_b32_e64 v2, 0, 1, vcc
	v_lshrrev_b64 v[8:9], v2, v[8:9]
; %bb.839:                              ;   in Loop: Header=BB6_136 Depth=3
	s_andn2_saveexec_b64 s[26:27], s[26:27]
; %bb.840:                              ;   in Loop: Header=BB6_136 Depth=3
	v_bfe_u32 v1, v8, 23, 1
; %bb.841:                              ;   in Loop: Header=BB6_136 Depth=3
	s_or_b64 exec, exec, s[26:27]
	v_lshrrev_b64 v[2:3], 20, v[8:9]
	v_cmp_gt_i32_e32 vcc, 16, v1
	v_cndmask_b32_e32 v3, 0, v3, vcc
	v_cndmask_b32_e32 v2, 7, v2, vcc
	v_cmp_eq_u32_e32 vcc, 0, v1
	v_min_i32_e32 v1, 15, v1
	v_cmp_eq_u64_e64 s[26:27], 0, v[2:3]
	v_lshlrev_b32_e32 v1, 3, v1
	v_and_b32_e32 v1, 0xf8, v1
	v_and_or_b32 v1, v2, 7, v1
	s_and_b64 s[26:27], vcc, s[26:27]
	v_cndmask_b32_e64 v1, v1, 0, s[26:27]
	v_or_b32_e32 v0, v1, v0
	buffer_store_dword v0, off, s[0:3], s33 offset:216 ; 4-byte Folded Spill
.LBB6_842:                              ;   in Loop: Header=BB6_136 Depth=3
	s_or_b64 exec, exec, s[34:35]
                                        ; implicit-def: $vgpr0
.LBB6_843:                              ;   in Loop: Header=BB6_136 Depth=3
	s_andn2_saveexec_b64 s[26:27], s[30:31]
	s_cbranch_execz .LBB6_845
; %bb.844:                              ;   in Loop: Header=BB6_136 Depth=3
	v_or_b32_e32 v0, 0x7e, v0
	buffer_store_dword v0, off, s[0:3], s33 offset:216 ; 4-byte Folded Spill
.LBB6_845:                              ;   in Loop: Header=BB6_136 Depth=3
	s_or_b64 exec, exec, s[26:27]
                                        ; implicit-def: $vgpr1
.LBB6_846:                              ;   in Loop: Header=BB6_136 Depth=3
	s_andn2_saveexec_b64 s[26:27], s[94:95]
	s_cbranch_execz .LBB6_848
; %bb.847:                              ;   in Loop: Header=BB6_136 Depth=3
	v_or_b32_sdwa v0, v1, s86 dst_sel:DWORD dst_unused:UNUSED_PAD src0_sel:BYTE_3 src1_sel:DWORD
	buffer_store_dword v0, off, s[0:3], s33 offset:216 ; 4-byte Folded Spill
.LBB6_848:                              ;   in Loop: Header=BB6_136 Depth=3
	s_or_b64 exec, exec, s[26:27]
	global_load_dwordx4 v[8:11], v[12:13], off offset:2048 glc slc
	v_mov_b32_e32 v0, 0
	s_waitcnt vmcnt(0)
	v_cmp_ne_u16_sdwa s[94:95], v8, v51 src0_sel:BYTE_0 src1_sel:DWORD
	s_and_saveexec_b64 s[26:27], s[94:95]
	s_cbranch_execz .LBB6_854
; %bb.849:                              ;   in Loop: Header=BB6_136 Depth=3
	v_cmp_ne_u16_sdwa vcc, v8, s96 src0_sel:BYTE_0 src1_sel:DWORD
	v_bfrev_b32_e32 v0, 1
	s_and_saveexec_b64 s[94:95], vcc
	s_cbranch_execz .LBB6_853
; %bb.850:                              ;   in Loop: Header=BB6_136 Depth=3
	v_and_b32_e32 v1, 0x7f, v8
	v_cmp_ne_u32_e32 vcc, s86, v1
	v_mov_b32_e32 v0, 0x7f800001
	s_and_saveexec_b64 s[30:31], vcc
	s_cbranch_execz .LBB6_852
; %bb.851:                              ;   in Loop: Header=BB6_136 Depth=3
	v_and_b32_e32 v0, 7, v8
	v_ffbh_u32_e32 v0, v0
	v_min_u32_e32 v0, 32, v0
	v_lshrrev_b32_e32 v2, 3, v1
	v_cmp_gt_u32_e32 vcc, 8, v1
	v_subrev_u32_e32 v1, 28, v0
	v_sub_u32_e32 v0, 29, v0
	v_cndmask_b32_e32 v2, v2, v0, vcc
	v_cndmask_b32_e32 v0, 0, v1, vcc
	v_lshlrev_b64 v[0:1], v0, v[8:9]
	v_lshlrev_b32_e32 v1, 24, v8
	v_lshlrev_b32_e32 v0, 20, v0
	v_bfrev_b32_e32 v3, 60
	v_and_b32_e32 v0, 0x700000, v0
	v_and_b32_e32 v1, 0x80000000, v1
	v_lshl_add_u32 v2, v2, 23, v3
	v_or3_b32 v0, v1, v2, v0
.LBB6_852:                              ;   in Loop: Header=BB6_136 Depth=3
	s_or_b64 exec, exec, s[30:31]
.LBB6_853:                              ;   in Loop: Header=BB6_136 Depth=3
	s_or_b64 exec, exec, s[94:95]
.LBB6_854:                              ;   in Loop: Header=BB6_136 Depth=3
	s_or_b64 exec, exec, s[26:27]
	v_mul_f32_e32 v1, v18, v0
	v_and_b32_e32 v2, 0x7f800000, v1
	v_mov_b32_e32 v3, v51
	v_cmp_ne_u64_e32 vcc, s[76:77], v[2:3]
                                        ; implicit-def: $vgpr0
                                        ; kill: killed $vgpr0
	s_and_saveexec_b64 s[26:27], vcc
	s_xor_b64 s[94:95], exec, s[26:27]
	s_cbranch_execz .LBB6_868
; %bb.855:                              ;   in Loop: Header=BB6_136 Depth=3
	v_and_b32_e32 v2, 0x7fffffff, v1
	v_mov_b32_e32 v3, v51
	v_cmp_gt_u64_e32 vcc, s[78:79], v[2:3]
	v_and_b32_sdwa v0, v1, s96 dst_sel:DWORD dst_unused:UNUSED_PAD src0_sel:BYTE_3 src1_sel:DWORD
                                        ; implicit-def: $vgpr2
                                        ; kill: killed $vgpr2
	s_and_saveexec_b64 s[26:27], vcc
	s_xor_b64 s[30:31], exec, s[26:27]
	s_cbranch_execz .LBB6_865
; %bb.856:                              ;   in Loop: Header=BB6_136 Depth=3
	v_mov_b32_e32 v2, 0
	v_cmp_ne_u32_e32 vcc, 0, v1
	buffer_store_dword v2, off, s[0:3], s33 offset:220 ; 4-byte Folded Spill
	s_and_saveexec_b64 s[34:35], vcc
	s_cbranch_execz .LBB6_864
; %bb.857:                              ;   in Loop: Header=BB6_136 Depth=3
	v_and_b32_e32 v3, 0x7fffff, v1
	v_bfe_u32 v1, v1, 23, 8
	v_cmp_gt_u32_e64 s[26:27], s97, v1
	v_sub_u32_e32 v2, 0x79, v1
	v_cmp_eq_u32_e32 vcc, 0, v1
	v_cndmask_b32_e64 v2, 0, v2, s[26:27]
	v_mov_b32_e32 v5, 0x78
	v_cndmask_b32_e32 v2, v2, v5, vcc
	v_add_u32_e32 v5, 20, v2
	v_or_b32_e32 v4, 0x800000, v3
	v_lshlrev_b64 v[5:6], v5, -1
	v_add_u32_e32 v7, 19, v2
	v_cndmask_b32_e32 v3, v4, v3, vcc
	v_lshlrev_b64 v[14:15], v7, 1
	v_mov_b32_e32 v4, v51
	v_bfi_b32 v6, v6, 0, 0
	v_bfi_b32 v5, v5, 0, v3
	v_cmp_eq_u64_e64 s[26:27], v[5:6], v[14:15]
	v_lshrrev_b64 v[14:15], v2, v[3:4]
	v_mov_b32_e32 v16, v15
	v_mov_b32_e32 v15, v14
	s_and_saveexec_b64 s[36:37], s[26:27]
; %bb.858:                              ;   in Loop: Header=BB6_136 Depth=3
	v_bfe_u32 v3, v14, 20, 1
	v_add_co_u32_e64 v3, s[26:27], v14, v3
	v_add_co_u32_e64 v15, s[26:27], -1, v3
; %bb.859:                              ;   in Loop: Header=BB6_136 Depth=3
	s_or_b64 exec, exec, s[36:37]
	v_add_u32_e32 v1, 0xffffff81, v1
	v_mov_b32_e32 v3, 0xffffff82
	v_cndmask_b32_e32 v1, v1, v3, vcc
	v_lshrrev_b32_e32 v3, 23, v14
	v_add3_u32 v3, v2, v1, v3
	v_add_u32_e32 v2, 6, v3
	v_and_b32_e32 v1, 0xfffff, v15
	v_add_u32_e32 v14, v1, v14
	v_mov_b32_e32 v15, v51
	v_cmp_ne_u32_e32 vcc, 0, v2
                                        ; implicit-def: $vgpr1
	s_and_saveexec_b64 s[26:27], vcc
	s_xor_b64 s[26:27], exec, s[26:27]
; %bb.860:                              ;   in Loop: Header=BB6_136 Depth=3
	v_cmp_lt_u64_e32 vcc, s[88:89], v[14:15]
	v_add_u32_e32 v1, 7, v3
	v_cndmask_b32_e32 v1, v2, v1, vcc
	v_cndmask_b32_e64 v2, 0, 1, vcc
	v_lshrrev_b64 v[14:15], v2, v[14:15]
; %bb.861:                              ;   in Loop: Header=BB6_136 Depth=3
	s_andn2_saveexec_b64 s[26:27], s[26:27]
; %bb.862:                              ;   in Loop: Header=BB6_136 Depth=3
	v_bfe_u32 v1, v14, 23, 1
; %bb.863:                              ;   in Loop: Header=BB6_136 Depth=3
	s_or_b64 exec, exec, s[26:27]
	v_lshrrev_b64 v[2:3], 20, v[14:15]
	v_cmp_gt_i32_e32 vcc, 16, v1
	v_cndmask_b32_e32 v3, 0, v3, vcc
	v_cndmask_b32_e32 v2, 7, v2, vcc
	v_cmp_eq_u32_e32 vcc, 0, v1
	v_min_i32_e32 v1, 15, v1
	v_cmp_eq_u64_e64 s[26:27], 0, v[2:3]
	v_lshlrev_b32_e32 v1, 3, v1
	v_and_b32_e32 v1, 0xf8, v1
	v_and_or_b32 v1, v2, 7, v1
	s_and_b64 s[26:27], vcc, s[26:27]
	v_cndmask_b32_e64 v1, v1, 0, s[26:27]
	v_or_b32_e32 v0, v1, v0
	buffer_store_dword v0, off, s[0:3], s33 offset:220 ; 4-byte Folded Spill
.LBB6_864:                              ;   in Loop: Header=BB6_136 Depth=3
	s_or_b64 exec, exec, s[34:35]
                                        ; implicit-def: $vgpr0
.LBB6_865:                              ;   in Loop: Header=BB6_136 Depth=3
	s_andn2_saveexec_b64 s[26:27], s[30:31]
	s_cbranch_execz .LBB6_867
; %bb.866:                              ;   in Loop: Header=BB6_136 Depth=3
	v_or_b32_e32 v0, 0x7e, v0
	buffer_store_dword v0, off, s[0:3], s33 offset:220 ; 4-byte Folded Spill
.LBB6_867:                              ;   in Loop: Header=BB6_136 Depth=3
	s_or_b64 exec, exec, s[26:27]
                                        ; implicit-def: $vgpr1
.LBB6_868:                              ;   in Loop: Header=BB6_136 Depth=3
	s_andn2_saveexec_b64 s[26:27], s[94:95]
	s_cbranch_execz .LBB6_870
; %bb.869:                              ;   in Loop: Header=BB6_136 Depth=3
	v_or_b32_sdwa v0, v1, s86 dst_sel:DWORD dst_unused:UNUSED_PAD src0_sel:BYTE_3 src1_sel:DWORD
	buffer_store_dword v0, off, s[0:3], s33 offset:220 ; 4-byte Folded Spill
.LBB6_870:                              ;   in Loop: Header=BB6_136 Depth=3
	s_or_b64 exec, exec, s[26:27]
	v_lshrrev_b16_e32 v14, 8, v8
	v_cmp_ne_u16_e32 vcc, 0, v14
	v_mov_b32_e32 v0, 0
	s_and_saveexec_b64 s[26:27], vcc
	s_cbranch_execz .LBB6_876
; %bb.871:                              ;   in Loop: Header=BB6_136 Depth=3
	v_cmp_ne_u16_e32 vcc, s96, v14
	v_bfrev_b32_e32 v0, 1
	s_and_saveexec_b64 s[94:95], vcc
	s_cbranch_execz .LBB6_875
; %bb.872:                              ;   in Loop: Header=BB6_136 Depth=3
	v_and_b32_e32 v1, 0x7f, v14
	v_cmp_ne_u32_e32 vcc, s86, v1
	v_mov_b32_e32 v0, 0x7f800001
	s_and_saveexec_b64 s[30:31], vcc
	s_cbranch_execz .LBB6_874
; %bb.873:                              ;   in Loop: Header=BB6_136 Depth=3
	v_and_b32_e32 v2, 7, v14
	v_ffbh_u32_e32 v0, v2
	v_min_u32_e32 v4, 32, v0
	v_subrev_u32_e32 v0, 28, v4
	v_lshrrev_b32_e32 v3, 3, v1
	v_cmp_gt_u32_e32 vcc, 8, v1
	v_lshlrev_b64 v[0:1], v0, v[14:15]
	v_sub_u32_e32 v1, 29, v4
	v_and_b32_e32 v0, 7, v0
	v_cndmask_b32_e32 v1, v3, v1, vcc
	v_cndmask_b32_e32 v0, v2, v0, vcc
	v_lshlrev_b32_e32 v2, 16, v8
	v_bfrev_b32_e32 v3, 60
	v_lshlrev_b32_e32 v0, 20, v0
	v_and_b32_e32 v2, 0x80000000, v2
	v_lshl_add_u32 v1, v1, 23, v3
	v_or3_b32 v0, v2, v1, v0
.LBB6_874:                              ;   in Loop: Header=BB6_136 Depth=3
	s_or_b64 exec, exec, s[30:31]
.LBB6_875:                              ;   in Loop: Header=BB6_136 Depth=3
	s_or_b64 exec, exec, s[94:95]
.LBB6_876:                              ;   in Loop: Header=BB6_136 Depth=3
	s_or_b64 exec, exec, s[26:27]
	v_mul_f32_e32 v1, v18, v0
	v_and_b32_e32 v2, 0x7f800000, v1
	v_mov_b32_e32 v3, v51
	v_cmp_ne_u64_e32 vcc, s[76:77], v[2:3]
                                        ; implicit-def: $vgpr0
                                        ; kill: killed $vgpr0
	s_and_saveexec_b64 s[26:27], vcc
	s_xor_b64 s[94:95], exec, s[26:27]
	s_cbranch_execz .LBB6_890
; %bb.877:                              ;   in Loop: Header=BB6_136 Depth=3
	v_and_b32_e32 v2, 0x7fffffff, v1
	v_mov_b32_e32 v3, v51
	v_cmp_gt_u64_e32 vcc, s[78:79], v[2:3]
	v_and_b32_sdwa v0, v1, s96 dst_sel:DWORD dst_unused:UNUSED_PAD src0_sel:BYTE_3 src1_sel:DWORD
                                        ; implicit-def: $vgpr2
                                        ; kill: killed $vgpr2
	s_and_saveexec_b64 s[26:27], vcc
	s_xor_b64 s[30:31], exec, s[26:27]
	s_cbranch_execz .LBB6_887
; %bb.878:                              ;   in Loop: Header=BB6_136 Depth=3
	v_mov_b32_e32 v2, 0
	v_cmp_ne_u32_e32 vcc, 0, v1
	buffer_store_dword v2, off, s[0:3], s33 offset:224 ; 4-byte Folded Spill
	s_and_saveexec_b64 s[34:35], vcc
	s_cbranch_execz .LBB6_886
; %bb.879:                              ;   in Loop: Header=BB6_136 Depth=3
	v_and_b32_e32 v3, 0x7fffff, v1
	v_bfe_u32 v1, v1, 23, 8
	v_cmp_gt_u32_e64 s[26:27], s97, v1
	v_sub_u32_e32 v2, 0x79, v1
	v_cmp_eq_u32_e32 vcc, 0, v1
	v_cndmask_b32_e64 v2, 0, v2, s[26:27]
	v_mov_b32_e32 v5, 0x78
	v_cndmask_b32_e32 v2, v2, v5, vcc
	v_add_u32_e32 v5, 20, v2
	v_or_b32_e32 v4, 0x800000, v3
	v_lshlrev_b64 v[5:6], v5, -1
	v_add_u32_e32 v7, 19, v2
	v_cndmask_b32_e32 v3, v4, v3, vcc
	v_lshlrev_b64 v[14:15], v7, 1
	v_mov_b32_e32 v4, v51
	v_bfi_b32 v6, v6, 0, 0
	v_bfi_b32 v5, v5, 0, v3
	v_cmp_eq_u64_e64 s[26:27], v[5:6], v[14:15]
	v_lshrrev_b64 v[14:15], v2, v[3:4]
	v_mov_b32_e32 v16, v15
	v_mov_b32_e32 v15, v14
	s_and_saveexec_b64 s[36:37], s[26:27]
; %bb.880:                              ;   in Loop: Header=BB6_136 Depth=3
	v_bfe_u32 v3, v14, 20, 1
	v_add_co_u32_e64 v3, s[26:27], v14, v3
	v_add_co_u32_e64 v15, s[26:27], -1, v3
; %bb.881:                              ;   in Loop: Header=BB6_136 Depth=3
	s_or_b64 exec, exec, s[36:37]
	v_add_u32_e32 v1, 0xffffff81, v1
	v_mov_b32_e32 v3, 0xffffff82
	v_cndmask_b32_e32 v1, v1, v3, vcc
	v_lshrrev_b32_e32 v3, 23, v14
	v_add3_u32 v3, v2, v1, v3
	v_add_u32_e32 v2, 6, v3
	v_and_b32_e32 v1, 0xfffff, v15
	v_add_u32_e32 v14, v1, v14
	v_mov_b32_e32 v15, v51
	v_cmp_ne_u32_e32 vcc, 0, v2
                                        ; implicit-def: $vgpr1
	s_and_saveexec_b64 s[26:27], vcc
	s_xor_b64 s[26:27], exec, s[26:27]
; %bb.882:                              ;   in Loop: Header=BB6_136 Depth=3
	v_cmp_lt_u64_e32 vcc, s[88:89], v[14:15]
	v_add_u32_e32 v1, 7, v3
	v_cndmask_b32_e32 v1, v2, v1, vcc
	v_cndmask_b32_e64 v2, 0, 1, vcc
	v_lshrrev_b64 v[14:15], v2, v[14:15]
; %bb.883:                              ;   in Loop: Header=BB6_136 Depth=3
	s_andn2_saveexec_b64 s[26:27], s[26:27]
; %bb.884:                              ;   in Loop: Header=BB6_136 Depth=3
	v_bfe_u32 v1, v14, 23, 1
; %bb.885:                              ;   in Loop: Header=BB6_136 Depth=3
	s_or_b64 exec, exec, s[26:27]
	v_lshrrev_b64 v[2:3], 20, v[14:15]
	v_cmp_gt_i32_e32 vcc, 16, v1
	v_cndmask_b32_e32 v3, 0, v3, vcc
	v_cndmask_b32_e32 v2, 7, v2, vcc
	v_cmp_eq_u32_e32 vcc, 0, v1
	v_min_i32_e32 v1, 15, v1
	v_cmp_eq_u64_e64 s[26:27], 0, v[2:3]
	v_lshlrev_b32_e32 v1, 3, v1
	v_and_b32_e32 v1, 0xf8, v1
	v_and_or_b32 v1, v2, 7, v1
	s_and_b64 s[26:27], vcc, s[26:27]
	v_cndmask_b32_e64 v1, v1, 0, s[26:27]
	v_or_b32_e32 v0, v1, v0
	buffer_store_dword v0, off, s[0:3], s33 offset:224 ; 4-byte Folded Spill
.LBB6_886:                              ;   in Loop: Header=BB6_136 Depth=3
	s_or_b64 exec, exec, s[34:35]
                                        ; implicit-def: $vgpr0
.LBB6_887:                              ;   in Loop: Header=BB6_136 Depth=3
	s_andn2_saveexec_b64 s[26:27], s[30:31]
	s_cbranch_execz .LBB6_889
; %bb.888:                              ;   in Loop: Header=BB6_136 Depth=3
	v_or_b32_e32 v0, 0x7e, v0
	buffer_store_dword v0, off, s[0:3], s33 offset:224 ; 4-byte Folded Spill
.LBB6_889:                              ;   in Loop: Header=BB6_136 Depth=3
	s_or_b64 exec, exec, s[26:27]
                                        ; implicit-def: $vgpr1
.LBB6_890:                              ;   in Loop: Header=BB6_136 Depth=3
	s_andn2_saveexec_b64 s[26:27], s[94:95]
	s_cbranch_execz .LBB6_892
; %bb.891:                              ;   in Loop: Header=BB6_136 Depth=3
	v_or_b32_sdwa v0, v1, s86 dst_sel:DWORD dst_unused:UNUSED_PAD src0_sel:BYTE_3 src1_sel:DWORD
	buffer_store_dword v0, off, s[0:3], s33 offset:224 ; 4-byte Folded Spill
.LBB6_892:                              ;   in Loop: Header=BB6_136 Depth=3
	s_or_b64 exec, exec, s[26:27]
	v_lshrrev_b32_e32 v14, 16, v8
	v_cmp_ne_u16_sdwa s[94:95], v14, v51 src0_sel:BYTE_0 src1_sel:DWORD
	v_mov_b32_e32 v0, 0
	s_and_saveexec_b64 s[26:27], s[94:95]
	s_cbranch_execz .LBB6_898
; %bb.893:                              ;   in Loop: Header=BB6_136 Depth=3
	v_cmp_ne_u16_sdwa vcc, v14, s96 src0_sel:BYTE_0 src1_sel:DWORD
	v_bfrev_b32_e32 v0, 1
	s_and_saveexec_b64 s[94:95], vcc
	s_cbranch_execz .LBB6_897
; %bb.894:                              ;   in Loop: Header=BB6_136 Depth=3
	v_bfe_u32 v1, v8, 16, 7
	v_cmp_ne_u32_e32 vcc, s86, v1
	v_mov_b32_e32 v0, 0x7f800001
	s_and_saveexec_b64 s[30:31], vcc
	s_cbranch_execz .LBB6_896
; %bb.895:                              ;   in Loop: Header=BB6_136 Depth=3
	v_and_b32_e32 v2, 7, v14
	v_ffbh_u32_e32 v0, v2
	v_min_u32_e32 v4, 32, v0
	v_subrev_u32_e32 v0, 28, v4
	v_lshrrev_b32_e32 v3, 3, v1
	v_cmp_gt_u32_e32 vcc, 8, v1
	v_lshlrev_b64 v[0:1], v0, v[14:15]
	v_sub_u32_e32 v1, 29, v4
	v_and_b32_e32 v0, 7, v0
	v_cndmask_b32_e32 v1, v3, v1, vcc
	v_cndmask_b32_e32 v0, v2, v0, vcc
	v_lshlrev_b32_e32 v2, 24, v14
	v_bfrev_b32_e32 v3, 60
	v_lshlrev_b32_e32 v0, 20, v0
	v_and_b32_e32 v2, 0x80000000, v2
	v_lshl_add_u32 v1, v1, 23, v3
	v_or3_b32 v0, v2, v1, v0
.LBB6_896:                              ;   in Loop: Header=BB6_136 Depth=3
	s_or_b64 exec, exec, s[30:31]
.LBB6_897:                              ;   in Loop: Header=BB6_136 Depth=3
	s_or_b64 exec, exec, s[94:95]
.LBB6_898:                              ;   in Loop: Header=BB6_136 Depth=3
	s_or_b64 exec, exec, s[26:27]
	v_mul_f32_e32 v1, v18, v0
	v_and_b32_e32 v2, 0x7f800000, v1
	v_mov_b32_e32 v3, v51
	v_cmp_ne_u64_e32 vcc, s[76:77], v[2:3]
                                        ; implicit-def: $vgpr0
                                        ; kill: killed $vgpr0
	s_and_saveexec_b64 s[26:27], vcc
	s_xor_b64 s[94:95], exec, s[26:27]
	s_cbranch_execz .LBB6_912
; %bb.899:                              ;   in Loop: Header=BB6_136 Depth=3
	v_and_b32_e32 v2, 0x7fffffff, v1
	v_mov_b32_e32 v3, v51
	v_cmp_gt_u64_e32 vcc, s[78:79], v[2:3]
	v_and_b32_sdwa v0, v1, s96 dst_sel:DWORD dst_unused:UNUSED_PAD src0_sel:BYTE_3 src1_sel:DWORD
                                        ; implicit-def: $vgpr2
                                        ; kill: killed $vgpr2
	s_and_saveexec_b64 s[26:27], vcc
	s_xor_b64 s[30:31], exec, s[26:27]
	s_cbranch_execz .LBB6_909
; %bb.900:                              ;   in Loop: Header=BB6_136 Depth=3
	v_mov_b32_e32 v2, 0
	v_cmp_ne_u32_e32 vcc, 0, v1
	buffer_store_dword v2, off, s[0:3], s33 offset:228 ; 4-byte Folded Spill
	s_and_saveexec_b64 s[34:35], vcc
	s_cbranch_execz .LBB6_908
; %bb.901:                              ;   in Loop: Header=BB6_136 Depth=3
	v_and_b32_e32 v3, 0x7fffff, v1
	v_bfe_u32 v1, v1, 23, 8
	v_cmp_gt_u32_e64 s[26:27], s97, v1
	v_sub_u32_e32 v2, 0x79, v1
	v_cmp_eq_u32_e32 vcc, 0, v1
	v_cndmask_b32_e64 v2, 0, v2, s[26:27]
	v_mov_b32_e32 v5, 0x78
	v_cndmask_b32_e32 v2, v2, v5, vcc
	v_add_u32_e32 v5, 20, v2
	v_or_b32_e32 v4, 0x800000, v3
	v_lshlrev_b64 v[5:6], v5, -1
	v_add_u32_e32 v7, 19, v2
	v_cndmask_b32_e32 v3, v4, v3, vcc
	v_lshlrev_b64 v[14:15], v7, 1
	v_mov_b32_e32 v4, v51
	v_bfi_b32 v6, v6, 0, 0
	v_bfi_b32 v5, v5, 0, v3
	v_cmp_eq_u64_e64 s[26:27], v[5:6], v[14:15]
	v_lshrrev_b64 v[14:15], v2, v[3:4]
	v_mov_b32_e32 v16, v15
	v_mov_b32_e32 v15, v14
	s_and_saveexec_b64 s[36:37], s[26:27]
; %bb.902:                              ;   in Loop: Header=BB6_136 Depth=3
	v_bfe_u32 v3, v14, 20, 1
	v_add_co_u32_e64 v3, s[26:27], v14, v3
	v_add_co_u32_e64 v15, s[26:27], -1, v3
; %bb.903:                              ;   in Loop: Header=BB6_136 Depth=3
	s_or_b64 exec, exec, s[36:37]
	v_add_u32_e32 v1, 0xffffff81, v1
	v_mov_b32_e32 v3, 0xffffff82
	v_cndmask_b32_e32 v1, v1, v3, vcc
	v_lshrrev_b32_e32 v3, 23, v14
	v_add3_u32 v3, v2, v1, v3
	v_add_u32_e32 v2, 6, v3
	v_and_b32_e32 v1, 0xfffff, v15
	v_add_u32_e32 v14, v1, v14
	v_mov_b32_e32 v15, v51
	v_cmp_ne_u32_e32 vcc, 0, v2
                                        ; implicit-def: $vgpr1
	s_and_saveexec_b64 s[26:27], vcc
	s_xor_b64 s[26:27], exec, s[26:27]
; %bb.904:                              ;   in Loop: Header=BB6_136 Depth=3
	v_cmp_lt_u64_e32 vcc, s[88:89], v[14:15]
	v_add_u32_e32 v1, 7, v3
	v_cndmask_b32_e32 v1, v2, v1, vcc
	v_cndmask_b32_e64 v2, 0, 1, vcc
	v_lshrrev_b64 v[14:15], v2, v[14:15]
; %bb.905:                              ;   in Loop: Header=BB6_136 Depth=3
	s_andn2_saveexec_b64 s[26:27], s[26:27]
; %bb.906:                              ;   in Loop: Header=BB6_136 Depth=3
	v_bfe_u32 v1, v14, 23, 1
; %bb.907:                              ;   in Loop: Header=BB6_136 Depth=3
	s_or_b64 exec, exec, s[26:27]
	v_lshrrev_b64 v[2:3], 20, v[14:15]
	v_cmp_gt_i32_e32 vcc, 16, v1
	v_cndmask_b32_e32 v3, 0, v3, vcc
	v_cndmask_b32_e32 v2, 7, v2, vcc
	v_cmp_eq_u32_e32 vcc, 0, v1
	v_min_i32_e32 v1, 15, v1
	v_cmp_eq_u64_e64 s[26:27], 0, v[2:3]
	v_lshlrev_b32_e32 v1, 3, v1
	v_and_b32_e32 v1, 0xf8, v1
	v_and_or_b32 v1, v2, 7, v1
	s_and_b64 s[26:27], vcc, s[26:27]
	v_cndmask_b32_e64 v1, v1, 0, s[26:27]
	v_or_b32_e32 v0, v1, v0
	buffer_store_dword v0, off, s[0:3], s33 offset:228 ; 4-byte Folded Spill
.LBB6_908:                              ;   in Loop: Header=BB6_136 Depth=3
	s_or_b64 exec, exec, s[34:35]
                                        ; implicit-def: $vgpr0
.LBB6_909:                              ;   in Loop: Header=BB6_136 Depth=3
	s_andn2_saveexec_b64 s[26:27], s[30:31]
	s_cbranch_execz .LBB6_911
; %bb.910:                              ;   in Loop: Header=BB6_136 Depth=3
	v_or_b32_e32 v0, 0x7e, v0
	buffer_store_dword v0, off, s[0:3], s33 offset:228 ; 4-byte Folded Spill
.LBB6_911:                              ;   in Loop: Header=BB6_136 Depth=3
	s_or_b64 exec, exec, s[26:27]
                                        ; implicit-def: $vgpr1
.LBB6_912:                              ;   in Loop: Header=BB6_136 Depth=3
	s_andn2_saveexec_b64 s[26:27], s[94:95]
	s_cbranch_execz .LBB6_914
; %bb.913:                              ;   in Loop: Header=BB6_136 Depth=3
	v_or_b32_sdwa v0, v1, s86 dst_sel:DWORD dst_unused:UNUSED_PAD src0_sel:BYTE_3 src1_sel:DWORD
	buffer_store_dword v0, off, s[0:3], s33 offset:228 ; 4-byte Folded Spill
.LBB6_914:                              ;   in Loop: Header=BB6_136 Depth=3
	s_or_b64 exec, exec, s[26:27]
	v_cmp_lt_u32_e32 vcc, s57, v8
	v_mov_b32_e32 v0, 0
	s_and_saveexec_b64 s[26:27], vcc
	s_cbranch_execz .LBB6_920
; %bb.915:                              ;   in Loop: Header=BB6_136 Depth=3
	v_lshrrev_b32_e32 v14, 24, v8
	v_cmp_ne_u32_e32 vcc, s96, v14
	v_bfrev_b32_e32 v0, 1
	s_and_saveexec_b64 s[94:95], vcc
	s_cbranch_execz .LBB6_919
; %bb.916:                              ;   in Loop: Header=BB6_136 Depth=3
	v_bfe_u32 v1, v8, 24, 7
	v_cmp_ne_u32_e32 vcc, s86, v1
	v_mov_b32_e32 v0, 0x7f800001
	s_and_saveexec_b64 s[30:31], vcc
	s_cbranch_execz .LBB6_918
; %bb.917:                              ;   in Loop: Header=BB6_136 Depth=3
	v_and_b32_e32 v2, 7, v14
	v_ffbh_u32_e32 v0, v2
	v_min_u32_e32 v4, 32, v0
	v_subrev_u32_e32 v0, 28, v4
	v_lshrrev_b32_e32 v3, 3, v1
	v_cmp_gt_u32_e32 vcc, 8, v1
	v_lshlrev_b64 v[0:1], v0, v[14:15]
	v_sub_u32_e32 v1, 29, v4
	v_and_b32_e32 v0, 7, v0
	v_cndmask_b32_e32 v1, v3, v1, vcc
	v_cndmask_b32_e32 v0, v2, v0, vcc
	v_lshlrev_b32_e32 v2, 24, v14
	v_bfrev_b32_e32 v3, 60
	v_lshlrev_b32_e32 v0, 20, v0
	v_and_b32_e32 v2, 0x80000000, v2
	v_lshl_add_u32 v1, v1, 23, v3
	v_or3_b32 v0, v2, v1, v0
.LBB6_918:                              ;   in Loop: Header=BB6_136 Depth=3
	s_or_b64 exec, exec, s[30:31]
.LBB6_919:                              ;   in Loop: Header=BB6_136 Depth=3
	s_or_b64 exec, exec, s[94:95]
.LBB6_920:                              ;   in Loop: Header=BB6_136 Depth=3
	s_or_b64 exec, exec, s[26:27]
	v_mul_f32_e32 v1, v18, v0
	v_and_b32_e32 v2, 0x7f800000, v1
	v_mov_b32_e32 v3, v51
	v_cmp_ne_u64_e32 vcc, s[76:77], v[2:3]
                                        ; implicit-def: $vgpr0
                                        ; kill: killed $vgpr0
	s_and_saveexec_b64 s[26:27], vcc
	s_xor_b64 s[94:95], exec, s[26:27]
	s_cbranch_execz .LBB6_934
; %bb.921:                              ;   in Loop: Header=BB6_136 Depth=3
	v_and_b32_e32 v2, 0x7fffffff, v1
	v_mov_b32_e32 v3, v51
	v_cmp_gt_u64_e32 vcc, s[78:79], v[2:3]
	v_and_b32_sdwa v0, v1, s96 dst_sel:DWORD dst_unused:UNUSED_PAD src0_sel:BYTE_3 src1_sel:DWORD
                                        ; implicit-def: $vgpr2
                                        ; kill: killed $vgpr2
	s_and_saveexec_b64 s[26:27], vcc
	s_xor_b64 s[30:31], exec, s[26:27]
	s_cbranch_execz .LBB6_931
; %bb.922:                              ;   in Loop: Header=BB6_136 Depth=3
	v_mov_b32_e32 v2, 0
	v_cmp_ne_u32_e32 vcc, 0, v1
	buffer_store_dword v2, off, s[0:3], s33 offset:232 ; 4-byte Folded Spill
	s_and_saveexec_b64 s[34:35], vcc
	s_cbranch_execz .LBB6_930
; %bb.923:                              ;   in Loop: Header=BB6_136 Depth=3
	v_and_b32_e32 v3, 0x7fffff, v1
	v_bfe_u32 v1, v1, 23, 8
	v_cmp_gt_u32_e64 s[26:27], s97, v1
	v_sub_u32_e32 v2, 0x79, v1
	v_cmp_eq_u32_e32 vcc, 0, v1
	v_cndmask_b32_e64 v2, 0, v2, s[26:27]
	v_mov_b32_e32 v5, 0x78
	v_cndmask_b32_e32 v2, v2, v5, vcc
	v_add_u32_e32 v5, 20, v2
	v_or_b32_e32 v4, 0x800000, v3
	v_lshlrev_b64 v[5:6], v5, -1
	v_add_u32_e32 v7, 19, v2
	v_cndmask_b32_e32 v3, v4, v3, vcc
	v_lshlrev_b64 v[14:15], v7, 1
	v_mov_b32_e32 v4, v51
	v_bfi_b32 v6, v6, 0, 0
	v_bfi_b32 v5, v5, 0, v3
	v_cmp_eq_u64_e64 s[26:27], v[5:6], v[14:15]
	v_lshrrev_b64 v[14:15], v2, v[3:4]
	v_mov_b32_e32 v16, v15
	v_mov_b32_e32 v15, v14
	s_and_saveexec_b64 s[36:37], s[26:27]
; %bb.924:                              ;   in Loop: Header=BB6_136 Depth=3
	v_bfe_u32 v3, v14, 20, 1
	v_add_co_u32_e64 v3, s[26:27], v14, v3
	v_add_co_u32_e64 v15, s[26:27], -1, v3
; %bb.925:                              ;   in Loop: Header=BB6_136 Depth=3
	s_or_b64 exec, exec, s[36:37]
	v_add_u32_e32 v1, 0xffffff81, v1
	v_mov_b32_e32 v3, 0xffffff82
	v_cndmask_b32_e32 v1, v1, v3, vcc
	v_lshrrev_b32_e32 v3, 23, v14
	v_add3_u32 v3, v2, v1, v3
	v_add_u32_e32 v2, 6, v3
	v_and_b32_e32 v1, 0xfffff, v15
	v_add_u32_e32 v14, v1, v14
	v_mov_b32_e32 v15, v51
	v_cmp_ne_u32_e32 vcc, 0, v2
                                        ; implicit-def: $vgpr1
	s_and_saveexec_b64 s[26:27], vcc
	s_xor_b64 s[26:27], exec, s[26:27]
; %bb.926:                              ;   in Loop: Header=BB6_136 Depth=3
	v_cmp_lt_u64_e32 vcc, s[88:89], v[14:15]
	v_add_u32_e32 v1, 7, v3
	v_cndmask_b32_e32 v1, v2, v1, vcc
	v_cndmask_b32_e64 v2, 0, 1, vcc
	v_lshrrev_b64 v[14:15], v2, v[14:15]
; %bb.927:                              ;   in Loop: Header=BB6_136 Depth=3
	s_andn2_saveexec_b64 s[26:27], s[26:27]
; %bb.928:                              ;   in Loop: Header=BB6_136 Depth=3
	v_bfe_u32 v1, v14, 23, 1
; %bb.929:                              ;   in Loop: Header=BB6_136 Depth=3
	s_or_b64 exec, exec, s[26:27]
	v_lshrrev_b64 v[2:3], 20, v[14:15]
	v_cmp_gt_i32_e32 vcc, 16, v1
	v_cndmask_b32_e32 v3, 0, v3, vcc
	v_cndmask_b32_e32 v2, 7, v2, vcc
	v_cmp_eq_u32_e32 vcc, 0, v1
	v_min_i32_e32 v1, 15, v1
	v_cmp_eq_u64_e64 s[26:27], 0, v[2:3]
	v_lshlrev_b32_e32 v1, 3, v1
	v_and_b32_e32 v1, 0xf8, v1
	v_and_or_b32 v1, v2, 7, v1
	s_and_b64 s[26:27], vcc, s[26:27]
	v_cndmask_b32_e64 v1, v1, 0, s[26:27]
	v_or_b32_e32 v0, v1, v0
	buffer_store_dword v0, off, s[0:3], s33 offset:232 ; 4-byte Folded Spill
.LBB6_930:                              ;   in Loop: Header=BB6_136 Depth=3
	s_or_b64 exec, exec, s[34:35]
                                        ; implicit-def: $vgpr0
.LBB6_931:                              ;   in Loop: Header=BB6_136 Depth=3
	s_andn2_saveexec_b64 s[26:27], s[30:31]
	s_cbranch_execz .LBB6_933
; %bb.932:                              ;   in Loop: Header=BB6_136 Depth=3
	v_or_b32_e32 v0, 0x7e, v0
	buffer_store_dword v0, off, s[0:3], s33 offset:232 ; 4-byte Folded Spill
.LBB6_933:                              ;   in Loop: Header=BB6_136 Depth=3
	s_or_b64 exec, exec, s[26:27]
                                        ; implicit-def: $vgpr1
.LBB6_934:                              ;   in Loop: Header=BB6_136 Depth=3
	s_andn2_saveexec_b64 s[26:27], s[94:95]
	s_cbranch_execz .LBB6_936
; %bb.935:                              ;   in Loop: Header=BB6_136 Depth=3
	v_or_b32_sdwa v0, v1, s86 dst_sel:DWORD dst_unused:UNUSED_PAD src0_sel:BYTE_3 src1_sel:DWORD
	buffer_store_dword v0, off, s[0:3], s33 offset:232 ; 4-byte Folded Spill
.LBB6_936:                              ;   in Loop: Header=BB6_136 Depth=3
	s_or_b64 exec, exec, s[26:27]
	v_mov_b32_e32 v14, v9
	v_mov_b32_e32 v15, v51
	v_cmp_ne_u16_sdwa s[94:95], v9, v51 src0_sel:BYTE_0 src1_sel:DWORD
	v_mov_b32_e32 v0, 0
	s_and_saveexec_b64 s[26:27], s[94:95]
	s_cbranch_execz .LBB6_942
; %bb.937:                              ;   in Loop: Header=BB6_136 Depth=3
	v_cmp_ne_u16_sdwa vcc, v9, s96 src0_sel:BYTE_0 src1_sel:DWORD
	v_bfrev_b32_e32 v0, 1
	s_and_saveexec_b64 s[94:95], vcc
	s_cbranch_execz .LBB6_941
; %bb.938:                              ;   in Loop: Header=BB6_136 Depth=3
	v_and_b32_e32 v1, 0x7f, v9
	v_cmp_ne_u32_e32 vcc, s86, v1
	v_mov_b32_e32 v0, 0x7f800001
	s_and_saveexec_b64 s[30:31], vcc
	s_cbranch_execz .LBB6_940
; %bb.939:                              ;   in Loop: Header=BB6_136 Depth=3
	v_and_b32_e32 v0, 7, v9
	v_ffbh_u32_e32 v0, v0
	v_min_u32_e32 v0, 32, v0
	v_lshrrev_b32_e32 v2, 3, v1
	v_cmp_gt_u32_e32 vcc, 8, v1
	v_subrev_u32_e32 v1, 28, v0
	v_sub_u32_e32 v0, 29, v0
	v_cndmask_b32_e32 v2, v2, v0, vcc
	v_cndmask_b32_e32 v0, 0, v1, vcc
	v_lshlrev_b64 v[0:1], v0, v[14:15]
	v_lshlrev_b32_e32 v1, 24, v14
	v_lshlrev_b32_e32 v0, 20, v0
	v_bfrev_b32_e32 v3, 60
	v_and_b32_e32 v0, 0x700000, v0
	v_and_b32_e32 v1, 0x80000000, v1
	v_lshl_add_u32 v2, v2, 23, v3
	v_or3_b32 v0, v1, v2, v0
.LBB6_940:                              ;   in Loop: Header=BB6_136 Depth=3
	s_or_b64 exec, exec, s[30:31]
.LBB6_941:                              ;   in Loop: Header=BB6_136 Depth=3
	s_or_b64 exec, exec, s[94:95]
.LBB6_942:                              ;   in Loop: Header=BB6_136 Depth=3
	s_or_b64 exec, exec, s[26:27]
	v_mul_f32_e32 v1, v18, v0
	v_and_b32_e32 v2, 0x7f800000, v1
	v_mov_b32_e32 v3, v51
	v_cmp_ne_u64_e32 vcc, s[76:77], v[2:3]
                                        ; implicit-def: $vgpr0
                                        ; kill: killed $vgpr0
	s_and_saveexec_b64 s[26:27], vcc
	s_xor_b64 s[94:95], exec, s[26:27]
	s_cbranch_execz .LBB6_956
; %bb.943:                              ;   in Loop: Header=BB6_136 Depth=3
	v_and_b32_e32 v2, 0x7fffffff, v1
	v_mov_b32_e32 v3, v51
	v_cmp_gt_u64_e32 vcc, s[78:79], v[2:3]
	v_and_b32_sdwa v0, v1, s96 dst_sel:DWORD dst_unused:UNUSED_PAD src0_sel:BYTE_3 src1_sel:DWORD
                                        ; implicit-def: $vgpr2
                                        ; kill: killed $vgpr2
	s_and_saveexec_b64 s[26:27], vcc
	s_xor_b64 s[30:31], exec, s[26:27]
	s_cbranch_execz .LBB6_953
; %bb.944:                              ;   in Loop: Header=BB6_136 Depth=3
	v_mov_b32_e32 v2, 0
	v_cmp_ne_u32_e32 vcc, 0, v1
	buffer_store_dword v2, off, s[0:3], s33 offset:236 ; 4-byte Folded Spill
	s_and_saveexec_b64 s[34:35], vcc
	s_cbranch_execz .LBB6_952
; %bb.945:                              ;   in Loop: Header=BB6_136 Depth=3
	v_and_b32_e32 v3, 0x7fffff, v1
	v_bfe_u32 v1, v1, 23, 8
	v_cmp_gt_u32_e64 s[26:27], s97, v1
	v_sub_u32_e32 v2, 0x79, v1
	v_cmp_eq_u32_e32 vcc, 0, v1
	v_cndmask_b32_e64 v2, 0, v2, s[26:27]
	v_mov_b32_e32 v5, 0x78
	v_cndmask_b32_e32 v2, v2, v5, vcc
	v_add_u32_e32 v5, 20, v2
	v_or_b32_e32 v4, 0x800000, v3
	v_lshlrev_b64 v[5:6], v5, -1
	v_add_u32_e32 v7, 19, v2
	v_cndmask_b32_e32 v3, v4, v3, vcc
	v_lshlrev_b64 v[15:16], v7, 1
	v_mov_b32_e32 v4, v51
	v_bfi_b32 v6, v6, 0, 0
	v_bfi_b32 v5, v5, 0, v3
	v_cmp_eq_u64_e64 s[26:27], v[5:6], v[15:16]
	v_lshrrev_b64 v[15:16], v2, v[3:4]
	v_mov_b32_e32 v17, v16
	v_mov_b32_e32 v16, v15
	s_and_saveexec_b64 s[36:37], s[26:27]
; %bb.946:                              ;   in Loop: Header=BB6_136 Depth=3
	v_bfe_u32 v3, v15, 20, 1
	v_add_co_u32_e64 v3, s[26:27], v15, v3
	v_add_co_u32_e64 v16, s[26:27], -1, v3
; %bb.947:                              ;   in Loop: Header=BB6_136 Depth=3
	s_or_b64 exec, exec, s[36:37]
	v_add_u32_e32 v1, 0xffffff81, v1
	v_mov_b32_e32 v3, 0xffffff82
	v_cndmask_b32_e32 v1, v1, v3, vcc
	v_lshrrev_b32_e32 v3, 23, v15
	v_add3_u32 v3, v2, v1, v3
	v_add_u32_e32 v2, 6, v3
	v_and_b32_e32 v1, 0xfffff, v16
	v_add_u32_e32 v15, v1, v15
	v_mov_b32_e32 v16, v51
	v_cmp_ne_u32_e32 vcc, 0, v2
                                        ; implicit-def: $vgpr1
	s_and_saveexec_b64 s[26:27], vcc
	s_xor_b64 s[26:27], exec, s[26:27]
; %bb.948:                              ;   in Loop: Header=BB6_136 Depth=3
	v_cmp_lt_u64_e32 vcc, s[88:89], v[15:16]
	v_add_u32_e32 v1, 7, v3
	v_cndmask_b32_e32 v1, v2, v1, vcc
	v_cndmask_b32_e64 v2, 0, 1, vcc
	v_lshrrev_b64 v[15:16], v2, v[15:16]
; %bb.949:                              ;   in Loop: Header=BB6_136 Depth=3
	s_andn2_saveexec_b64 s[26:27], s[26:27]
; %bb.950:                              ;   in Loop: Header=BB6_136 Depth=3
	v_bfe_u32 v1, v15, 23, 1
; %bb.951:                              ;   in Loop: Header=BB6_136 Depth=3
	s_or_b64 exec, exec, s[26:27]
	v_lshrrev_b64 v[2:3], 20, v[15:16]
	v_cmp_gt_i32_e32 vcc, 16, v1
	v_cndmask_b32_e32 v3, 0, v3, vcc
	v_cndmask_b32_e32 v2, 7, v2, vcc
	v_cmp_eq_u32_e32 vcc, 0, v1
	v_min_i32_e32 v1, 15, v1
	v_cmp_eq_u64_e64 s[26:27], 0, v[2:3]
	v_lshlrev_b32_e32 v1, 3, v1
	v_and_b32_e32 v1, 0xf8, v1
	v_and_or_b32 v1, v2, 7, v1
	s_and_b64 s[26:27], vcc, s[26:27]
	v_cndmask_b32_e64 v1, v1, 0, s[26:27]
	v_or_b32_e32 v0, v1, v0
	buffer_store_dword v0, off, s[0:3], s33 offset:236 ; 4-byte Folded Spill
.LBB6_952:                              ;   in Loop: Header=BB6_136 Depth=3
	s_or_b64 exec, exec, s[34:35]
                                        ; implicit-def: $vgpr0
.LBB6_953:                              ;   in Loop: Header=BB6_136 Depth=3
	s_andn2_saveexec_b64 s[26:27], s[30:31]
	s_cbranch_execz .LBB6_955
; %bb.954:                              ;   in Loop: Header=BB6_136 Depth=3
	v_or_b32_e32 v0, 0x7e, v0
	buffer_store_dword v0, off, s[0:3], s33 offset:236 ; 4-byte Folded Spill
.LBB6_955:                              ;   in Loop: Header=BB6_136 Depth=3
	s_or_b64 exec, exec, s[26:27]
                                        ; implicit-def: $vgpr1
.LBB6_956:                              ;   in Loop: Header=BB6_136 Depth=3
	s_andn2_saveexec_b64 s[26:27], s[94:95]
	s_cbranch_execz .LBB6_958
; %bb.957:                              ;   in Loop: Header=BB6_136 Depth=3
	v_or_b32_sdwa v0, v1, s86 dst_sel:DWORD dst_unused:UNUSED_PAD src0_sel:BYTE_3 src1_sel:DWORD
	buffer_store_dword v0, off, s[0:3], s33 offset:236 ; 4-byte Folded Spill
.LBB6_958:                              ;   in Loop: Header=BB6_136 Depth=3
	s_or_b64 exec, exec, s[26:27]
	v_lshrrev_b16_e32 v15, 8, v14
	v_cmp_ne_u16_e32 vcc, 0, v15
	v_mov_b32_e32 v0, 0
	s_and_saveexec_b64 s[26:27], vcc
	s_cbranch_execz .LBB6_964
; %bb.959:                              ;   in Loop: Header=BB6_136 Depth=3
	v_cmp_ne_u16_e32 vcc, s96, v15
	v_bfrev_b32_e32 v0, 1
	s_and_saveexec_b64 s[94:95], vcc
	s_cbranch_execz .LBB6_963
; %bb.960:                              ;   in Loop: Header=BB6_136 Depth=3
	v_and_b32_e32 v1, 0x7f, v15
	v_cmp_ne_u32_e32 vcc, s86, v1
	v_mov_b32_e32 v0, 0x7f800001
	s_and_saveexec_b64 s[30:31], vcc
	s_cbranch_execz .LBB6_962
; %bb.961:                              ;   in Loop: Header=BB6_136 Depth=3
	v_and_b32_e32 v2, 7, v15
	v_ffbh_u32_e32 v0, v2
	v_min_u32_e32 v4, 32, v0
	v_subrev_u32_e32 v0, 28, v4
	v_lshrrev_b32_e32 v3, 3, v1
	v_cmp_gt_u32_e32 vcc, 8, v1
	v_lshlrev_b64 v[0:1], v0, v[15:16]
	v_sub_u32_e32 v1, 29, v4
	v_and_b32_e32 v0, 7, v0
	v_cndmask_b32_e32 v1, v3, v1, vcc
	v_cndmask_b32_e32 v0, v2, v0, vcc
	v_lshlrev_b32_e32 v2, 16, v14
	v_bfrev_b32_e32 v3, 60
	v_lshlrev_b32_e32 v0, 20, v0
	v_and_b32_e32 v2, 0x80000000, v2
	v_lshl_add_u32 v1, v1, 23, v3
	v_or3_b32 v0, v2, v1, v0
.LBB6_962:                              ;   in Loop: Header=BB6_136 Depth=3
	s_or_b64 exec, exec, s[30:31]
.LBB6_963:                              ;   in Loop: Header=BB6_136 Depth=3
	s_or_b64 exec, exec, s[94:95]
.LBB6_964:                              ;   in Loop: Header=BB6_136 Depth=3
	s_or_b64 exec, exec, s[26:27]
	v_mul_f32_e32 v1, v18, v0
	v_and_b32_e32 v2, 0x7f800000, v1
	v_mov_b32_e32 v3, v51
	v_cmp_ne_u64_e32 vcc, s[76:77], v[2:3]
                                        ; implicit-def: $vgpr0
                                        ; kill: killed $vgpr0
	s_and_saveexec_b64 s[26:27], vcc
	s_xor_b64 s[94:95], exec, s[26:27]
	s_cbranch_execz .LBB6_978
; %bb.965:                              ;   in Loop: Header=BB6_136 Depth=3
	v_and_b32_e32 v2, 0x7fffffff, v1
	v_mov_b32_e32 v3, v51
	v_cmp_gt_u64_e32 vcc, s[78:79], v[2:3]
	v_and_b32_sdwa v0, v1, s96 dst_sel:DWORD dst_unused:UNUSED_PAD src0_sel:BYTE_3 src1_sel:DWORD
                                        ; implicit-def: $vgpr2
                                        ; kill: killed $vgpr2
	s_and_saveexec_b64 s[26:27], vcc
	s_xor_b64 s[30:31], exec, s[26:27]
	s_cbranch_execz .LBB6_975
; %bb.966:                              ;   in Loop: Header=BB6_136 Depth=3
	v_mov_b32_e32 v2, 0
	v_cmp_ne_u32_e32 vcc, 0, v1
	buffer_store_dword v2, off, s[0:3], s33 offset:240 ; 4-byte Folded Spill
	s_and_saveexec_b64 s[34:35], vcc
	s_cbranch_execz .LBB6_974
; %bb.967:                              ;   in Loop: Header=BB6_136 Depth=3
	v_and_b32_e32 v3, 0x7fffff, v1
	v_bfe_u32 v1, v1, 23, 8
	v_cmp_gt_u32_e64 s[26:27], s97, v1
	v_sub_u32_e32 v2, 0x79, v1
	v_cmp_eq_u32_e32 vcc, 0, v1
	v_cndmask_b32_e64 v2, 0, v2, s[26:27]
	v_mov_b32_e32 v5, 0x78
	v_cndmask_b32_e32 v2, v2, v5, vcc
	v_add_u32_e32 v5, 20, v2
	v_or_b32_e32 v4, 0x800000, v3
	v_lshlrev_b64 v[5:6], v5, -1
	v_add_u32_e32 v7, 19, v2
	v_cndmask_b32_e32 v3, v4, v3, vcc
	v_lshlrev_b64 v[14:15], v7, 1
	v_mov_b32_e32 v4, v51
	v_bfi_b32 v6, v6, 0, 0
	v_bfi_b32 v5, v5, 0, v3
	v_cmp_eq_u64_e64 s[26:27], v[5:6], v[14:15]
	v_lshrrev_b64 v[14:15], v2, v[3:4]
	v_mov_b32_e32 v16, v15
	v_mov_b32_e32 v15, v14
	s_and_saveexec_b64 s[36:37], s[26:27]
; %bb.968:                              ;   in Loop: Header=BB6_136 Depth=3
	v_bfe_u32 v3, v14, 20, 1
	v_add_co_u32_e64 v3, s[26:27], v14, v3
	v_add_co_u32_e64 v15, s[26:27], -1, v3
; %bb.969:                              ;   in Loop: Header=BB6_136 Depth=3
	s_or_b64 exec, exec, s[36:37]
	v_add_u32_e32 v1, 0xffffff81, v1
	v_mov_b32_e32 v3, 0xffffff82
	v_cndmask_b32_e32 v1, v1, v3, vcc
	v_lshrrev_b32_e32 v3, 23, v14
	v_add3_u32 v3, v2, v1, v3
	v_add_u32_e32 v2, 6, v3
	v_and_b32_e32 v1, 0xfffff, v15
	v_add_u32_e32 v14, v1, v14
	v_mov_b32_e32 v15, v51
	v_cmp_ne_u32_e32 vcc, 0, v2
                                        ; implicit-def: $vgpr1
	s_and_saveexec_b64 s[26:27], vcc
	s_xor_b64 s[26:27], exec, s[26:27]
; %bb.970:                              ;   in Loop: Header=BB6_136 Depth=3
	v_cmp_lt_u64_e32 vcc, s[88:89], v[14:15]
	v_add_u32_e32 v1, 7, v3
	v_cndmask_b32_e32 v1, v2, v1, vcc
	v_cndmask_b32_e64 v2, 0, 1, vcc
	v_lshrrev_b64 v[14:15], v2, v[14:15]
; %bb.971:                              ;   in Loop: Header=BB6_136 Depth=3
	s_andn2_saveexec_b64 s[26:27], s[26:27]
; %bb.972:                              ;   in Loop: Header=BB6_136 Depth=3
	v_bfe_u32 v1, v14, 23, 1
; %bb.973:                              ;   in Loop: Header=BB6_136 Depth=3
	s_or_b64 exec, exec, s[26:27]
	v_lshrrev_b64 v[2:3], 20, v[14:15]
	v_cmp_gt_i32_e32 vcc, 16, v1
	v_cndmask_b32_e32 v3, 0, v3, vcc
	v_cndmask_b32_e32 v2, 7, v2, vcc
	v_cmp_eq_u32_e32 vcc, 0, v1
	v_min_i32_e32 v1, 15, v1
	v_cmp_eq_u64_e64 s[26:27], 0, v[2:3]
	v_lshlrev_b32_e32 v1, 3, v1
	v_and_b32_e32 v1, 0xf8, v1
	v_and_or_b32 v1, v2, 7, v1
	s_and_b64 s[26:27], vcc, s[26:27]
	v_cndmask_b32_e64 v1, v1, 0, s[26:27]
	v_or_b32_e32 v0, v1, v0
	buffer_store_dword v0, off, s[0:3], s33 offset:240 ; 4-byte Folded Spill
.LBB6_974:                              ;   in Loop: Header=BB6_136 Depth=3
	s_or_b64 exec, exec, s[34:35]
                                        ; implicit-def: $vgpr0
.LBB6_975:                              ;   in Loop: Header=BB6_136 Depth=3
	s_andn2_saveexec_b64 s[26:27], s[30:31]
	s_cbranch_execz .LBB6_977
; %bb.976:                              ;   in Loop: Header=BB6_136 Depth=3
	v_or_b32_e32 v0, 0x7e, v0
	buffer_store_dword v0, off, s[0:3], s33 offset:240 ; 4-byte Folded Spill
.LBB6_977:                              ;   in Loop: Header=BB6_136 Depth=3
	s_or_b64 exec, exec, s[26:27]
                                        ; implicit-def: $vgpr1
.LBB6_978:                              ;   in Loop: Header=BB6_136 Depth=3
	s_andn2_saveexec_b64 s[26:27], s[94:95]
	s_cbranch_execz .LBB6_980
; %bb.979:                              ;   in Loop: Header=BB6_136 Depth=3
	v_or_b32_sdwa v0, v1, s86 dst_sel:DWORD dst_unused:UNUSED_PAD src0_sel:BYTE_3 src1_sel:DWORD
	buffer_store_dword v0, off, s[0:3], s33 offset:240 ; 4-byte Folded Spill
.LBB6_980:                              ;   in Loop: Header=BB6_136 Depth=3
	s_or_b64 exec, exec, s[26:27]
	v_lshrrev_b32_e32 v14, 16, v9
	v_cmp_ne_u16_sdwa s[94:95], v14, v51 src0_sel:BYTE_0 src1_sel:DWORD
	v_mov_b32_e32 v0, 0
	s_and_saveexec_b64 s[26:27], s[94:95]
	s_cbranch_execz .LBB6_986
; %bb.981:                              ;   in Loop: Header=BB6_136 Depth=3
	v_cmp_ne_u16_sdwa vcc, v14, s96 src0_sel:BYTE_0 src1_sel:DWORD
	v_bfrev_b32_e32 v0, 1
	s_and_saveexec_b64 s[94:95], vcc
	s_cbranch_execz .LBB6_985
; %bb.982:                              ;   in Loop: Header=BB6_136 Depth=3
	v_bfe_u32 v1, v9, 16, 7
	v_cmp_ne_u32_e32 vcc, s86, v1
	v_mov_b32_e32 v0, 0x7f800001
	s_and_saveexec_b64 s[30:31], vcc
	s_cbranch_execz .LBB6_984
; %bb.983:                              ;   in Loop: Header=BB6_136 Depth=3
	v_and_b32_e32 v2, 7, v14
	v_ffbh_u32_e32 v0, v2
	v_min_u32_e32 v4, 32, v0
	v_subrev_u32_e32 v0, 28, v4
	v_lshrrev_b32_e32 v3, 3, v1
	v_cmp_gt_u32_e32 vcc, 8, v1
	v_lshlrev_b64 v[0:1], v0, v[14:15]
	v_sub_u32_e32 v1, 29, v4
	v_and_b32_e32 v0, 7, v0
	v_cndmask_b32_e32 v1, v3, v1, vcc
	v_cndmask_b32_e32 v0, v2, v0, vcc
	v_lshlrev_b32_e32 v2, 24, v14
	v_bfrev_b32_e32 v3, 60
	v_lshlrev_b32_e32 v0, 20, v0
	v_and_b32_e32 v2, 0x80000000, v2
	v_lshl_add_u32 v1, v1, 23, v3
	v_or3_b32 v0, v2, v1, v0
.LBB6_984:                              ;   in Loop: Header=BB6_136 Depth=3
	s_or_b64 exec, exec, s[30:31]
.LBB6_985:                              ;   in Loop: Header=BB6_136 Depth=3
	s_or_b64 exec, exec, s[94:95]
.LBB6_986:                              ;   in Loop: Header=BB6_136 Depth=3
	s_or_b64 exec, exec, s[26:27]
	v_mul_f32_e32 v1, v18, v0
	v_and_b32_e32 v2, 0x7f800000, v1
	v_mov_b32_e32 v3, v51
	v_cmp_ne_u64_e32 vcc, s[76:77], v[2:3]
                                        ; implicit-def: $vgpr0
                                        ; kill: killed $vgpr0
	s_and_saveexec_b64 s[26:27], vcc
	s_xor_b64 s[94:95], exec, s[26:27]
	s_cbranch_execz .LBB6_1000
; %bb.987:                              ;   in Loop: Header=BB6_136 Depth=3
	v_and_b32_e32 v2, 0x7fffffff, v1
	v_mov_b32_e32 v3, v51
	v_cmp_gt_u64_e32 vcc, s[78:79], v[2:3]
	v_and_b32_sdwa v0, v1, s96 dst_sel:DWORD dst_unused:UNUSED_PAD src0_sel:BYTE_3 src1_sel:DWORD
                                        ; implicit-def: $vgpr2
                                        ; kill: killed $vgpr2
	s_and_saveexec_b64 s[26:27], vcc
	s_xor_b64 s[30:31], exec, s[26:27]
	s_cbranch_execz .LBB6_997
; %bb.988:                              ;   in Loop: Header=BB6_136 Depth=3
	v_mov_b32_e32 v2, 0
	v_cmp_ne_u32_e32 vcc, 0, v1
	buffer_store_dword v2, off, s[0:3], s33 offset:244 ; 4-byte Folded Spill
	s_and_saveexec_b64 s[34:35], vcc
	s_cbranch_execz .LBB6_996
; %bb.989:                              ;   in Loop: Header=BB6_136 Depth=3
	v_and_b32_e32 v3, 0x7fffff, v1
	v_bfe_u32 v1, v1, 23, 8
	v_cmp_gt_u32_e64 s[26:27], s97, v1
	v_sub_u32_e32 v2, 0x79, v1
	v_cmp_eq_u32_e32 vcc, 0, v1
	v_cndmask_b32_e64 v2, 0, v2, s[26:27]
	v_mov_b32_e32 v5, 0x78
	v_cndmask_b32_e32 v2, v2, v5, vcc
	v_add_u32_e32 v5, 20, v2
	v_or_b32_e32 v4, 0x800000, v3
	v_lshlrev_b64 v[5:6], v5, -1
	v_add_u32_e32 v7, 19, v2
	v_cndmask_b32_e32 v3, v4, v3, vcc
	v_lshlrev_b64 v[14:15], v7, 1
	v_mov_b32_e32 v4, v51
	v_bfi_b32 v6, v6, 0, 0
	v_bfi_b32 v5, v5, 0, v3
	v_cmp_eq_u64_e64 s[26:27], v[5:6], v[14:15]
	v_lshrrev_b64 v[14:15], v2, v[3:4]
	v_mov_b32_e32 v16, v15
	v_mov_b32_e32 v15, v14
	s_and_saveexec_b64 s[36:37], s[26:27]
; %bb.990:                              ;   in Loop: Header=BB6_136 Depth=3
	v_bfe_u32 v3, v14, 20, 1
	v_add_co_u32_e64 v3, s[26:27], v14, v3
	v_add_co_u32_e64 v15, s[26:27], -1, v3
; %bb.991:                              ;   in Loop: Header=BB6_136 Depth=3
	s_or_b64 exec, exec, s[36:37]
	v_add_u32_e32 v1, 0xffffff81, v1
	v_mov_b32_e32 v3, 0xffffff82
	v_cndmask_b32_e32 v1, v1, v3, vcc
	v_lshrrev_b32_e32 v3, 23, v14
	v_add3_u32 v3, v2, v1, v3
	v_add_u32_e32 v2, 6, v3
	v_and_b32_e32 v1, 0xfffff, v15
	v_add_u32_e32 v14, v1, v14
	v_mov_b32_e32 v15, v51
	v_cmp_ne_u32_e32 vcc, 0, v2
                                        ; implicit-def: $vgpr1
	s_and_saveexec_b64 s[26:27], vcc
	s_xor_b64 s[26:27], exec, s[26:27]
; %bb.992:                              ;   in Loop: Header=BB6_136 Depth=3
	v_cmp_lt_u64_e32 vcc, s[88:89], v[14:15]
	v_add_u32_e32 v1, 7, v3
	v_cndmask_b32_e32 v1, v2, v1, vcc
	v_cndmask_b32_e64 v2, 0, 1, vcc
	v_lshrrev_b64 v[14:15], v2, v[14:15]
; %bb.993:                              ;   in Loop: Header=BB6_136 Depth=3
	s_andn2_saveexec_b64 s[26:27], s[26:27]
; %bb.994:                              ;   in Loop: Header=BB6_136 Depth=3
	v_bfe_u32 v1, v14, 23, 1
; %bb.995:                              ;   in Loop: Header=BB6_136 Depth=3
	s_or_b64 exec, exec, s[26:27]
	v_lshrrev_b64 v[2:3], 20, v[14:15]
	v_cmp_gt_i32_e32 vcc, 16, v1
	v_cndmask_b32_e32 v3, 0, v3, vcc
	v_cndmask_b32_e32 v2, 7, v2, vcc
	v_cmp_eq_u32_e32 vcc, 0, v1
	v_min_i32_e32 v1, 15, v1
	v_cmp_eq_u64_e64 s[26:27], 0, v[2:3]
	v_lshlrev_b32_e32 v1, 3, v1
	v_and_b32_e32 v1, 0xf8, v1
	v_and_or_b32 v1, v2, 7, v1
	s_and_b64 s[26:27], vcc, s[26:27]
	v_cndmask_b32_e64 v1, v1, 0, s[26:27]
	v_or_b32_e32 v0, v1, v0
	buffer_store_dword v0, off, s[0:3], s33 offset:244 ; 4-byte Folded Spill
.LBB6_996:                              ;   in Loop: Header=BB6_136 Depth=3
	s_or_b64 exec, exec, s[34:35]
                                        ; implicit-def: $vgpr0
.LBB6_997:                              ;   in Loop: Header=BB6_136 Depth=3
	s_andn2_saveexec_b64 s[26:27], s[30:31]
	s_cbranch_execz .LBB6_999
; %bb.998:                              ;   in Loop: Header=BB6_136 Depth=3
	v_or_b32_e32 v0, 0x7e, v0
	buffer_store_dword v0, off, s[0:3], s33 offset:244 ; 4-byte Folded Spill
.LBB6_999:                              ;   in Loop: Header=BB6_136 Depth=3
	s_or_b64 exec, exec, s[26:27]
                                        ; implicit-def: $vgpr1
.LBB6_1000:                             ;   in Loop: Header=BB6_136 Depth=3
	s_andn2_saveexec_b64 s[26:27], s[94:95]
	s_cbranch_execz .LBB6_1002
; %bb.1001:                             ;   in Loop: Header=BB6_136 Depth=3
	v_or_b32_sdwa v0, v1, s86 dst_sel:DWORD dst_unused:UNUSED_PAD src0_sel:BYTE_3 src1_sel:DWORD
	buffer_store_dword v0, off, s[0:3], s33 offset:244 ; 4-byte Folded Spill
.LBB6_1002:                             ;   in Loop: Header=BB6_136 Depth=3
	s_or_b64 exec, exec, s[26:27]
	v_cmp_lt_u64_e32 vcc, s[56:57], v[8:9]
	v_mov_b32_e32 v0, 0
	s_and_saveexec_b64 s[26:27], vcc
	s_cbranch_execz .LBB6_1008
; %bb.1003:                             ;   in Loop: Header=BB6_136 Depth=3
	v_lshrrev_b32_e32 v8, 24, v9
	v_cmp_ne_u32_e32 vcc, s96, v8
	v_bfrev_b32_e32 v0, 1
	s_and_saveexec_b64 s[94:95], vcc
	s_cbranch_execz .LBB6_1007
; %bb.1004:                             ;   in Loop: Header=BB6_136 Depth=3
	v_bfe_u32 v1, v9, 24, 7
	v_cmp_ne_u32_e32 vcc, s86, v1
	v_mov_b32_e32 v0, 0x7f800001
	s_and_saveexec_b64 s[30:31], vcc
	s_cbranch_execz .LBB6_1006
; %bb.1005:                             ;   in Loop: Header=BB6_136 Depth=3
	v_and_b32_e32 v2, 7, v8
	v_ffbh_u32_e32 v0, v2
	v_min_u32_e32 v4, 32, v0
	v_subrev_u32_e32 v0, 28, v4
	v_lshrrev_b32_e32 v3, 3, v1
	v_cmp_gt_u32_e32 vcc, 8, v1
	v_lshlrev_b64 v[0:1], v0, v[8:9]
	v_sub_u32_e32 v1, 29, v4
	v_and_b32_e32 v0, 7, v0
	v_cndmask_b32_e32 v1, v3, v1, vcc
	v_cndmask_b32_e32 v0, v2, v0, vcc
	v_lshlrev_b32_e32 v2, 24, v8
	v_bfrev_b32_e32 v3, 60
	v_lshlrev_b32_e32 v0, 20, v0
	v_and_b32_e32 v2, 0x80000000, v2
	v_lshl_add_u32 v1, v1, 23, v3
	v_or3_b32 v0, v2, v1, v0
.LBB6_1006:                             ;   in Loop: Header=BB6_136 Depth=3
	s_or_b64 exec, exec, s[30:31]
.LBB6_1007:                             ;   in Loop: Header=BB6_136 Depth=3
	s_or_b64 exec, exec, s[94:95]
.LBB6_1008:                             ;   in Loop: Header=BB6_136 Depth=3
	s_or_b64 exec, exec, s[26:27]
	v_mul_f32_e32 v1, v18, v0
	v_and_b32_e32 v2, 0x7f800000, v1
	v_mov_b32_e32 v3, v51
	v_cmp_ne_u64_e32 vcc, s[76:77], v[2:3]
                                        ; implicit-def: $vgpr0
                                        ; kill: killed $vgpr0
	s_and_saveexec_b64 s[26:27], vcc
	s_xor_b64 s[94:95], exec, s[26:27]
	s_cbranch_execz .LBB6_1022
; %bb.1009:                             ;   in Loop: Header=BB6_136 Depth=3
	v_and_b32_e32 v2, 0x7fffffff, v1
	v_mov_b32_e32 v3, v51
	v_cmp_gt_u64_e32 vcc, s[78:79], v[2:3]
	v_and_b32_sdwa v0, v1, s96 dst_sel:DWORD dst_unused:UNUSED_PAD src0_sel:BYTE_3 src1_sel:DWORD
                                        ; implicit-def: $vgpr2
                                        ; kill: killed $vgpr2
	s_and_saveexec_b64 s[26:27], vcc
	s_xor_b64 s[30:31], exec, s[26:27]
	s_cbranch_execz .LBB6_1019
; %bb.1010:                             ;   in Loop: Header=BB6_136 Depth=3
	v_mov_b32_e32 v2, 0
	v_cmp_ne_u32_e32 vcc, 0, v1
	buffer_store_dword v2, off, s[0:3], s33 offset:248 ; 4-byte Folded Spill
	s_and_saveexec_b64 s[34:35], vcc
	s_cbranch_execz .LBB6_1018
; %bb.1011:                             ;   in Loop: Header=BB6_136 Depth=3
	v_and_b32_e32 v3, 0x7fffff, v1
	v_bfe_u32 v1, v1, 23, 8
	v_cmp_gt_u32_e64 s[26:27], s97, v1
	v_sub_u32_e32 v2, 0x79, v1
	v_cmp_eq_u32_e32 vcc, 0, v1
	v_cndmask_b32_e64 v2, 0, v2, s[26:27]
	v_mov_b32_e32 v5, 0x78
	v_cndmask_b32_e32 v2, v2, v5, vcc
	v_add_u32_e32 v5, 20, v2
	v_or_b32_e32 v4, 0x800000, v3
	v_lshlrev_b64 v[5:6], v5, -1
	v_add_u32_e32 v7, 19, v2
	v_cndmask_b32_e32 v3, v4, v3, vcc
	v_lshlrev_b64 v[7:8], v7, 1
	v_mov_b32_e32 v4, v51
	v_bfi_b32 v6, v6, 0, 0
	v_bfi_b32 v5, v5, 0, v3
	v_cmp_eq_u64_e64 s[26:27], v[5:6], v[7:8]
	v_lshrrev_b64 v[8:9], v2, v[3:4]
	v_mov_b32_e32 v15, v9
	v_mov_b32_e32 v14, v8
	s_and_saveexec_b64 s[36:37], s[26:27]
; %bb.1012:                             ;   in Loop: Header=BB6_136 Depth=3
	v_bfe_u32 v3, v8, 20, 1
	v_add_co_u32_e64 v3, s[26:27], v8, v3
	v_add_co_u32_e64 v14, s[26:27], -1, v3
; %bb.1013:                             ;   in Loop: Header=BB6_136 Depth=3
	s_or_b64 exec, exec, s[36:37]
	v_add_u32_e32 v1, 0xffffff81, v1
	v_mov_b32_e32 v3, 0xffffff82
	v_cndmask_b32_e32 v1, v1, v3, vcc
	v_lshrrev_b32_e32 v3, 23, v8
	v_add3_u32 v3, v2, v1, v3
	v_add_u32_e32 v2, 6, v3
	v_and_b32_e32 v1, 0xfffff, v14
	v_add_u32_e32 v8, v1, v8
	v_mov_b32_e32 v9, v51
	v_cmp_ne_u32_e32 vcc, 0, v2
                                        ; implicit-def: $vgpr1
	s_and_saveexec_b64 s[26:27], vcc
	s_xor_b64 s[26:27], exec, s[26:27]
; %bb.1014:                             ;   in Loop: Header=BB6_136 Depth=3
	v_cmp_lt_u64_e32 vcc, s[88:89], v[8:9]
	v_add_u32_e32 v1, 7, v3
	v_cndmask_b32_e32 v1, v2, v1, vcc
	v_cndmask_b32_e64 v2, 0, 1, vcc
	v_lshrrev_b64 v[8:9], v2, v[8:9]
; %bb.1015:                             ;   in Loop: Header=BB6_136 Depth=3
	s_andn2_saveexec_b64 s[26:27], s[26:27]
; %bb.1016:                             ;   in Loop: Header=BB6_136 Depth=3
	v_bfe_u32 v1, v8, 23, 1
; %bb.1017:                             ;   in Loop: Header=BB6_136 Depth=3
	s_or_b64 exec, exec, s[26:27]
	v_lshrrev_b64 v[2:3], 20, v[8:9]
	v_cmp_gt_i32_e32 vcc, 16, v1
	v_cndmask_b32_e32 v3, 0, v3, vcc
	v_cndmask_b32_e32 v2, 7, v2, vcc
	v_cmp_eq_u32_e32 vcc, 0, v1
	v_min_i32_e32 v1, 15, v1
	v_cmp_eq_u64_e64 s[26:27], 0, v[2:3]
	v_lshlrev_b32_e32 v1, 3, v1
	v_and_b32_e32 v1, 0xf8, v1
	v_and_or_b32 v1, v2, 7, v1
	s_and_b64 s[26:27], vcc, s[26:27]
	v_cndmask_b32_e64 v1, v1, 0, s[26:27]
	v_or_b32_e32 v0, v1, v0
	buffer_store_dword v0, off, s[0:3], s33 offset:248 ; 4-byte Folded Spill
.LBB6_1018:                             ;   in Loop: Header=BB6_136 Depth=3
	s_or_b64 exec, exec, s[34:35]
                                        ; implicit-def: $vgpr0
.LBB6_1019:                             ;   in Loop: Header=BB6_136 Depth=3
	s_andn2_saveexec_b64 s[26:27], s[30:31]
	s_cbranch_execz .LBB6_1021
; %bb.1020:                             ;   in Loop: Header=BB6_136 Depth=3
	v_or_b32_e32 v0, 0x7e, v0
	buffer_store_dword v0, off, s[0:3], s33 offset:248 ; 4-byte Folded Spill
.LBB6_1021:                             ;   in Loop: Header=BB6_136 Depth=3
	s_or_b64 exec, exec, s[26:27]
                                        ; implicit-def: $vgpr1
.LBB6_1022:                             ;   in Loop: Header=BB6_136 Depth=3
	s_andn2_saveexec_b64 s[26:27], s[94:95]
	s_cbranch_execz .LBB6_1024
; %bb.1023:                             ;   in Loop: Header=BB6_136 Depth=3
	v_or_b32_sdwa v0, v1, s86 dst_sel:DWORD dst_unused:UNUSED_PAD src0_sel:BYTE_3 src1_sel:DWORD
	buffer_store_dword v0, off, s[0:3], s33 offset:248 ; 4-byte Folded Spill
.LBB6_1024:                             ;   in Loop: Header=BB6_136 Depth=3
	s_or_b64 exec, exec, s[26:27]
	v_cmp_ne_u16_sdwa s[94:95], v10, v51 src0_sel:BYTE_0 src1_sel:DWORD
	v_mov_b32_e32 v0, 0
	s_and_saveexec_b64 s[26:27], s[94:95]
	s_cbranch_execz .LBB6_1030
; %bb.1025:                             ;   in Loop: Header=BB6_136 Depth=3
	v_cmp_ne_u16_sdwa vcc, v10, s96 src0_sel:BYTE_0 src1_sel:DWORD
	v_bfrev_b32_e32 v0, 1
	s_and_saveexec_b64 s[94:95], vcc
	s_cbranch_execz .LBB6_1029
; %bb.1026:                             ;   in Loop: Header=BB6_136 Depth=3
	v_and_b32_e32 v1, 0x7f, v10
	v_cmp_ne_u32_e32 vcc, s86, v1
	v_mov_b32_e32 v0, 0x7f800001
	s_and_saveexec_b64 s[30:31], vcc
	s_cbranch_execz .LBB6_1028
; %bb.1027:                             ;   in Loop: Header=BB6_136 Depth=3
	v_and_b32_e32 v0, 7, v10
	v_ffbh_u32_e32 v0, v0
	v_min_u32_e32 v0, 32, v0
	v_lshrrev_b32_e32 v2, 3, v1
	v_cmp_gt_u32_e32 vcc, 8, v1
	v_subrev_u32_e32 v1, 28, v0
	v_sub_u32_e32 v0, 29, v0
	v_cndmask_b32_e32 v2, v2, v0, vcc
	v_cndmask_b32_e32 v0, 0, v1, vcc
	v_lshlrev_b64 v[0:1], v0, v[10:11]
	v_lshlrev_b32_e32 v1, 24, v10
	v_lshlrev_b32_e32 v0, 20, v0
	v_bfrev_b32_e32 v3, 60
	v_and_b32_e32 v0, 0x700000, v0
	v_and_b32_e32 v1, 0x80000000, v1
	v_lshl_add_u32 v2, v2, 23, v3
	v_or3_b32 v0, v1, v2, v0
.LBB6_1028:                             ;   in Loop: Header=BB6_136 Depth=3
	s_or_b64 exec, exec, s[30:31]
.LBB6_1029:                             ;   in Loop: Header=BB6_136 Depth=3
	s_or_b64 exec, exec, s[94:95]
.LBB6_1030:                             ;   in Loop: Header=BB6_136 Depth=3
	s_or_b64 exec, exec, s[26:27]
	v_mul_f32_e32 v1, v18, v0
	v_and_b32_e32 v2, 0x7f800000, v1
	v_mov_b32_e32 v3, v51
	v_cmp_ne_u64_e32 vcc, s[76:77], v[2:3]
                                        ; implicit-def: $vgpr0
                                        ; kill: killed $vgpr0
	s_and_saveexec_b64 s[26:27], vcc
	s_xor_b64 s[94:95], exec, s[26:27]
	s_cbranch_execz .LBB6_1044
; %bb.1031:                             ;   in Loop: Header=BB6_136 Depth=3
	v_and_b32_e32 v2, 0x7fffffff, v1
	v_mov_b32_e32 v3, v51
	v_cmp_gt_u64_e32 vcc, s[78:79], v[2:3]
	v_and_b32_sdwa v0, v1, s96 dst_sel:DWORD dst_unused:UNUSED_PAD src0_sel:BYTE_3 src1_sel:DWORD
                                        ; implicit-def: $vgpr2
                                        ; kill: killed $vgpr2
	s_and_saveexec_b64 s[26:27], vcc
	s_xor_b64 s[30:31], exec, s[26:27]
	s_cbranch_execz .LBB6_1041
; %bb.1032:                             ;   in Loop: Header=BB6_136 Depth=3
	v_mov_b32_e32 v2, 0
	v_cmp_ne_u32_e32 vcc, 0, v1
	buffer_store_dword v2, off, s[0:3], s33 offset:252 ; 4-byte Folded Spill
	s_and_saveexec_b64 s[34:35], vcc
	s_cbranch_execz .LBB6_1040
; %bb.1033:                             ;   in Loop: Header=BB6_136 Depth=3
	v_and_b32_e32 v3, 0x7fffff, v1
	v_bfe_u32 v1, v1, 23, 8
	v_cmp_gt_u32_e64 s[26:27], s97, v1
	v_sub_u32_e32 v2, 0x79, v1
	v_cmp_eq_u32_e32 vcc, 0, v1
	v_cndmask_b32_e64 v2, 0, v2, s[26:27]
	v_mov_b32_e32 v5, 0x78
	v_cndmask_b32_e32 v2, v2, v5, vcc
	v_add_u32_e32 v5, 20, v2
	v_or_b32_e32 v4, 0x800000, v3
	v_lshlrev_b64 v[5:6], v5, -1
	v_add_u32_e32 v7, 19, v2
	v_cndmask_b32_e32 v3, v4, v3, vcc
	v_lshlrev_b64 v[7:8], v7, 1
	v_mov_b32_e32 v4, v51
	v_bfi_b32 v6, v6, 0, 0
	v_bfi_b32 v5, v5, 0, v3
	v_cmp_eq_u64_e64 s[26:27], v[5:6], v[7:8]
	v_lshrrev_b64 v[8:9], v2, v[3:4]
	v_mov_b32_e32 v15, v9
	v_mov_b32_e32 v14, v8
	s_and_saveexec_b64 s[36:37], s[26:27]
; %bb.1034:                             ;   in Loop: Header=BB6_136 Depth=3
	v_bfe_u32 v3, v8, 20, 1
	v_add_co_u32_e64 v3, s[26:27], v8, v3
	v_add_co_u32_e64 v14, s[26:27], -1, v3
; %bb.1035:                             ;   in Loop: Header=BB6_136 Depth=3
	s_or_b64 exec, exec, s[36:37]
	v_add_u32_e32 v1, 0xffffff81, v1
	v_mov_b32_e32 v3, 0xffffff82
	v_cndmask_b32_e32 v1, v1, v3, vcc
	v_lshrrev_b32_e32 v3, 23, v8
	v_add3_u32 v3, v2, v1, v3
	v_add_u32_e32 v2, 6, v3
	v_and_b32_e32 v1, 0xfffff, v14
	v_add_u32_e32 v8, v1, v8
	v_mov_b32_e32 v9, v51
	v_cmp_ne_u32_e32 vcc, 0, v2
                                        ; implicit-def: $vgpr1
	s_and_saveexec_b64 s[26:27], vcc
	s_xor_b64 s[26:27], exec, s[26:27]
; %bb.1036:                             ;   in Loop: Header=BB6_136 Depth=3
	v_cmp_lt_u64_e32 vcc, s[88:89], v[8:9]
	v_add_u32_e32 v1, 7, v3
	v_cndmask_b32_e32 v1, v2, v1, vcc
	v_cndmask_b32_e64 v2, 0, 1, vcc
	v_lshrrev_b64 v[8:9], v2, v[8:9]
; %bb.1037:                             ;   in Loop: Header=BB6_136 Depth=3
	s_andn2_saveexec_b64 s[26:27], s[26:27]
; %bb.1038:                             ;   in Loop: Header=BB6_136 Depth=3
	v_bfe_u32 v1, v8, 23, 1
; %bb.1039:                             ;   in Loop: Header=BB6_136 Depth=3
	s_or_b64 exec, exec, s[26:27]
	v_lshrrev_b64 v[2:3], 20, v[8:9]
	v_cmp_gt_i32_e32 vcc, 16, v1
	v_cndmask_b32_e32 v3, 0, v3, vcc
	v_cndmask_b32_e32 v2, 7, v2, vcc
	v_cmp_eq_u32_e32 vcc, 0, v1
	v_min_i32_e32 v1, 15, v1
	v_cmp_eq_u64_e64 s[26:27], 0, v[2:3]
	v_lshlrev_b32_e32 v1, 3, v1
	v_and_b32_e32 v1, 0xf8, v1
	v_and_or_b32 v1, v2, 7, v1
	s_and_b64 s[26:27], vcc, s[26:27]
	v_cndmask_b32_e64 v1, v1, 0, s[26:27]
	v_or_b32_e32 v0, v1, v0
	buffer_store_dword v0, off, s[0:3], s33 offset:252 ; 4-byte Folded Spill
.LBB6_1040:                             ;   in Loop: Header=BB6_136 Depth=3
	s_or_b64 exec, exec, s[34:35]
                                        ; implicit-def: $vgpr0
.LBB6_1041:                             ;   in Loop: Header=BB6_136 Depth=3
	s_andn2_saveexec_b64 s[26:27], s[30:31]
	s_cbranch_execz .LBB6_1043
; %bb.1042:                             ;   in Loop: Header=BB6_136 Depth=3
	v_or_b32_e32 v0, 0x7e, v0
	buffer_store_dword v0, off, s[0:3], s33 offset:252 ; 4-byte Folded Spill
.LBB6_1043:                             ;   in Loop: Header=BB6_136 Depth=3
	s_or_b64 exec, exec, s[26:27]
                                        ; implicit-def: $vgpr1
.LBB6_1044:                             ;   in Loop: Header=BB6_136 Depth=3
	s_andn2_saveexec_b64 s[26:27], s[94:95]
	s_cbranch_execz .LBB6_1046
; %bb.1045:                             ;   in Loop: Header=BB6_136 Depth=3
	v_or_b32_sdwa v0, v1, s86 dst_sel:DWORD dst_unused:UNUSED_PAD src0_sel:BYTE_3 src1_sel:DWORD
	buffer_store_dword v0, off, s[0:3], s33 offset:252 ; 4-byte Folded Spill
.LBB6_1046:                             ;   in Loop: Header=BB6_136 Depth=3
	s_or_b64 exec, exec, s[26:27]
	v_lshrrev_b16_e32 v8, 8, v10
	v_cmp_ne_u16_e32 vcc, 0, v8
	v_mov_b32_e32 v0, 0
	s_and_saveexec_b64 s[26:27], vcc
	s_cbranch_execz .LBB6_1052
; %bb.1047:                             ;   in Loop: Header=BB6_136 Depth=3
	v_cmp_ne_u16_e32 vcc, s96, v8
	v_bfrev_b32_e32 v0, 1
	s_and_saveexec_b64 s[94:95], vcc
	s_cbranch_execz .LBB6_1051
; %bb.1048:                             ;   in Loop: Header=BB6_136 Depth=3
	v_and_b32_e32 v1, 0x7f, v8
	v_cmp_ne_u32_e32 vcc, s86, v1
	v_mov_b32_e32 v0, 0x7f800001
	s_and_saveexec_b64 s[30:31], vcc
	s_cbranch_execz .LBB6_1050
; %bb.1049:                             ;   in Loop: Header=BB6_136 Depth=3
	v_and_b32_e32 v2, 7, v8
	v_ffbh_u32_e32 v0, v2
	v_min_u32_e32 v4, 32, v0
	v_subrev_u32_e32 v0, 28, v4
	v_lshrrev_b32_e32 v3, 3, v1
	v_cmp_gt_u32_e32 vcc, 8, v1
	v_lshlrev_b64 v[0:1], v0, v[8:9]
	v_sub_u32_e32 v1, 29, v4
	v_and_b32_e32 v0, 7, v0
	v_cndmask_b32_e32 v1, v3, v1, vcc
	v_cndmask_b32_e32 v0, v2, v0, vcc
	v_lshlrev_b32_e32 v2, 16, v10
	v_bfrev_b32_e32 v3, 60
	v_lshlrev_b32_e32 v0, 20, v0
	v_and_b32_e32 v2, 0x80000000, v2
	v_lshl_add_u32 v1, v1, 23, v3
	v_or3_b32 v0, v2, v1, v0
.LBB6_1050:                             ;   in Loop: Header=BB6_136 Depth=3
	s_or_b64 exec, exec, s[30:31]
.LBB6_1051:                             ;   in Loop: Header=BB6_136 Depth=3
	s_or_b64 exec, exec, s[94:95]
.LBB6_1052:                             ;   in Loop: Header=BB6_136 Depth=3
	s_or_b64 exec, exec, s[26:27]
	v_mul_f32_e32 v1, v18, v0
	v_and_b32_e32 v2, 0x7f800000, v1
	v_mov_b32_e32 v3, v51
	v_cmp_ne_u64_e32 vcc, s[76:77], v[2:3]
                                        ; implicit-def: $vgpr0
                                        ; kill: killed $vgpr0
	s_and_saveexec_b64 s[26:27], vcc
	s_xor_b64 s[94:95], exec, s[26:27]
	s_cbranch_execz .LBB6_1066
; %bb.1053:                             ;   in Loop: Header=BB6_136 Depth=3
	v_and_b32_e32 v2, 0x7fffffff, v1
	v_mov_b32_e32 v3, v51
	v_cmp_gt_u64_e32 vcc, s[78:79], v[2:3]
	v_and_b32_sdwa v0, v1, s96 dst_sel:DWORD dst_unused:UNUSED_PAD src0_sel:BYTE_3 src1_sel:DWORD
                                        ; implicit-def: $vgpr2
                                        ; kill: killed $vgpr2
	s_and_saveexec_b64 s[26:27], vcc
	s_xor_b64 s[30:31], exec, s[26:27]
	s_cbranch_execz .LBB6_1063
; %bb.1054:                             ;   in Loop: Header=BB6_136 Depth=3
	v_mov_b32_e32 v2, 0
	v_cmp_ne_u32_e32 vcc, 0, v1
	buffer_store_dword v2, off, s[0:3], s33 offset:256 ; 4-byte Folded Spill
	s_and_saveexec_b64 s[34:35], vcc
	s_cbranch_execz .LBB6_1062
; %bb.1055:                             ;   in Loop: Header=BB6_136 Depth=3
	v_and_b32_e32 v3, 0x7fffff, v1
	v_bfe_u32 v1, v1, 23, 8
	v_cmp_gt_u32_e64 s[26:27], s97, v1
	v_sub_u32_e32 v2, 0x79, v1
	v_cmp_eq_u32_e32 vcc, 0, v1
	v_cndmask_b32_e64 v2, 0, v2, s[26:27]
	v_mov_b32_e32 v5, 0x78
	v_cndmask_b32_e32 v2, v2, v5, vcc
	v_add_u32_e32 v5, 20, v2
	v_or_b32_e32 v4, 0x800000, v3
	v_lshlrev_b64 v[5:6], v5, -1
	v_add_u32_e32 v7, 19, v2
	v_cndmask_b32_e32 v3, v4, v3, vcc
	v_lshlrev_b64 v[7:8], v7, 1
	v_mov_b32_e32 v4, v51
	v_bfi_b32 v6, v6, 0, 0
	v_bfi_b32 v5, v5, 0, v3
	v_cmp_eq_u64_e64 s[26:27], v[5:6], v[7:8]
	v_lshrrev_b64 v[8:9], v2, v[3:4]
	v_mov_b32_e32 v15, v9
	v_mov_b32_e32 v14, v8
	s_and_saveexec_b64 s[36:37], s[26:27]
; %bb.1056:                             ;   in Loop: Header=BB6_136 Depth=3
	v_bfe_u32 v3, v8, 20, 1
	v_add_co_u32_e64 v3, s[26:27], v8, v3
	v_add_co_u32_e64 v14, s[26:27], -1, v3
; %bb.1057:                             ;   in Loop: Header=BB6_136 Depth=3
	s_or_b64 exec, exec, s[36:37]
	v_add_u32_e32 v1, 0xffffff81, v1
	v_mov_b32_e32 v3, 0xffffff82
	v_cndmask_b32_e32 v1, v1, v3, vcc
	v_lshrrev_b32_e32 v3, 23, v8
	v_add3_u32 v3, v2, v1, v3
	v_add_u32_e32 v2, 6, v3
	v_and_b32_e32 v1, 0xfffff, v14
	v_add_u32_e32 v8, v1, v8
	v_mov_b32_e32 v9, v51
	v_cmp_ne_u32_e32 vcc, 0, v2
                                        ; implicit-def: $vgpr1
	s_and_saveexec_b64 s[26:27], vcc
	s_xor_b64 s[26:27], exec, s[26:27]
; %bb.1058:                             ;   in Loop: Header=BB6_136 Depth=3
	v_cmp_lt_u64_e32 vcc, s[88:89], v[8:9]
	v_add_u32_e32 v1, 7, v3
	v_cndmask_b32_e32 v1, v2, v1, vcc
	v_cndmask_b32_e64 v2, 0, 1, vcc
	v_lshrrev_b64 v[8:9], v2, v[8:9]
; %bb.1059:                             ;   in Loop: Header=BB6_136 Depth=3
	s_andn2_saveexec_b64 s[26:27], s[26:27]
; %bb.1060:                             ;   in Loop: Header=BB6_136 Depth=3
	v_bfe_u32 v1, v8, 23, 1
; %bb.1061:                             ;   in Loop: Header=BB6_136 Depth=3
	s_or_b64 exec, exec, s[26:27]
	v_lshrrev_b64 v[2:3], 20, v[8:9]
	v_cmp_gt_i32_e32 vcc, 16, v1
	v_cndmask_b32_e32 v3, 0, v3, vcc
	v_cndmask_b32_e32 v2, 7, v2, vcc
	v_cmp_eq_u32_e32 vcc, 0, v1
	v_min_i32_e32 v1, 15, v1
	v_cmp_eq_u64_e64 s[26:27], 0, v[2:3]
	v_lshlrev_b32_e32 v1, 3, v1
	v_and_b32_e32 v1, 0xf8, v1
	v_and_or_b32 v1, v2, 7, v1
	s_and_b64 s[26:27], vcc, s[26:27]
	v_cndmask_b32_e64 v1, v1, 0, s[26:27]
	v_or_b32_e32 v0, v1, v0
	buffer_store_dword v0, off, s[0:3], s33 offset:256 ; 4-byte Folded Spill
.LBB6_1062:                             ;   in Loop: Header=BB6_136 Depth=3
	s_or_b64 exec, exec, s[34:35]
                                        ; implicit-def: $vgpr0
.LBB6_1063:                             ;   in Loop: Header=BB6_136 Depth=3
	s_andn2_saveexec_b64 s[26:27], s[30:31]
	s_cbranch_execz .LBB6_1065
; %bb.1064:                             ;   in Loop: Header=BB6_136 Depth=3
	v_or_b32_e32 v0, 0x7e, v0
	buffer_store_dword v0, off, s[0:3], s33 offset:256 ; 4-byte Folded Spill
.LBB6_1065:                             ;   in Loop: Header=BB6_136 Depth=3
	s_or_b64 exec, exec, s[26:27]
                                        ; implicit-def: $vgpr1
.LBB6_1066:                             ;   in Loop: Header=BB6_136 Depth=3
	s_andn2_saveexec_b64 s[26:27], s[94:95]
	s_cbranch_execz .LBB6_1068
; %bb.1067:                             ;   in Loop: Header=BB6_136 Depth=3
	v_or_b32_sdwa v0, v1, s86 dst_sel:DWORD dst_unused:UNUSED_PAD src0_sel:BYTE_3 src1_sel:DWORD
	buffer_store_dword v0, off, s[0:3], s33 offset:256 ; 4-byte Folded Spill
.LBB6_1068:                             ;   in Loop: Header=BB6_136 Depth=3
	s_or_b64 exec, exec, s[26:27]
	v_lshrrev_b32_e32 v8, 16, v10
	v_cmp_ne_u16_sdwa s[94:95], v8, v51 src0_sel:BYTE_0 src1_sel:DWORD
	v_mov_b32_e32 v0, 0
	s_and_saveexec_b64 s[26:27], s[94:95]
	s_cbranch_execz .LBB6_1074
; %bb.1069:                             ;   in Loop: Header=BB6_136 Depth=3
	v_cmp_ne_u16_sdwa vcc, v8, s96 src0_sel:BYTE_0 src1_sel:DWORD
	v_bfrev_b32_e32 v0, 1
	s_and_saveexec_b64 s[94:95], vcc
	s_cbranch_execz .LBB6_1073
; %bb.1070:                             ;   in Loop: Header=BB6_136 Depth=3
	v_bfe_u32 v1, v10, 16, 7
	v_cmp_ne_u32_e32 vcc, s86, v1
	v_mov_b32_e32 v0, 0x7f800001
	s_and_saveexec_b64 s[30:31], vcc
	s_cbranch_execz .LBB6_1072
; %bb.1071:                             ;   in Loop: Header=BB6_136 Depth=3
	v_and_b32_e32 v2, 7, v8
	v_ffbh_u32_e32 v0, v2
	v_min_u32_e32 v4, 32, v0
	v_subrev_u32_e32 v0, 28, v4
	v_lshrrev_b32_e32 v3, 3, v1
	v_cmp_gt_u32_e32 vcc, 8, v1
	v_lshlrev_b64 v[0:1], v0, v[8:9]
	v_sub_u32_e32 v1, 29, v4
	v_and_b32_e32 v0, 7, v0
	v_cndmask_b32_e32 v1, v3, v1, vcc
	v_cndmask_b32_e32 v0, v2, v0, vcc
	v_lshlrev_b32_e32 v2, 24, v8
	v_bfrev_b32_e32 v3, 60
	v_lshlrev_b32_e32 v0, 20, v0
	v_and_b32_e32 v2, 0x80000000, v2
	v_lshl_add_u32 v1, v1, 23, v3
	v_or3_b32 v0, v2, v1, v0
.LBB6_1072:                             ;   in Loop: Header=BB6_136 Depth=3
	s_or_b64 exec, exec, s[30:31]
.LBB6_1073:                             ;   in Loop: Header=BB6_136 Depth=3
	s_or_b64 exec, exec, s[94:95]
.LBB6_1074:                             ;   in Loop: Header=BB6_136 Depth=3
	s_or_b64 exec, exec, s[26:27]
	v_mul_f32_e32 v1, v18, v0
	v_and_b32_e32 v2, 0x7f800000, v1
	v_mov_b32_e32 v3, v51
	v_cmp_ne_u64_e32 vcc, s[76:77], v[2:3]
                                        ; implicit-def: $vgpr0
                                        ; kill: killed $vgpr0
	s_and_saveexec_b64 s[26:27], vcc
	s_xor_b64 s[94:95], exec, s[26:27]
	s_cbranch_execz .LBB6_1088
; %bb.1075:                             ;   in Loop: Header=BB6_136 Depth=3
	v_and_b32_e32 v2, 0x7fffffff, v1
	v_mov_b32_e32 v3, v51
	v_cmp_gt_u64_e32 vcc, s[78:79], v[2:3]
	v_and_b32_sdwa v0, v1, s96 dst_sel:DWORD dst_unused:UNUSED_PAD src0_sel:BYTE_3 src1_sel:DWORD
                                        ; implicit-def: $vgpr2
                                        ; kill: killed $vgpr2
	s_and_saveexec_b64 s[26:27], vcc
	s_xor_b64 s[30:31], exec, s[26:27]
	s_cbranch_execz .LBB6_1085
; %bb.1076:                             ;   in Loop: Header=BB6_136 Depth=3
	v_mov_b32_e32 v2, 0
	v_cmp_ne_u32_e32 vcc, 0, v1
	buffer_store_dword v2, off, s[0:3], s33 offset:260 ; 4-byte Folded Spill
	s_and_saveexec_b64 s[34:35], vcc
	s_cbranch_execz .LBB6_1084
; %bb.1077:                             ;   in Loop: Header=BB6_136 Depth=3
	v_and_b32_e32 v3, 0x7fffff, v1
	v_bfe_u32 v1, v1, 23, 8
	v_cmp_gt_u32_e64 s[26:27], s97, v1
	v_sub_u32_e32 v2, 0x79, v1
	v_cmp_eq_u32_e32 vcc, 0, v1
	v_cndmask_b32_e64 v2, 0, v2, s[26:27]
	v_mov_b32_e32 v5, 0x78
	v_cndmask_b32_e32 v2, v2, v5, vcc
	v_add_u32_e32 v5, 20, v2
	v_or_b32_e32 v4, 0x800000, v3
	v_lshlrev_b64 v[5:6], v5, -1
	v_add_u32_e32 v7, 19, v2
	v_cndmask_b32_e32 v3, v4, v3, vcc
	v_lshlrev_b64 v[7:8], v7, 1
	v_mov_b32_e32 v4, v51
	v_bfi_b32 v6, v6, 0, 0
	v_bfi_b32 v5, v5, 0, v3
	v_cmp_eq_u64_e64 s[26:27], v[5:6], v[7:8]
	v_lshrrev_b64 v[8:9], v2, v[3:4]
	v_mov_b32_e32 v15, v9
	v_mov_b32_e32 v14, v8
	s_and_saveexec_b64 s[36:37], s[26:27]
; %bb.1078:                             ;   in Loop: Header=BB6_136 Depth=3
	v_bfe_u32 v3, v8, 20, 1
	v_add_co_u32_e64 v3, s[26:27], v8, v3
	v_add_co_u32_e64 v14, s[26:27], -1, v3
; %bb.1079:                             ;   in Loop: Header=BB6_136 Depth=3
	s_or_b64 exec, exec, s[36:37]
	v_add_u32_e32 v1, 0xffffff81, v1
	v_mov_b32_e32 v3, 0xffffff82
	v_cndmask_b32_e32 v1, v1, v3, vcc
	v_lshrrev_b32_e32 v3, 23, v8
	v_add3_u32 v3, v2, v1, v3
	v_add_u32_e32 v2, 6, v3
	v_and_b32_e32 v1, 0xfffff, v14
	v_add_u32_e32 v8, v1, v8
	v_mov_b32_e32 v9, v51
	v_cmp_ne_u32_e32 vcc, 0, v2
                                        ; implicit-def: $vgpr1
	s_and_saveexec_b64 s[26:27], vcc
	s_xor_b64 s[26:27], exec, s[26:27]
; %bb.1080:                             ;   in Loop: Header=BB6_136 Depth=3
	v_cmp_lt_u64_e32 vcc, s[88:89], v[8:9]
	v_add_u32_e32 v1, 7, v3
	v_cndmask_b32_e32 v1, v2, v1, vcc
	v_cndmask_b32_e64 v2, 0, 1, vcc
	v_lshrrev_b64 v[8:9], v2, v[8:9]
; %bb.1081:                             ;   in Loop: Header=BB6_136 Depth=3
	s_andn2_saveexec_b64 s[26:27], s[26:27]
; %bb.1082:                             ;   in Loop: Header=BB6_136 Depth=3
	v_bfe_u32 v1, v8, 23, 1
; %bb.1083:                             ;   in Loop: Header=BB6_136 Depth=3
	s_or_b64 exec, exec, s[26:27]
	v_lshrrev_b64 v[2:3], 20, v[8:9]
	v_cmp_gt_i32_e32 vcc, 16, v1
	v_cndmask_b32_e32 v3, 0, v3, vcc
	v_cndmask_b32_e32 v2, 7, v2, vcc
	v_cmp_eq_u32_e32 vcc, 0, v1
	v_min_i32_e32 v1, 15, v1
	v_cmp_eq_u64_e64 s[26:27], 0, v[2:3]
	v_lshlrev_b32_e32 v1, 3, v1
	v_and_b32_e32 v1, 0xf8, v1
	v_and_or_b32 v1, v2, 7, v1
	s_and_b64 s[26:27], vcc, s[26:27]
	v_cndmask_b32_e64 v1, v1, 0, s[26:27]
	v_or_b32_e32 v0, v1, v0
	buffer_store_dword v0, off, s[0:3], s33 offset:260 ; 4-byte Folded Spill
.LBB6_1084:                             ;   in Loop: Header=BB6_136 Depth=3
	s_or_b64 exec, exec, s[34:35]
                                        ; implicit-def: $vgpr0
.LBB6_1085:                             ;   in Loop: Header=BB6_136 Depth=3
	s_andn2_saveexec_b64 s[26:27], s[30:31]
	s_cbranch_execz .LBB6_1087
; %bb.1086:                             ;   in Loop: Header=BB6_136 Depth=3
	v_or_b32_e32 v0, 0x7e, v0
	buffer_store_dword v0, off, s[0:3], s33 offset:260 ; 4-byte Folded Spill
.LBB6_1087:                             ;   in Loop: Header=BB6_136 Depth=3
	s_or_b64 exec, exec, s[26:27]
                                        ; implicit-def: $vgpr1
.LBB6_1088:                             ;   in Loop: Header=BB6_136 Depth=3
	s_andn2_saveexec_b64 s[26:27], s[94:95]
	s_cbranch_execz .LBB6_1090
; %bb.1089:                             ;   in Loop: Header=BB6_136 Depth=3
	v_or_b32_sdwa v0, v1, s86 dst_sel:DWORD dst_unused:UNUSED_PAD src0_sel:BYTE_3 src1_sel:DWORD
	buffer_store_dword v0, off, s[0:3], s33 offset:260 ; 4-byte Folded Spill
.LBB6_1090:                             ;   in Loop: Header=BB6_136 Depth=3
	s_or_b64 exec, exec, s[26:27]
	v_cmp_lt_u32_e32 vcc, s57, v10
	v_mov_b32_e32 v0, 0
	s_and_saveexec_b64 s[26:27], vcc
	s_cbranch_execz .LBB6_1096
; %bb.1091:                             ;   in Loop: Header=BB6_136 Depth=3
	v_lshrrev_b32_e32 v8, 24, v10
	v_cmp_ne_u32_e32 vcc, s96, v8
	v_bfrev_b32_e32 v0, 1
	s_and_saveexec_b64 s[94:95], vcc
	s_cbranch_execz .LBB6_1095
; %bb.1092:                             ;   in Loop: Header=BB6_136 Depth=3
	v_bfe_u32 v1, v10, 24, 7
	v_cmp_ne_u32_e32 vcc, s86, v1
	v_mov_b32_e32 v0, 0x7f800001
	s_and_saveexec_b64 s[30:31], vcc
	s_cbranch_execz .LBB6_1094
; %bb.1093:                             ;   in Loop: Header=BB6_136 Depth=3
	v_and_b32_e32 v2, 7, v8
	v_ffbh_u32_e32 v0, v2
	v_min_u32_e32 v4, 32, v0
	v_subrev_u32_e32 v0, 28, v4
	v_lshrrev_b32_e32 v3, 3, v1
	v_cmp_gt_u32_e32 vcc, 8, v1
	v_lshlrev_b64 v[0:1], v0, v[8:9]
	v_sub_u32_e32 v1, 29, v4
	v_and_b32_e32 v0, 7, v0
	v_cndmask_b32_e32 v1, v3, v1, vcc
	v_cndmask_b32_e32 v0, v2, v0, vcc
	v_lshlrev_b32_e32 v2, 24, v8
	v_bfrev_b32_e32 v3, 60
	v_lshlrev_b32_e32 v0, 20, v0
	v_and_b32_e32 v2, 0x80000000, v2
	v_lshl_add_u32 v1, v1, 23, v3
	v_or3_b32 v0, v2, v1, v0
.LBB6_1094:                             ;   in Loop: Header=BB6_136 Depth=3
	s_or_b64 exec, exec, s[30:31]
.LBB6_1095:                             ;   in Loop: Header=BB6_136 Depth=3
	s_or_b64 exec, exec, s[94:95]
.LBB6_1096:                             ;   in Loop: Header=BB6_136 Depth=3
	s_or_b64 exec, exec, s[26:27]
	v_mul_f32_e32 v1, v18, v0
	v_and_b32_e32 v2, 0x7f800000, v1
	v_mov_b32_e32 v3, v51
	v_cmp_ne_u64_e32 vcc, s[76:77], v[2:3]
                                        ; implicit-def: $vgpr0
                                        ; kill: killed $vgpr0
	s_and_saveexec_b64 s[26:27], vcc
	s_xor_b64 s[94:95], exec, s[26:27]
	s_cbranch_execz .LBB6_1110
; %bb.1097:                             ;   in Loop: Header=BB6_136 Depth=3
	v_and_b32_e32 v2, 0x7fffffff, v1
	v_mov_b32_e32 v3, v51
	v_cmp_gt_u64_e32 vcc, s[78:79], v[2:3]
	v_and_b32_sdwa v0, v1, s96 dst_sel:DWORD dst_unused:UNUSED_PAD src0_sel:BYTE_3 src1_sel:DWORD
                                        ; implicit-def: $vgpr2
                                        ; kill: killed $vgpr2
	s_and_saveexec_b64 s[26:27], vcc
	s_xor_b64 s[30:31], exec, s[26:27]
	s_cbranch_execz .LBB6_1107
; %bb.1098:                             ;   in Loop: Header=BB6_136 Depth=3
	v_mov_b32_e32 v2, 0
	v_cmp_ne_u32_e32 vcc, 0, v1
	buffer_store_dword v2, off, s[0:3], s33 offset:264 ; 4-byte Folded Spill
	s_and_saveexec_b64 s[34:35], vcc
	s_cbranch_execz .LBB6_1106
; %bb.1099:                             ;   in Loop: Header=BB6_136 Depth=3
	v_and_b32_e32 v3, 0x7fffff, v1
	v_bfe_u32 v1, v1, 23, 8
	v_cmp_gt_u32_e64 s[26:27], s97, v1
	v_sub_u32_e32 v2, 0x79, v1
	v_cmp_eq_u32_e32 vcc, 0, v1
	v_cndmask_b32_e64 v2, 0, v2, s[26:27]
	v_mov_b32_e32 v5, 0x78
	v_cndmask_b32_e32 v2, v2, v5, vcc
	v_add_u32_e32 v5, 20, v2
	v_or_b32_e32 v4, 0x800000, v3
	v_lshlrev_b64 v[5:6], v5, -1
	v_add_u32_e32 v7, 19, v2
	v_cndmask_b32_e32 v3, v4, v3, vcc
	v_lshlrev_b64 v[7:8], v7, 1
	v_mov_b32_e32 v4, v51
	v_bfi_b32 v6, v6, 0, 0
	v_bfi_b32 v5, v5, 0, v3
	v_cmp_eq_u64_e64 s[26:27], v[5:6], v[7:8]
	v_lshrrev_b64 v[8:9], v2, v[3:4]
	v_mov_b32_e32 v15, v9
	v_mov_b32_e32 v14, v8
	s_and_saveexec_b64 s[36:37], s[26:27]
; %bb.1100:                             ;   in Loop: Header=BB6_136 Depth=3
	v_bfe_u32 v3, v8, 20, 1
	v_add_co_u32_e64 v3, s[26:27], v8, v3
	v_add_co_u32_e64 v14, s[26:27], -1, v3
; %bb.1101:                             ;   in Loop: Header=BB6_136 Depth=3
	s_or_b64 exec, exec, s[36:37]
	v_add_u32_e32 v1, 0xffffff81, v1
	v_mov_b32_e32 v3, 0xffffff82
	v_cndmask_b32_e32 v1, v1, v3, vcc
	v_lshrrev_b32_e32 v3, 23, v8
	v_add3_u32 v3, v2, v1, v3
	v_add_u32_e32 v2, 6, v3
	v_and_b32_e32 v1, 0xfffff, v14
	v_add_u32_e32 v8, v1, v8
	v_mov_b32_e32 v9, v51
	v_cmp_ne_u32_e32 vcc, 0, v2
                                        ; implicit-def: $vgpr1
	s_and_saveexec_b64 s[26:27], vcc
	s_xor_b64 s[26:27], exec, s[26:27]
; %bb.1102:                             ;   in Loop: Header=BB6_136 Depth=3
	v_cmp_lt_u64_e32 vcc, s[88:89], v[8:9]
	v_add_u32_e32 v1, 7, v3
	v_cndmask_b32_e32 v1, v2, v1, vcc
	v_cndmask_b32_e64 v2, 0, 1, vcc
	v_lshrrev_b64 v[8:9], v2, v[8:9]
; %bb.1103:                             ;   in Loop: Header=BB6_136 Depth=3
	s_andn2_saveexec_b64 s[26:27], s[26:27]
; %bb.1104:                             ;   in Loop: Header=BB6_136 Depth=3
	v_bfe_u32 v1, v8, 23, 1
; %bb.1105:                             ;   in Loop: Header=BB6_136 Depth=3
	s_or_b64 exec, exec, s[26:27]
	v_lshrrev_b64 v[2:3], 20, v[8:9]
	v_cmp_gt_i32_e32 vcc, 16, v1
	v_cndmask_b32_e32 v3, 0, v3, vcc
	v_cndmask_b32_e32 v2, 7, v2, vcc
	v_cmp_eq_u32_e32 vcc, 0, v1
	v_min_i32_e32 v1, 15, v1
	v_cmp_eq_u64_e64 s[26:27], 0, v[2:3]
	v_lshlrev_b32_e32 v1, 3, v1
	v_and_b32_e32 v1, 0xf8, v1
	v_and_or_b32 v1, v2, 7, v1
	s_and_b64 s[26:27], vcc, s[26:27]
	v_cndmask_b32_e64 v1, v1, 0, s[26:27]
	v_or_b32_e32 v0, v1, v0
	buffer_store_dword v0, off, s[0:3], s33 offset:264 ; 4-byte Folded Spill
.LBB6_1106:                             ;   in Loop: Header=BB6_136 Depth=3
	s_or_b64 exec, exec, s[34:35]
                                        ; implicit-def: $vgpr0
.LBB6_1107:                             ;   in Loop: Header=BB6_136 Depth=3
	s_andn2_saveexec_b64 s[26:27], s[30:31]
	s_cbranch_execz .LBB6_1109
; %bb.1108:                             ;   in Loop: Header=BB6_136 Depth=3
	v_or_b32_e32 v0, 0x7e, v0
	buffer_store_dword v0, off, s[0:3], s33 offset:264 ; 4-byte Folded Spill
.LBB6_1109:                             ;   in Loop: Header=BB6_136 Depth=3
	s_or_b64 exec, exec, s[26:27]
                                        ; implicit-def: $vgpr1
.LBB6_1110:                             ;   in Loop: Header=BB6_136 Depth=3
	s_andn2_saveexec_b64 s[26:27], s[94:95]
	s_cbranch_execz .LBB6_1112
; %bb.1111:                             ;   in Loop: Header=BB6_136 Depth=3
	v_or_b32_sdwa v0, v1, s86 dst_sel:DWORD dst_unused:UNUSED_PAD src0_sel:BYTE_3 src1_sel:DWORD
	buffer_store_dword v0, off, s[0:3], s33 offset:264 ; 4-byte Folded Spill
.LBB6_1112:                             ;   in Loop: Header=BB6_136 Depth=3
	s_or_b64 exec, exec, s[26:27]
	v_mov_b32_e32 v8, v11
	v_mov_b32_e32 v9, v51
	v_cmp_ne_u16_sdwa s[94:95], v11, v51 src0_sel:BYTE_0 src1_sel:DWORD
	v_mov_b32_e32 v0, 0
	s_and_saveexec_b64 s[26:27], s[94:95]
	s_cbranch_execz .LBB6_1118
; %bb.1113:                             ;   in Loop: Header=BB6_136 Depth=3
	v_cmp_ne_u16_sdwa vcc, v11, s96 src0_sel:BYTE_0 src1_sel:DWORD
	v_bfrev_b32_e32 v0, 1
	s_and_saveexec_b64 s[94:95], vcc
	s_cbranch_execz .LBB6_1117
; %bb.1114:                             ;   in Loop: Header=BB6_136 Depth=3
	v_and_b32_e32 v1, 0x7f, v11
	v_cmp_ne_u32_e32 vcc, s86, v1
	v_mov_b32_e32 v0, 0x7f800001
	s_and_saveexec_b64 s[30:31], vcc
	s_cbranch_execz .LBB6_1116
; %bb.1115:                             ;   in Loop: Header=BB6_136 Depth=3
	v_and_b32_e32 v0, 7, v11
	v_ffbh_u32_e32 v0, v0
	v_min_u32_e32 v0, 32, v0
	v_lshrrev_b32_e32 v2, 3, v1
	v_cmp_gt_u32_e32 vcc, 8, v1
	v_subrev_u32_e32 v1, 28, v0
	v_sub_u32_e32 v0, 29, v0
	v_cndmask_b32_e32 v2, v2, v0, vcc
	v_cndmask_b32_e32 v0, 0, v1, vcc
	v_lshlrev_b64 v[0:1], v0, v[8:9]
	v_lshlrev_b32_e32 v1, 24, v8
	v_lshlrev_b32_e32 v0, 20, v0
	v_bfrev_b32_e32 v3, 60
	v_and_b32_e32 v0, 0x700000, v0
	v_and_b32_e32 v1, 0x80000000, v1
	v_lshl_add_u32 v2, v2, 23, v3
	v_or3_b32 v0, v1, v2, v0
.LBB6_1116:                             ;   in Loop: Header=BB6_136 Depth=3
	s_or_b64 exec, exec, s[30:31]
.LBB6_1117:                             ;   in Loop: Header=BB6_136 Depth=3
	s_or_b64 exec, exec, s[94:95]
.LBB6_1118:                             ;   in Loop: Header=BB6_136 Depth=3
	s_or_b64 exec, exec, s[26:27]
	v_mul_f32_e32 v1, v18, v0
	v_and_b32_e32 v2, 0x7f800000, v1
	v_mov_b32_e32 v3, v51
	v_cmp_ne_u64_e32 vcc, s[76:77], v[2:3]
                                        ; implicit-def: $vgpr0
                                        ; kill: killed $vgpr0
	s_and_saveexec_b64 s[26:27], vcc
	s_xor_b64 s[94:95], exec, s[26:27]
	s_cbranch_execz .LBB6_1132
; %bb.1119:                             ;   in Loop: Header=BB6_136 Depth=3
	v_and_b32_e32 v2, 0x7fffffff, v1
	v_mov_b32_e32 v3, v51
	v_cmp_gt_u64_e32 vcc, s[78:79], v[2:3]
	v_and_b32_sdwa v0, v1, s96 dst_sel:DWORD dst_unused:UNUSED_PAD src0_sel:BYTE_3 src1_sel:DWORD
                                        ; implicit-def: $vgpr2
                                        ; kill: killed $vgpr2
	s_and_saveexec_b64 s[26:27], vcc
	s_xor_b64 s[30:31], exec, s[26:27]
	s_cbranch_execz .LBB6_1129
; %bb.1120:                             ;   in Loop: Header=BB6_136 Depth=3
	v_mov_b32_e32 v2, 0
	v_cmp_ne_u32_e32 vcc, 0, v1
	buffer_store_dword v2, off, s[0:3], s33 offset:268 ; 4-byte Folded Spill
	s_and_saveexec_b64 s[34:35], vcc
	s_cbranch_execz .LBB6_1128
; %bb.1121:                             ;   in Loop: Header=BB6_136 Depth=3
	v_and_b32_e32 v3, 0x7fffff, v1
	v_bfe_u32 v1, v1, 23, 8
	v_cmp_gt_u32_e64 s[26:27], s97, v1
	v_sub_u32_e32 v2, 0x79, v1
	v_cmp_eq_u32_e32 vcc, 0, v1
	v_cndmask_b32_e64 v2, 0, v2, s[26:27]
	v_mov_b32_e32 v5, 0x78
	v_cndmask_b32_e32 v2, v2, v5, vcc
	v_add_u32_e32 v5, 20, v2
	v_or_b32_e32 v4, 0x800000, v3
	v_lshlrev_b64 v[5:6], v5, -1
	v_add_u32_e32 v7, 19, v2
	v_cndmask_b32_e32 v3, v4, v3, vcc
	v_lshlrev_b64 v[14:15], v7, 1
	v_mov_b32_e32 v4, v51
	v_bfi_b32 v6, v6, 0, 0
	v_bfi_b32 v5, v5, 0, v3
	v_cmp_eq_u64_e64 s[26:27], v[5:6], v[14:15]
	v_lshrrev_b64 v[14:15], v2, v[3:4]
	v_mov_b32_e32 v16, v15
	v_mov_b32_e32 v15, v14
	s_and_saveexec_b64 s[36:37], s[26:27]
; %bb.1122:                             ;   in Loop: Header=BB6_136 Depth=3
	v_bfe_u32 v3, v14, 20, 1
	v_add_co_u32_e64 v3, s[26:27], v14, v3
	v_add_co_u32_e64 v15, s[26:27], -1, v3
; %bb.1123:                             ;   in Loop: Header=BB6_136 Depth=3
	s_or_b64 exec, exec, s[36:37]
	v_add_u32_e32 v1, 0xffffff81, v1
	v_mov_b32_e32 v3, 0xffffff82
	v_cndmask_b32_e32 v1, v1, v3, vcc
	v_lshrrev_b32_e32 v3, 23, v14
	v_add3_u32 v3, v2, v1, v3
	v_add_u32_e32 v2, 6, v3
	v_and_b32_e32 v1, 0xfffff, v15
	v_add_u32_e32 v14, v1, v14
	v_mov_b32_e32 v15, v51
	v_cmp_ne_u32_e32 vcc, 0, v2
                                        ; implicit-def: $vgpr1
	s_and_saveexec_b64 s[26:27], vcc
	s_xor_b64 s[26:27], exec, s[26:27]
; %bb.1124:                             ;   in Loop: Header=BB6_136 Depth=3
	v_cmp_lt_u64_e32 vcc, s[88:89], v[14:15]
	v_add_u32_e32 v1, 7, v3
	v_cndmask_b32_e32 v1, v2, v1, vcc
	v_cndmask_b32_e64 v2, 0, 1, vcc
	v_lshrrev_b64 v[14:15], v2, v[14:15]
; %bb.1125:                             ;   in Loop: Header=BB6_136 Depth=3
	s_andn2_saveexec_b64 s[26:27], s[26:27]
; %bb.1126:                             ;   in Loop: Header=BB6_136 Depth=3
	v_bfe_u32 v1, v14, 23, 1
; %bb.1127:                             ;   in Loop: Header=BB6_136 Depth=3
	s_or_b64 exec, exec, s[26:27]
	v_lshrrev_b64 v[2:3], 20, v[14:15]
	v_cmp_gt_i32_e32 vcc, 16, v1
	v_cndmask_b32_e32 v3, 0, v3, vcc
	v_cndmask_b32_e32 v2, 7, v2, vcc
	v_cmp_eq_u32_e32 vcc, 0, v1
	v_min_i32_e32 v1, 15, v1
	v_cmp_eq_u64_e64 s[26:27], 0, v[2:3]
	v_lshlrev_b32_e32 v1, 3, v1
	v_and_b32_e32 v1, 0xf8, v1
	v_and_or_b32 v1, v2, 7, v1
	s_and_b64 s[26:27], vcc, s[26:27]
	v_cndmask_b32_e64 v1, v1, 0, s[26:27]
	v_or_b32_e32 v0, v1, v0
	buffer_store_dword v0, off, s[0:3], s33 offset:268 ; 4-byte Folded Spill
.LBB6_1128:                             ;   in Loop: Header=BB6_136 Depth=3
	s_or_b64 exec, exec, s[34:35]
                                        ; implicit-def: $vgpr0
.LBB6_1129:                             ;   in Loop: Header=BB6_136 Depth=3
	s_andn2_saveexec_b64 s[26:27], s[30:31]
	s_cbranch_execz .LBB6_1131
; %bb.1130:                             ;   in Loop: Header=BB6_136 Depth=3
	v_or_b32_e32 v0, 0x7e, v0
	buffer_store_dword v0, off, s[0:3], s33 offset:268 ; 4-byte Folded Spill
.LBB6_1131:                             ;   in Loop: Header=BB6_136 Depth=3
	s_or_b64 exec, exec, s[26:27]
                                        ; implicit-def: $vgpr1
.LBB6_1132:                             ;   in Loop: Header=BB6_136 Depth=3
	s_andn2_saveexec_b64 s[26:27], s[94:95]
	s_cbranch_execz .LBB6_1134
; %bb.1133:                             ;   in Loop: Header=BB6_136 Depth=3
	v_or_b32_sdwa v0, v1, s86 dst_sel:DWORD dst_unused:UNUSED_PAD src0_sel:BYTE_3 src1_sel:DWORD
	buffer_store_dword v0, off, s[0:3], s33 offset:268 ; 4-byte Folded Spill
.LBB6_1134:                             ;   in Loop: Header=BB6_136 Depth=3
	s_or_b64 exec, exec, s[26:27]
	v_lshrrev_b16_e32 v9, 8, v8
	v_cmp_ne_u16_e32 vcc, 0, v9
	v_mov_b32_e32 v0, 0
	s_and_saveexec_b64 s[26:27], vcc
	s_cbranch_execz .LBB6_1140
; %bb.1135:                             ;   in Loop: Header=BB6_136 Depth=3
	v_cmp_ne_u16_e32 vcc, s96, v9
	v_bfrev_b32_e32 v0, 1
	s_and_saveexec_b64 s[94:95], vcc
	s_cbranch_execz .LBB6_1139
; %bb.1136:                             ;   in Loop: Header=BB6_136 Depth=3
	v_and_b32_e32 v1, 0x7f, v9
	v_cmp_ne_u32_e32 vcc, s86, v1
	v_mov_b32_e32 v0, 0x7f800001
	s_and_saveexec_b64 s[30:31], vcc
	s_cbranch_execz .LBB6_1138
; %bb.1137:                             ;   in Loop: Header=BB6_136 Depth=3
	v_and_b32_e32 v2, 7, v9
	v_ffbh_u32_e32 v0, v2
	v_min_u32_e32 v4, 32, v0
	v_subrev_u32_e32 v0, 28, v4
	v_lshrrev_b32_e32 v3, 3, v1
	v_cmp_gt_u32_e32 vcc, 8, v1
	v_lshlrev_b64 v[0:1], v0, v[9:10]
	v_sub_u32_e32 v1, 29, v4
	v_and_b32_e32 v0, 7, v0
	v_cndmask_b32_e32 v1, v3, v1, vcc
	v_cndmask_b32_e32 v0, v2, v0, vcc
	v_lshlrev_b32_e32 v2, 16, v8
	v_bfrev_b32_e32 v3, 60
	v_lshlrev_b32_e32 v0, 20, v0
	v_and_b32_e32 v2, 0x80000000, v2
	v_lshl_add_u32 v1, v1, 23, v3
	v_or3_b32 v0, v2, v1, v0
.LBB6_1138:                             ;   in Loop: Header=BB6_136 Depth=3
	s_or_b64 exec, exec, s[30:31]
.LBB6_1139:                             ;   in Loop: Header=BB6_136 Depth=3
	s_or_b64 exec, exec, s[94:95]
.LBB6_1140:                             ;   in Loop: Header=BB6_136 Depth=3
	s_or_b64 exec, exec, s[26:27]
	v_mul_f32_e32 v1, v18, v0
	v_and_b32_e32 v2, 0x7f800000, v1
	v_mov_b32_e32 v3, v51
	v_cmp_ne_u64_e32 vcc, s[76:77], v[2:3]
                                        ; implicit-def: $vgpr0
                                        ; kill: killed $vgpr0
	s_and_saveexec_b64 s[26:27], vcc
	s_xor_b64 s[94:95], exec, s[26:27]
	s_cbranch_execz .LBB6_1154
; %bb.1141:                             ;   in Loop: Header=BB6_136 Depth=3
	v_and_b32_e32 v2, 0x7fffffff, v1
	v_mov_b32_e32 v3, v51
	v_cmp_gt_u64_e32 vcc, s[78:79], v[2:3]
	v_and_b32_sdwa v0, v1, s96 dst_sel:DWORD dst_unused:UNUSED_PAD src0_sel:BYTE_3 src1_sel:DWORD
                                        ; implicit-def: $vgpr2
                                        ; kill: killed $vgpr2
	s_and_saveexec_b64 s[26:27], vcc
	s_xor_b64 s[30:31], exec, s[26:27]
	s_cbranch_execz .LBB6_1151
; %bb.1142:                             ;   in Loop: Header=BB6_136 Depth=3
	v_mov_b32_e32 v2, 0
	v_cmp_ne_u32_e32 vcc, 0, v1
	buffer_store_dword v2, off, s[0:3], s33 offset:272 ; 4-byte Folded Spill
	s_and_saveexec_b64 s[34:35], vcc
	s_cbranch_execz .LBB6_1150
; %bb.1143:                             ;   in Loop: Header=BB6_136 Depth=3
	v_and_b32_e32 v3, 0x7fffff, v1
	v_bfe_u32 v1, v1, 23, 8
	v_cmp_gt_u32_e64 s[26:27], s97, v1
	v_sub_u32_e32 v2, 0x79, v1
	v_cmp_eq_u32_e32 vcc, 0, v1
	v_cndmask_b32_e64 v2, 0, v2, s[26:27]
	v_mov_b32_e32 v5, 0x78
	v_cndmask_b32_e32 v2, v2, v5, vcc
	v_add_u32_e32 v5, 20, v2
	v_or_b32_e32 v4, 0x800000, v3
	v_lshlrev_b64 v[5:6], v5, -1
	v_add_u32_e32 v7, 19, v2
	v_cndmask_b32_e32 v3, v4, v3, vcc
	v_lshlrev_b64 v[7:8], v7, 1
	v_mov_b32_e32 v4, v51
	v_bfi_b32 v6, v6, 0, 0
	v_bfi_b32 v5, v5, 0, v3
	v_cmp_eq_u64_e64 s[26:27], v[5:6], v[7:8]
	v_lshrrev_b64 v[8:9], v2, v[3:4]
	v_mov_b32_e32 v15, v9
	v_mov_b32_e32 v14, v8
	s_and_saveexec_b64 s[36:37], s[26:27]
; %bb.1144:                             ;   in Loop: Header=BB6_136 Depth=3
	v_bfe_u32 v3, v8, 20, 1
	v_add_co_u32_e64 v3, s[26:27], v8, v3
	v_add_co_u32_e64 v14, s[26:27], -1, v3
; %bb.1145:                             ;   in Loop: Header=BB6_136 Depth=3
	s_or_b64 exec, exec, s[36:37]
	v_add_u32_e32 v1, 0xffffff81, v1
	v_mov_b32_e32 v3, 0xffffff82
	v_cndmask_b32_e32 v1, v1, v3, vcc
	v_lshrrev_b32_e32 v3, 23, v8
	v_add3_u32 v3, v2, v1, v3
	v_add_u32_e32 v2, 6, v3
	v_and_b32_e32 v1, 0xfffff, v14
	v_add_u32_e32 v8, v1, v8
	v_mov_b32_e32 v9, v51
	v_cmp_ne_u32_e32 vcc, 0, v2
                                        ; implicit-def: $vgpr1
	s_and_saveexec_b64 s[26:27], vcc
	s_xor_b64 s[26:27], exec, s[26:27]
; %bb.1146:                             ;   in Loop: Header=BB6_136 Depth=3
	v_cmp_lt_u64_e32 vcc, s[88:89], v[8:9]
	v_add_u32_e32 v1, 7, v3
	v_cndmask_b32_e32 v1, v2, v1, vcc
	v_cndmask_b32_e64 v2, 0, 1, vcc
	v_lshrrev_b64 v[8:9], v2, v[8:9]
; %bb.1147:                             ;   in Loop: Header=BB6_136 Depth=3
	s_andn2_saveexec_b64 s[26:27], s[26:27]
; %bb.1148:                             ;   in Loop: Header=BB6_136 Depth=3
	v_bfe_u32 v1, v8, 23, 1
; %bb.1149:                             ;   in Loop: Header=BB6_136 Depth=3
	s_or_b64 exec, exec, s[26:27]
	v_lshrrev_b64 v[2:3], 20, v[8:9]
	v_cmp_gt_i32_e32 vcc, 16, v1
	v_cndmask_b32_e32 v3, 0, v3, vcc
	v_cndmask_b32_e32 v2, 7, v2, vcc
	v_cmp_eq_u32_e32 vcc, 0, v1
	v_min_i32_e32 v1, 15, v1
	v_cmp_eq_u64_e64 s[26:27], 0, v[2:3]
	v_lshlrev_b32_e32 v1, 3, v1
	v_and_b32_e32 v1, 0xf8, v1
	v_and_or_b32 v1, v2, 7, v1
	s_and_b64 s[26:27], vcc, s[26:27]
	v_cndmask_b32_e64 v1, v1, 0, s[26:27]
	v_or_b32_e32 v0, v1, v0
	buffer_store_dword v0, off, s[0:3], s33 offset:272 ; 4-byte Folded Spill
.LBB6_1150:                             ;   in Loop: Header=BB6_136 Depth=3
	s_or_b64 exec, exec, s[34:35]
                                        ; implicit-def: $vgpr0
.LBB6_1151:                             ;   in Loop: Header=BB6_136 Depth=3
	s_andn2_saveexec_b64 s[26:27], s[30:31]
	s_cbranch_execz .LBB6_1153
; %bb.1152:                             ;   in Loop: Header=BB6_136 Depth=3
	v_or_b32_e32 v0, 0x7e, v0
	buffer_store_dword v0, off, s[0:3], s33 offset:272 ; 4-byte Folded Spill
.LBB6_1153:                             ;   in Loop: Header=BB6_136 Depth=3
	s_or_b64 exec, exec, s[26:27]
                                        ; implicit-def: $vgpr1
.LBB6_1154:                             ;   in Loop: Header=BB6_136 Depth=3
	s_andn2_saveexec_b64 s[26:27], s[94:95]
	s_cbranch_execz .LBB6_1156
; %bb.1155:                             ;   in Loop: Header=BB6_136 Depth=3
	v_or_b32_sdwa v0, v1, s86 dst_sel:DWORD dst_unused:UNUSED_PAD src0_sel:BYTE_3 src1_sel:DWORD
	buffer_store_dword v0, off, s[0:3], s33 offset:272 ; 4-byte Folded Spill
.LBB6_1156:                             ;   in Loop: Header=BB6_136 Depth=3
	s_or_b64 exec, exec, s[26:27]
	v_lshrrev_b32_e32 v8, 16, v11
	v_cmp_ne_u16_sdwa s[94:95], v8, v51 src0_sel:BYTE_0 src1_sel:DWORD
	v_mov_b32_e32 v0, 0
	s_and_saveexec_b64 s[26:27], s[94:95]
	s_cbranch_execz .LBB6_1162
; %bb.1157:                             ;   in Loop: Header=BB6_136 Depth=3
	v_cmp_ne_u16_sdwa vcc, v8, s96 src0_sel:BYTE_0 src1_sel:DWORD
	v_bfrev_b32_e32 v0, 1
	s_and_saveexec_b64 s[94:95], vcc
	s_cbranch_execz .LBB6_1161
; %bb.1158:                             ;   in Loop: Header=BB6_136 Depth=3
	v_bfe_u32 v1, v11, 16, 7
	v_cmp_ne_u32_e32 vcc, s86, v1
	v_mov_b32_e32 v0, 0x7f800001
	s_and_saveexec_b64 s[30:31], vcc
	s_cbranch_execz .LBB6_1160
; %bb.1159:                             ;   in Loop: Header=BB6_136 Depth=3
	v_and_b32_e32 v2, 7, v8
	v_ffbh_u32_e32 v0, v2
	v_min_u32_e32 v4, 32, v0
	v_subrev_u32_e32 v0, 28, v4
	v_lshrrev_b32_e32 v3, 3, v1
	v_cmp_gt_u32_e32 vcc, 8, v1
	v_lshlrev_b64 v[0:1], v0, v[8:9]
	v_sub_u32_e32 v1, 29, v4
	v_and_b32_e32 v0, 7, v0
	v_cndmask_b32_e32 v1, v3, v1, vcc
	v_cndmask_b32_e32 v0, v2, v0, vcc
	v_lshlrev_b32_e32 v2, 24, v8
	v_bfrev_b32_e32 v3, 60
	v_lshlrev_b32_e32 v0, 20, v0
	v_and_b32_e32 v2, 0x80000000, v2
	v_lshl_add_u32 v1, v1, 23, v3
	v_or3_b32 v0, v2, v1, v0
.LBB6_1160:                             ;   in Loop: Header=BB6_136 Depth=3
	s_or_b64 exec, exec, s[30:31]
.LBB6_1161:                             ;   in Loop: Header=BB6_136 Depth=3
	s_or_b64 exec, exec, s[94:95]
.LBB6_1162:                             ;   in Loop: Header=BB6_136 Depth=3
	s_or_b64 exec, exec, s[26:27]
	v_mul_f32_e32 v1, v18, v0
	v_and_b32_e32 v2, 0x7f800000, v1
	v_mov_b32_e32 v3, v51
	v_cmp_ne_u64_e32 vcc, s[76:77], v[2:3]
                                        ; implicit-def: $vgpr0
                                        ; kill: killed $vgpr0
	s_and_saveexec_b64 s[26:27], vcc
	s_xor_b64 s[94:95], exec, s[26:27]
	s_cbranch_execz .LBB6_1176
; %bb.1163:                             ;   in Loop: Header=BB6_136 Depth=3
	v_and_b32_e32 v2, 0x7fffffff, v1
	v_mov_b32_e32 v3, v51
	v_cmp_gt_u64_e32 vcc, s[78:79], v[2:3]
	v_and_b32_sdwa v0, v1, s96 dst_sel:DWORD dst_unused:UNUSED_PAD src0_sel:BYTE_3 src1_sel:DWORD
                                        ; implicit-def: $vgpr2
                                        ; kill: killed $vgpr2
	s_and_saveexec_b64 s[26:27], vcc
	s_xor_b64 s[30:31], exec, s[26:27]
	s_cbranch_execz .LBB6_1173
; %bb.1164:                             ;   in Loop: Header=BB6_136 Depth=3
	v_mov_b32_e32 v2, 0
	v_cmp_ne_u32_e32 vcc, 0, v1
	buffer_store_dword v2, off, s[0:3], s33 offset:276 ; 4-byte Folded Spill
	s_and_saveexec_b64 s[34:35], vcc
	s_cbranch_execz .LBB6_1172
; %bb.1165:                             ;   in Loop: Header=BB6_136 Depth=3
	v_and_b32_e32 v3, 0x7fffff, v1
	v_bfe_u32 v1, v1, 23, 8
	v_cmp_gt_u32_e64 s[26:27], s97, v1
	v_sub_u32_e32 v2, 0x79, v1
	v_cmp_eq_u32_e32 vcc, 0, v1
	v_cndmask_b32_e64 v2, 0, v2, s[26:27]
	v_mov_b32_e32 v5, 0x78
	v_cndmask_b32_e32 v2, v2, v5, vcc
	v_add_u32_e32 v5, 20, v2
	v_or_b32_e32 v4, 0x800000, v3
	v_lshlrev_b64 v[5:6], v5, -1
	v_add_u32_e32 v7, 19, v2
	v_cndmask_b32_e32 v3, v4, v3, vcc
	v_lshlrev_b64 v[7:8], v7, 1
	v_mov_b32_e32 v4, v51
	v_bfi_b32 v6, v6, 0, 0
	v_bfi_b32 v5, v5, 0, v3
	v_cmp_eq_u64_e64 s[26:27], v[5:6], v[7:8]
	v_lshrrev_b64 v[8:9], v2, v[3:4]
	v_mov_b32_e32 v15, v9
	v_mov_b32_e32 v14, v8
	s_and_saveexec_b64 s[36:37], s[26:27]
; %bb.1166:                             ;   in Loop: Header=BB6_136 Depth=3
	v_bfe_u32 v3, v8, 20, 1
	v_add_co_u32_e64 v3, s[26:27], v8, v3
	v_add_co_u32_e64 v14, s[26:27], -1, v3
; %bb.1167:                             ;   in Loop: Header=BB6_136 Depth=3
	s_or_b64 exec, exec, s[36:37]
	v_add_u32_e32 v1, 0xffffff81, v1
	v_mov_b32_e32 v3, 0xffffff82
	v_cndmask_b32_e32 v1, v1, v3, vcc
	v_lshrrev_b32_e32 v3, 23, v8
	v_add3_u32 v3, v2, v1, v3
	v_add_u32_e32 v2, 6, v3
	v_and_b32_e32 v1, 0xfffff, v14
	v_add_u32_e32 v8, v1, v8
	v_mov_b32_e32 v9, v51
	v_cmp_ne_u32_e32 vcc, 0, v2
                                        ; implicit-def: $vgpr1
	s_and_saveexec_b64 s[26:27], vcc
	s_xor_b64 s[26:27], exec, s[26:27]
; %bb.1168:                             ;   in Loop: Header=BB6_136 Depth=3
	v_cmp_lt_u64_e32 vcc, s[88:89], v[8:9]
	v_add_u32_e32 v1, 7, v3
	v_cndmask_b32_e32 v1, v2, v1, vcc
	v_cndmask_b32_e64 v2, 0, 1, vcc
	v_lshrrev_b64 v[8:9], v2, v[8:9]
; %bb.1169:                             ;   in Loop: Header=BB6_136 Depth=3
	s_andn2_saveexec_b64 s[26:27], s[26:27]
; %bb.1170:                             ;   in Loop: Header=BB6_136 Depth=3
	v_bfe_u32 v1, v8, 23, 1
; %bb.1171:                             ;   in Loop: Header=BB6_136 Depth=3
	s_or_b64 exec, exec, s[26:27]
	v_lshrrev_b64 v[2:3], 20, v[8:9]
	v_cmp_gt_i32_e32 vcc, 16, v1
	v_cndmask_b32_e32 v3, 0, v3, vcc
	v_cndmask_b32_e32 v2, 7, v2, vcc
	v_cmp_eq_u32_e32 vcc, 0, v1
	v_min_i32_e32 v1, 15, v1
	v_cmp_eq_u64_e64 s[26:27], 0, v[2:3]
	v_lshlrev_b32_e32 v1, 3, v1
	v_and_b32_e32 v1, 0xf8, v1
	v_and_or_b32 v1, v2, 7, v1
	s_and_b64 s[26:27], vcc, s[26:27]
	v_cndmask_b32_e64 v1, v1, 0, s[26:27]
	v_or_b32_e32 v0, v1, v0
	buffer_store_dword v0, off, s[0:3], s33 offset:276 ; 4-byte Folded Spill
.LBB6_1172:                             ;   in Loop: Header=BB6_136 Depth=3
	s_or_b64 exec, exec, s[34:35]
                                        ; implicit-def: $vgpr0
.LBB6_1173:                             ;   in Loop: Header=BB6_136 Depth=3
	s_andn2_saveexec_b64 s[26:27], s[30:31]
	s_cbranch_execz .LBB6_1175
; %bb.1174:                             ;   in Loop: Header=BB6_136 Depth=3
	v_or_b32_e32 v0, 0x7e, v0
	buffer_store_dword v0, off, s[0:3], s33 offset:276 ; 4-byte Folded Spill
.LBB6_1175:                             ;   in Loop: Header=BB6_136 Depth=3
	s_or_b64 exec, exec, s[26:27]
                                        ; implicit-def: $vgpr1
.LBB6_1176:                             ;   in Loop: Header=BB6_136 Depth=3
	s_andn2_saveexec_b64 s[26:27], s[94:95]
	s_cbranch_execz .LBB6_1178
; %bb.1177:                             ;   in Loop: Header=BB6_136 Depth=3
	v_or_b32_sdwa v0, v1, s86 dst_sel:DWORD dst_unused:UNUSED_PAD src0_sel:BYTE_3 src1_sel:DWORD
	buffer_store_dword v0, off, s[0:3], s33 offset:276 ; 4-byte Folded Spill
.LBB6_1178:                             ;   in Loop: Header=BB6_136 Depth=3
	s_or_b64 exec, exec, s[26:27]
	v_cmp_lt_u64_e32 vcc, s[56:57], v[10:11]
	v_mov_b32_e32 v0, 0
	s_and_saveexec_b64 s[26:27], vcc
	s_cbranch_execz .LBB6_1184
; %bb.1179:                             ;   in Loop: Header=BB6_136 Depth=3
	v_lshrrev_b32_e32 v8, 24, v11
	v_cmp_ne_u32_e32 vcc, s96, v8
	v_bfrev_b32_e32 v0, 1
	s_and_saveexec_b64 s[94:95], vcc
	s_cbranch_execz .LBB6_1183
; %bb.1180:                             ;   in Loop: Header=BB6_136 Depth=3
	v_bfe_u32 v1, v11, 24, 7
	v_cmp_ne_u32_e32 vcc, s86, v1
	v_mov_b32_e32 v0, 0x7f800001
	s_and_saveexec_b64 s[30:31], vcc
	s_cbranch_execz .LBB6_1182
; %bb.1181:                             ;   in Loop: Header=BB6_136 Depth=3
	v_and_b32_e32 v2, 7, v8
	v_ffbh_u32_e32 v0, v2
	v_min_u32_e32 v4, 32, v0
	v_subrev_u32_e32 v0, 28, v4
	v_lshrrev_b32_e32 v3, 3, v1
	v_cmp_gt_u32_e32 vcc, 8, v1
	v_lshlrev_b64 v[0:1], v0, v[8:9]
	v_sub_u32_e32 v1, 29, v4
	v_and_b32_e32 v0, 7, v0
	v_cndmask_b32_e32 v1, v3, v1, vcc
	v_cndmask_b32_e32 v0, v2, v0, vcc
	v_lshlrev_b32_e32 v2, 24, v8
	v_bfrev_b32_e32 v3, 60
	v_lshlrev_b32_e32 v0, 20, v0
	v_and_b32_e32 v2, 0x80000000, v2
	v_lshl_add_u32 v1, v1, 23, v3
	v_or3_b32 v0, v2, v1, v0
.LBB6_1182:                             ;   in Loop: Header=BB6_136 Depth=3
	s_or_b64 exec, exec, s[30:31]
.LBB6_1183:                             ;   in Loop: Header=BB6_136 Depth=3
	s_or_b64 exec, exec, s[94:95]
.LBB6_1184:                             ;   in Loop: Header=BB6_136 Depth=3
	s_or_b64 exec, exec, s[26:27]
	v_mul_f32_e32 v1, v18, v0
	v_and_b32_e32 v2, 0x7f800000, v1
	v_mov_b32_e32 v3, v51
	v_cmp_ne_u64_e32 vcc, s[76:77], v[2:3]
                                        ; implicit-def: $vgpr0
                                        ; kill: killed $vgpr0
	s_and_saveexec_b64 s[26:27], vcc
	s_xor_b64 s[94:95], exec, s[26:27]
	s_cbranch_execz .LBB6_1198
; %bb.1185:                             ;   in Loop: Header=BB6_136 Depth=3
	v_and_b32_e32 v2, 0x7fffffff, v1
	v_mov_b32_e32 v3, v51
	v_cmp_gt_u64_e32 vcc, s[78:79], v[2:3]
	v_and_b32_sdwa v0, v1, s96 dst_sel:DWORD dst_unused:UNUSED_PAD src0_sel:BYTE_3 src1_sel:DWORD
                                        ; implicit-def: $vgpr2
                                        ; kill: killed $vgpr2
	s_and_saveexec_b64 s[26:27], vcc
	s_xor_b64 s[30:31], exec, s[26:27]
	s_cbranch_execz .LBB6_1195
; %bb.1186:                             ;   in Loop: Header=BB6_136 Depth=3
	v_mov_b32_e32 v2, 0
	v_cmp_ne_u32_e32 vcc, 0, v1
	buffer_store_dword v2, off, s[0:3], s33 offset:280 ; 4-byte Folded Spill
	s_and_saveexec_b64 s[34:35], vcc
	s_cbranch_execz .LBB6_1194
; %bb.1187:                             ;   in Loop: Header=BB6_136 Depth=3
	v_and_b32_e32 v3, 0x7fffff, v1
	v_bfe_u32 v1, v1, 23, 8
	v_cmp_gt_u32_e64 s[26:27], s97, v1
	v_sub_u32_e32 v2, 0x79, v1
	v_cmp_eq_u32_e32 vcc, 0, v1
	v_cndmask_b32_e64 v2, 0, v2, s[26:27]
	v_mov_b32_e32 v5, 0x78
	v_cndmask_b32_e32 v2, v2, v5, vcc
	v_add_u32_e32 v5, 20, v2
	v_or_b32_e32 v4, 0x800000, v3
	v_lshlrev_b64 v[5:6], v5, -1
	v_add_u32_e32 v7, 19, v2
	v_cndmask_b32_e32 v3, v4, v3, vcc
	v_lshlrev_b64 v[7:8], v7, 1
	v_mov_b32_e32 v4, v51
	v_bfi_b32 v6, v6, 0, 0
	v_bfi_b32 v5, v5, 0, v3
	v_cmp_eq_u64_e64 s[26:27], v[5:6], v[7:8]
	v_lshrrev_b64 v[8:9], v2, v[3:4]
	v_mov_b32_e32 v10, v9
	v_mov_b32_e32 v9, v8
	s_and_saveexec_b64 s[36:37], s[26:27]
; %bb.1188:                             ;   in Loop: Header=BB6_136 Depth=3
	v_bfe_u32 v3, v8, 20, 1
	v_add_co_u32_e64 v3, s[26:27], v8, v3
	v_add_co_u32_e64 v9, s[26:27], -1, v3
; %bb.1189:                             ;   in Loop: Header=BB6_136 Depth=3
	s_or_b64 exec, exec, s[36:37]
	v_add_u32_e32 v1, 0xffffff81, v1
	v_mov_b32_e32 v3, 0xffffff82
	v_cndmask_b32_e32 v1, v1, v3, vcc
	v_lshrrev_b32_e32 v3, 23, v8
	v_add3_u32 v3, v2, v1, v3
	v_add_u32_e32 v2, 6, v3
	v_and_b32_e32 v1, 0xfffff, v9
	v_add_u32_e32 v8, v1, v8
	v_mov_b32_e32 v9, v51
	v_cmp_ne_u32_e32 vcc, 0, v2
                                        ; implicit-def: $vgpr1
	s_and_saveexec_b64 s[26:27], vcc
	s_xor_b64 s[26:27], exec, s[26:27]
; %bb.1190:                             ;   in Loop: Header=BB6_136 Depth=3
	v_cmp_lt_u64_e32 vcc, s[88:89], v[8:9]
	v_add_u32_e32 v1, 7, v3
	v_cndmask_b32_e32 v1, v2, v1, vcc
	v_cndmask_b32_e64 v2, 0, 1, vcc
	v_lshrrev_b64 v[8:9], v2, v[8:9]
; %bb.1191:                             ;   in Loop: Header=BB6_136 Depth=3
	s_andn2_saveexec_b64 s[26:27], s[26:27]
; %bb.1192:                             ;   in Loop: Header=BB6_136 Depth=3
	v_bfe_u32 v1, v8, 23, 1
; %bb.1193:                             ;   in Loop: Header=BB6_136 Depth=3
	s_or_b64 exec, exec, s[26:27]
	v_lshrrev_b64 v[2:3], 20, v[8:9]
	v_cmp_gt_i32_e32 vcc, 16, v1
	v_cndmask_b32_e32 v3, 0, v3, vcc
	v_cndmask_b32_e32 v2, 7, v2, vcc
	v_cmp_eq_u32_e32 vcc, 0, v1
	v_min_i32_e32 v1, 15, v1
	v_cmp_eq_u64_e64 s[26:27], 0, v[2:3]
	v_lshlrev_b32_e32 v1, 3, v1
	v_and_b32_e32 v1, 0xf8, v1
	v_and_or_b32 v1, v2, 7, v1
	s_and_b64 s[26:27], vcc, s[26:27]
	v_cndmask_b32_e64 v1, v1, 0, s[26:27]
	v_or_b32_e32 v0, v1, v0
	buffer_store_dword v0, off, s[0:3], s33 offset:280 ; 4-byte Folded Spill
.LBB6_1194:                             ;   in Loop: Header=BB6_136 Depth=3
	s_or_b64 exec, exec, s[34:35]
                                        ; implicit-def: $vgpr0
.LBB6_1195:                             ;   in Loop: Header=BB6_136 Depth=3
	s_andn2_saveexec_b64 s[26:27], s[30:31]
	s_cbranch_execz .LBB6_1197
; %bb.1196:                             ;   in Loop: Header=BB6_136 Depth=3
	v_or_b32_e32 v0, 0x7e, v0
	buffer_store_dword v0, off, s[0:3], s33 offset:280 ; 4-byte Folded Spill
.LBB6_1197:                             ;   in Loop: Header=BB6_136 Depth=3
	s_or_b64 exec, exec, s[26:27]
                                        ; implicit-def: $vgpr1
.LBB6_1198:                             ;   in Loop: Header=BB6_136 Depth=3
	s_andn2_saveexec_b64 s[26:27], s[94:95]
	s_cbranch_execz .LBB6_1200
; %bb.1199:                             ;   in Loop: Header=BB6_136 Depth=3
	v_or_b32_sdwa v0, v1, s86 dst_sel:DWORD dst_unused:UNUSED_PAD src0_sel:BYTE_3 src1_sel:DWORD
	buffer_store_dword v0, off, s[0:3], s33 offset:280 ; 4-byte Folded Spill
.LBB6_1200:                             ;   in Loop: Header=BB6_136 Depth=3
	s_or_b64 exec, exec, s[26:27]
	global_load_dwordx4 v[8:11], v[12:13], off offset:3072 glc slc
	v_mov_b32_e32 v0, 0
	s_waitcnt vmcnt(0)
	v_cmp_ne_u16_sdwa s[94:95], v8, v51 src0_sel:BYTE_0 src1_sel:DWORD
	s_and_saveexec_b64 s[26:27], s[94:95]
	s_cbranch_execz .LBB6_1206
; %bb.1201:                             ;   in Loop: Header=BB6_136 Depth=3
	v_cmp_ne_u16_sdwa vcc, v8, s96 src0_sel:BYTE_0 src1_sel:DWORD
	v_bfrev_b32_e32 v0, 1
	s_and_saveexec_b64 s[94:95], vcc
	s_cbranch_execz .LBB6_1205
; %bb.1202:                             ;   in Loop: Header=BB6_136 Depth=3
	v_and_b32_e32 v1, 0x7f, v8
	v_cmp_ne_u32_e32 vcc, s86, v1
	v_mov_b32_e32 v0, 0x7f800001
	s_and_saveexec_b64 s[30:31], vcc
	s_cbranch_execz .LBB6_1204
; %bb.1203:                             ;   in Loop: Header=BB6_136 Depth=3
	v_and_b32_e32 v0, 7, v8
	v_ffbh_u32_e32 v0, v0
	v_min_u32_e32 v0, 32, v0
	v_lshrrev_b32_e32 v2, 3, v1
	v_cmp_gt_u32_e32 vcc, 8, v1
	v_subrev_u32_e32 v1, 28, v0
	v_sub_u32_e32 v0, 29, v0
	v_cndmask_b32_e32 v2, v2, v0, vcc
	v_cndmask_b32_e32 v0, 0, v1, vcc
	v_lshlrev_b64 v[0:1], v0, v[8:9]
	v_lshlrev_b32_e32 v1, 24, v8
	v_lshlrev_b32_e32 v0, 20, v0
	v_bfrev_b32_e32 v3, 60
	v_and_b32_e32 v0, 0x700000, v0
	v_and_b32_e32 v1, 0x80000000, v1
	v_lshl_add_u32 v2, v2, 23, v3
	v_or3_b32 v0, v1, v2, v0
.LBB6_1204:                             ;   in Loop: Header=BB6_136 Depth=3
	s_or_b64 exec, exec, s[30:31]
.LBB6_1205:                             ;   in Loop: Header=BB6_136 Depth=3
	s_or_b64 exec, exec, s[94:95]
.LBB6_1206:                             ;   in Loop: Header=BB6_136 Depth=3
	s_or_b64 exec, exec, s[26:27]
	v_mul_f32_e32 v1, v18, v0
	v_and_b32_e32 v2, 0x7f800000, v1
	v_mov_b32_e32 v3, v51
	v_cmp_ne_u64_e32 vcc, s[76:77], v[2:3]
                                        ; implicit-def: $vgpr0
                                        ; kill: killed $vgpr0
	s_and_saveexec_b64 s[26:27], vcc
	s_xor_b64 s[94:95], exec, s[26:27]
	s_cbranch_execz .LBB6_1220
; %bb.1207:                             ;   in Loop: Header=BB6_136 Depth=3
	v_and_b32_e32 v2, 0x7fffffff, v1
	v_mov_b32_e32 v3, v51
	v_cmp_gt_u64_e32 vcc, s[78:79], v[2:3]
	v_and_b32_sdwa v0, v1, s96 dst_sel:DWORD dst_unused:UNUSED_PAD src0_sel:BYTE_3 src1_sel:DWORD
                                        ; implicit-def: $vgpr2
                                        ; kill: killed $vgpr2
	s_and_saveexec_b64 s[26:27], vcc
	s_xor_b64 s[30:31], exec, s[26:27]
	s_cbranch_execz .LBB6_1217
; %bb.1208:                             ;   in Loop: Header=BB6_136 Depth=3
	v_mov_b32_e32 v2, 0
	v_cmp_ne_u32_e32 vcc, 0, v1
	buffer_store_dword v2, off, s[0:3], s33 offset:284 ; 4-byte Folded Spill
	s_and_saveexec_b64 s[34:35], vcc
	s_cbranch_execz .LBB6_1216
; %bb.1209:                             ;   in Loop: Header=BB6_136 Depth=3
	v_and_b32_e32 v3, 0x7fffff, v1
	v_bfe_u32 v1, v1, 23, 8
	v_cmp_gt_u32_e64 s[26:27], s97, v1
	v_sub_u32_e32 v2, 0x79, v1
	v_cmp_eq_u32_e32 vcc, 0, v1
	v_cndmask_b32_e64 v2, 0, v2, s[26:27]
	v_mov_b32_e32 v5, 0x78
	v_cndmask_b32_e32 v2, v2, v5, vcc
	v_add_u32_e32 v5, 20, v2
	v_or_b32_e32 v4, 0x800000, v3
	v_lshlrev_b64 v[5:6], v5, -1
	v_add_u32_e32 v7, 19, v2
	v_cndmask_b32_e32 v3, v4, v3, vcc
	v_lshlrev_b64 v[14:15], v7, 1
	v_mov_b32_e32 v4, v51
	v_bfi_b32 v6, v6, 0, 0
	v_bfi_b32 v5, v5, 0, v3
	v_cmp_eq_u64_e64 s[26:27], v[5:6], v[14:15]
	v_lshrrev_b64 v[14:15], v2, v[3:4]
	v_mov_b32_e32 v16, v15
	v_mov_b32_e32 v15, v14
	s_and_saveexec_b64 s[36:37], s[26:27]
; %bb.1210:                             ;   in Loop: Header=BB6_136 Depth=3
	v_bfe_u32 v3, v14, 20, 1
	v_add_co_u32_e64 v3, s[26:27], v14, v3
	v_add_co_u32_e64 v15, s[26:27], -1, v3
; %bb.1211:                             ;   in Loop: Header=BB6_136 Depth=3
	s_or_b64 exec, exec, s[36:37]
	v_add_u32_e32 v1, 0xffffff81, v1
	v_mov_b32_e32 v3, 0xffffff82
	v_cndmask_b32_e32 v1, v1, v3, vcc
	v_lshrrev_b32_e32 v3, 23, v14
	v_add3_u32 v3, v2, v1, v3
	v_add_u32_e32 v2, 6, v3
	v_and_b32_e32 v1, 0xfffff, v15
	v_add_u32_e32 v14, v1, v14
	v_mov_b32_e32 v15, v51
	v_cmp_ne_u32_e32 vcc, 0, v2
                                        ; implicit-def: $vgpr1
	s_and_saveexec_b64 s[26:27], vcc
	s_xor_b64 s[26:27], exec, s[26:27]
; %bb.1212:                             ;   in Loop: Header=BB6_136 Depth=3
	v_cmp_lt_u64_e32 vcc, s[88:89], v[14:15]
	v_add_u32_e32 v1, 7, v3
	v_cndmask_b32_e32 v1, v2, v1, vcc
	v_cndmask_b32_e64 v2, 0, 1, vcc
	v_lshrrev_b64 v[14:15], v2, v[14:15]
; %bb.1213:                             ;   in Loop: Header=BB6_136 Depth=3
	s_andn2_saveexec_b64 s[26:27], s[26:27]
; %bb.1214:                             ;   in Loop: Header=BB6_136 Depth=3
	v_bfe_u32 v1, v14, 23, 1
; %bb.1215:                             ;   in Loop: Header=BB6_136 Depth=3
	s_or_b64 exec, exec, s[26:27]
	v_lshrrev_b64 v[2:3], 20, v[14:15]
	v_cmp_gt_i32_e32 vcc, 16, v1
	v_cndmask_b32_e32 v3, 0, v3, vcc
	v_cndmask_b32_e32 v2, 7, v2, vcc
	v_cmp_eq_u32_e32 vcc, 0, v1
	v_min_i32_e32 v1, 15, v1
	v_cmp_eq_u64_e64 s[26:27], 0, v[2:3]
	v_lshlrev_b32_e32 v1, 3, v1
	v_and_b32_e32 v1, 0xf8, v1
	v_and_or_b32 v1, v2, 7, v1
	s_and_b64 s[26:27], vcc, s[26:27]
	v_cndmask_b32_e64 v1, v1, 0, s[26:27]
	v_or_b32_e32 v0, v1, v0
	buffer_store_dword v0, off, s[0:3], s33 offset:284 ; 4-byte Folded Spill
.LBB6_1216:                             ;   in Loop: Header=BB6_136 Depth=3
	s_or_b64 exec, exec, s[34:35]
                                        ; implicit-def: $vgpr0
.LBB6_1217:                             ;   in Loop: Header=BB6_136 Depth=3
	s_andn2_saveexec_b64 s[26:27], s[30:31]
	s_cbranch_execz .LBB6_1219
; %bb.1218:                             ;   in Loop: Header=BB6_136 Depth=3
	v_or_b32_e32 v0, 0x7e, v0
	buffer_store_dword v0, off, s[0:3], s33 offset:284 ; 4-byte Folded Spill
.LBB6_1219:                             ;   in Loop: Header=BB6_136 Depth=3
	s_or_b64 exec, exec, s[26:27]
                                        ; implicit-def: $vgpr1
.LBB6_1220:                             ;   in Loop: Header=BB6_136 Depth=3
	s_andn2_saveexec_b64 s[26:27], s[94:95]
	s_cbranch_execz .LBB6_1222
; %bb.1221:                             ;   in Loop: Header=BB6_136 Depth=3
	v_or_b32_sdwa v0, v1, s86 dst_sel:DWORD dst_unused:UNUSED_PAD src0_sel:BYTE_3 src1_sel:DWORD
	buffer_store_dword v0, off, s[0:3], s33 offset:284 ; 4-byte Folded Spill
.LBB6_1222:                             ;   in Loop: Header=BB6_136 Depth=3
	s_or_b64 exec, exec, s[26:27]
	v_lshrrev_b16_e32 v14, 8, v8
	v_cmp_ne_u16_e32 vcc, 0, v14
	v_mov_b32_e32 v0, 0
	s_and_saveexec_b64 s[26:27], vcc
	s_cbranch_execz .LBB6_1228
; %bb.1223:                             ;   in Loop: Header=BB6_136 Depth=3
	v_cmp_ne_u16_e32 vcc, s96, v14
	v_bfrev_b32_e32 v0, 1
	s_and_saveexec_b64 s[94:95], vcc
	s_cbranch_execz .LBB6_1227
; %bb.1224:                             ;   in Loop: Header=BB6_136 Depth=3
	v_and_b32_e32 v1, 0x7f, v14
	v_cmp_ne_u32_e32 vcc, s86, v1
	v_mov_b32_e32 v0, 0x7f800001
	s_and_saveexec_b64 s[30:31], vcc
	s_cbranch_execz .LBB6_1226
; %bb.1225:                             ;   in Loop: Header=BB6_136 Depth=3
	v_and_b32_e32 v2, 7, v14
	v_ffbh_u32_e32 v0, v2
	v_min_u32_e32 v4, 32, v0
	v_subrev_u32_e32 v0, 28, v4
	v_lshrrev_b32_e32 v3, 3, v1
	v_cmp_gt_u32_e32 vcc, 8, v1
	v_lshlrev_b64 v[0:1], v0, v[14:15]
	v_sub_u32_e32 v1, 29, v4
	v_and_b32_e32 v0, 7, v0
	v_cndmask_b32_e32 v1, v3, v1, vcc
	v_cndmask_b32_e32 v0, v2, v0, vcc
	v_lshlrev_b32_e32 v2, 16, v8
	v_bfrev_b32_e32 v3, 60
	v_lshlrev_b32_e32 v0, 20, v0
	v_and_b32_e32 v2, 0x80000000, v2
	v_lshl_add_u32 v1, v1, 23, v3
	v_or3_b32 v0, v2, v1, v0
.LBB6_1226:                             ;   in Loop: Header=BB6_136 Depth=3
	s_or_b64 exec, exec, s[30:31]
.LBB6_1227:                             ;   in Loop: Header=BB6_136 Depth=3
	s_or_b64 exec, exec, s[94:95]
.LBB6_1228:                             ;   in Loop: Header=BB6_136 Depth=3
	s_or_b64 exec, exec, s[26:27]
	v_mul_f32_e32 v1, v18, v0
	v_and_b32_e32 v2, 0x7f800000, v1
	v_mov_b32_e32 v3, v51
	v_cmp_ne_u64_e32 vcc, s[76:77], v[2:3]
                                        ; implicit-def: $vgpr0
                                        ; kill: killed $vgpr0
	s_and_saveexec_b64 s[26:27], vcc
	s_xor_b64 s[94:95], exec, s[26:27]
	s_cbranch_execz .LBB6_1242
; %bb.1229:                             ;   in Loop: Header=BB6_136 Depth=3
	v_and_b32_e32 v2, 0x7fffffff, v1
	v_mov_b32_e32 v3, v51
	v_cmp_gt_u64_e32 vcc, s[78:79], v[2:3]
	v_and_b32_sdwa v0, v1, s96 dst_sel:DWORD dst_unused:UNUSED_PAD src0_sel:BYTE_3 src1_sel:DWORD
                                        ; implicit-def: $vgpr2
                                        ; kill: killed $vgpr2
	s_and_saveexec_b64 s[26:27], vcc
	s_xor_b64 s[30:31], exec, s[26:27]
	s_cbranch_execz .LBB6_1239
; %bb.1230:                             ;   in Loop: Header=BB6_136 Depth=3
	v_mov_b32_e32 v2, 0
	v_cmp_ne_u32_e32 vcc, 0, v1
	buffer_store_dword v2, off, s[0:3], s33 offset:288 ; 4-byte Folded Spill
	s_and_saveexec_b64 s[34:35], vcc
	s_cbranch_execz .LBB6_1238
; %bb.1231:                             ;   in Loop: Header=BB6_136 Depth=3
	v_and_b32_e32 v3, 0x7fffff, v1
	v_bfe_u32 v1, v1, 23, 8
	v_cmp_gt_u32_e64 s[26:27], s97, v1
	v_sub_u32_e32 v2, 0x79, v1
	v_cmp_eq_u32_e32 vcc, 0, v1
	v_cndmask_b32_e64 v2, 0, v2, s[26:27]
	v_mov_b32_e32 v5, 0x78
	v_cndmask_b32_e32 v2, v2, v5, vcc
	v_add_u32_e32 v5, 20, v2
	v_or_b32_e32 v4, 0x800000, v3
	v_lshlrev_b64 v[5:6], v5, -1
	v_add_u32_e32 v7, 19, v2
	v_cndmask_b32_e32 v3, v4, v3, vcc
	v_lshlrev_b64 v[14:15], v7, 1
	v_mov_b32_e32 v4, v51
	v_bfi_b32 v6, v6, 0, 0
	v_bfi_b32 v5, v5, 0, v3
	v_cmp_eq_u64_e64 s[26:27], v[5:6], v[14:15]
	v_lshrrev_b64 v[14:15], v2, v[3:4]
	v_mov_b32_e32 v16, v15
	v_mov_b32_e32 v15, v14
	s_and_saveexec_b64 s[36:37], s[26:27]
; %bb.1232:                             ;   in Loop: Header=BB6_136 Depth=3
	v_bfe_u32 v3, v14, 20, 1
	v_add_co_u32_e64 v3, s[26:27], v14, v3
	v_add_co_u32_e64 v15, s[26:27], -1, v3
; %bb.1233:                             ;   in Loop: Header=BB6_136 Depth=3
	s_or_b64 exec, exec, s[36:37]
	v_add_u32_e32 v1, 0xffffff81, v1
	v_mov_b32_e32 v3, 0xffffff82
	v_cndmask_b32_e32 v1, v1, v3, vcc
	v_lshrrev_b32_e32 v3, 23, v14
	v_add3_u32 v3, v2, v1, v3
	v_add_u32_e32 v2, 6, v3
	v_and_b32_e32 v1, 0xfffff, v15
	v_add_u32_e32 v14, v1, v14
	v_mov_b32_e32 v15, v51
	v_cmp_ne_u32_e32 vcc, 0, v2
                                        ; implicit-def: $vgpr1
	s_and_saveexec_b64 s[26:27], vcc
	s_xor_b64 s[26:27], exec, s[26:27]
; %bb.1234:                             ;   in Loop: Header=BB6_136 Depth=3
	v_cmp_lt_u64_e32 vcc, s[88:89], v[14:15]
	v_add_u32_e32 v1, 7, v3
	v_cndmask_b32_e32 v1, v2, v1, vcc
	v_cndmask_b32_e64 v2, 0, 1, vcc
	v_lshrrev_b64 v[14:15], v2, v[14:15]
; %bb.1235:                             ;   in Loop: Header=BB6_136 Depth=3
	s_andn2_saveexec_b64 s[26:27], s[26:27]
; %bb.1236:                             ;   in Loop: Header=BB6_136 Depth=3
	v_bfe_u32 v1, v14, 23, 1
; %bb.1237:                             ;   in Loop: Header=BB6_136 Depth=3
	s_or_b64 exec, exec, s[26:27]
	v_lshrrev_b64 v[2:3], 20, v[14:15]
	v_cmp_gt_i32_e32 vcc, 16, v1
	v_cndmask_b32_e32 v3, 0, v3, vcc
	v_cndmask_b32_e32 v2, 7, v2, vcc
	v_cmp_eq_u32_e32 vcc, 0, v1
	v_min_i32_e32 v1, 15, v1
	v_cmp_eq_u64_e64 s[26:27], 0, v[2:3]
	v_lshlrev_b32_e32 v1, 3, v1
	v_and_b32_e32 v1, 0xf8, v1
	v_and_or_b32 v1, v2, 7, v1
	s_and_b64 s[26:27], vcc, s[26:27]
	v_cndmask_b32_e64 v1, v1, 0, s[26:27]
	v_or_b32_e32 v0, v1, v0
	buffer_store_dword v0, off, s[0:3], s33 offset:288 ; 4-byte Folded Spill
.LBB6_1238:                             ;   in Loop: Header=BB6_136 Depth=3
	s_or_b64 exec, exec, s[34:35]
                                        ; implicit-def: $vgpr0
.LBB6_1239:                             ;   in Loop: Header=BB6_136 Depth=3
	s_andn2_saveexec_b64 s[26:27], s[30:31]
	s_cbranch_execz .LBB6_1241
; %bb.1240:                             ;   in Loop: Header=BB6_136 Depth=3
	v_or_b32_e32 v0, 0x7e, v0
	buffer_store_dword v0, off, s[0:3], s33 offset:288 ; 4-byte Folded Spill
.LBB6_1241:                             ;   in Loop: Header=BB6_136 Depth=3
	s_or_b64 exec, exec, s[26:27]
                                        ; implicit-def: $vgpr1
.LBB6_1242:                             ;   in Loop: Header=BB6_136 Depth=3
	s_andn2_saveexec_b64 s[26:27], s[94:95]
	s_cbranch_execz .LBB6_1244
; %bb.1243:                             ;   in Loop: Header=BB6_136 Depth=3
	v_or_b32_sdwa v0, v1, s86 dst_sel:DWORD dst_unused:UNUSED_PAD src0_sel:BYTE_3 src1_sel:DWORD
	buffer_store_dword v0, off, s[0:3], s33 offset:288 ; 4-byte Folded Spill
.LBB6_1244:                             ;   in Loop: Header=BB6_136 Depth=3
	s_or_b64 exec, exec, s[26:27]
	v_lshrrev_b32_e32 v14, 16, v8
	v_cmp_ne_u16_sdwa s[94:95], v14, v51 src0_sel:BYTE_0 src1_sel:DWORD
	v_mov_b32_e32 v0, 0
	s_and_saveexec_b64 s[26:27], s[94:95]
	s_cbranch_execz .LBB6_1250
; %bb.1245:                             ;   in Loop: Header=BB6_136 Depth=3
	v_cmp_ne_u16_sdwa vcc, v14, s96 src0_sel:BYTE_0 src1_sel:DWORD
	v_bfrev_b32_e32 v0, 1
	s_and_saveexec_b64 s[94:95], vcc
	s_cbranch_execz .LBB6_1249
; %bb.1246:                             ;   in Loop: Header=BB6_136 Depth=3
	v_bfe_u32 v1, v8, 16, 7
	v_cmp_ne_u32_e32 vcc, s86, v1
	v_mov_b32_e32 v0, 0x7f800001
	s_and_saveexec_b64 s[30:31], vcc
	s_cbranch_execz .LBB6_1248
; %bb.1247:                             ;   in Loop: Header=BB6_136 Depth=3
	v_and_b32_e32 v2, 7, v14
	v_ffbh_u32_e32 v0, v2
	v_min_u32_e32 v4, 32, v0
	v_subrev_u32_e32 v0, 28, v4
	v_lshrrev_b32_e32 v3, 3, v1
	v_cmp_gt_u32_e32 vcc, 8, v1
	v_lshlrev_b64 v[0:1], v0, v[14:15]
	v_sub_u32_e32 v1, 29, v4
	v_and_b32_e32 v0, 7, v0
	v_cndmask_b32_e32 v1, v3, v1, vcc
	v_cndmask_b32_e32 v0, v2, v0, vcc
	v_lshlrev_b32_e32 v2, 24, v14
	v_bfrev_b32_e32 v3, 60
	v_lshlrev_b32_e32 v0, 20, v0
	v_and_b32_e32 v2, 0x80000000, v2
	v_lshl_add_u32 v1, v1, 23, v3
	v_or3_b32 v0, v2, v1, v0
.LBB6_1248:                             ;   in Loop: Header=BB6_136 Depth=3
	s_or_b64 exec, exec, s[30:31]
.LBB6_1249:                             ;   in Loop: Header=BB6_136 Depth=3
	s_or_b64 exec, exec, s[94:95]
.LBB6_1250:                             ;   in Loop: Header=BB6_136 Depth=3
	s_or_b64 exec, exec, s[26:27]
	v_mul_f32_e32 v1, v18, v0
	v_and_b32_e32 v2, 0x7f800000, v1
	v_mov_b32_e32 v3, v51
	v_cmp_ne_u64_e32 vcc, s[76:77], v[2:3]
                                        ; implicit-def: $vgpr0
                                        ; kill: killed $vgpr0
	s_and_saveexec_b64 s[26:27], vcc
	s_xor_b64 s[94:95], exec, s[26:27]
	s_cbranch_execz .LBB6_1264
; %bb.1251:                             ;   in Loop: Header=BB6_136 Depth=3
	v_and_b32_e32 v2, 0x7fffffff, v1
	v_mov_b32_e32 v3, v51
	v_cmp_gt_u64_e32 vcc, s[78:79], v[2:3]
	v_and_b32_sdwa v0, v1, s96 dst_sel:DWORD dst_unused:UNUSED_PAD src0_sel:BYTE_3 src1_sel:DWORD
                                        ; implicit-def: $vgpr2
                                        ; kill: killed $vgpr2
	s_and_saveexec_b64 s[26:27], vcc
	s_xor_b64 s[30:31], exec, s[26:27]
	s_cbranch_execz .LBB6_1261
; %bb.1252:                             ;   in Loop: Header=BB6_136 Depth=3
	v_mov_b32_e32 v2, 0
	v_cmp_ne_u32_e32 vcc, 0, v1
	buffer_store_dword v2, off, s[0:3], s33 offset:292 ; 4-byte Folded Spill
	s_and_saveexec_b64 s[34:35], vcc
	s_cbranch_execz .LBB6_1260
; %bb.1253:                             ;   in Loop: Header=BB6_136 Depth=3
	v_and_b32_e32 v3, 0x7fffff, v1
	v_bfe_u32 v1, v1, 23, 8
	v_cmp_gt_u32_e64 s[26:27], s97, v1
	v_sub_u32_e32 v2, 0x79, v1
	v_cmp_eq_u32_e32 vcc, 0, v1
	v_cndmask_b32_e64 v2, 0, v2, s[26:27]
	v_mov_b32_e32 v5, 0x78
	v_cndmask_b32_e32 v2, v2, v5, vcc
	v_add_u32_e32 v5, 20, v2
	v_or_b32_e32 v4, 0x800000, v3
	v_lshlrev_b64 v[5:6], v5, -1
	v_add_u32_e32 v7, 19, v2
	v_cndmask_b32_e32 v3, v4, v3, vcc
	v_lshlrev_b64 v[14:15], v7, 1
	v_mov_b32_e32 v4, v51
	v_bfi_b32 v6, v6, 0, 0
	v_bfi_b32 v5, v5, 0, v3
	v_cmp_eq_u64_e64 s[26:27], v[5:6], v[14:15]
	v_lshrrev_b64 v[14:15], v2, v[3:4]
	v_mov_b32_e32 v16, v15
	v_mov_b32_e32 v15, v14
	s_and_saveexec_b64 s[36:37], s[26:27]
; %bb.1254:                             ;   in Loop: Header=BB6_136 Depth=3
	v_bfe_u32 v3, v14, 20, 1
	v_add_co_u32_e64 v3, s[26:27], v14, v3
	v_add_co_u32_e64 v15, s[26:27], -1, v3
; %bb.1255:                             ;   in Loop: Header=BB6_136 Depth=3
	s_or_b64 exec, exec, s[36:37]
	v_add_u32_e32 v1, 0xffffff81, v1
	v_mov_b32_e32 v3, 0xffffff82
	v_cndmask_b32_e32 v1, v1, v3, vcc
	v_lshrrev_b32_e32 v3, 23, v14
	v_add3_u32 v3, v2, v1, v3
	v_add_u32_e32 v2, 6, v3
	v_and_b32_e32 v1, 0xfffff, v15
	v_add_u32_e32 v14, v1, v14
	v_mov_b32_e32 v15, v51
	v_cmp_ne_u32_e32 vcc, 0, v2
                                        ; implicit-def: $vgpr1
	s_and_saveexec_b64 s[26:27], vcc
	s_xor_b64 s[26:27], exec, s[26:27]
; %bb.1256:                             ;   in Loop: Header=BB6_136 Depth=3
	v_cmp_lt_u64_e32 vcc, s[88:89], v[14:15]
	v_add_u32_e32 v1, 7, v3
	v_cndmask_b32_e32 v1, v2, v1, vcc
	v_cndmask_b32_e64 v2, 0, 1, vcc
	v_lshrrev_b64 v[14:15], v2, v[14:15]
; %bb.1257:                             ;   in Loop: Header=BB6_136 Depth=3
	s_andn2_saveexec_b64 s[26:27], s[26:27]
; %bb.1258:                             ;   in Loop: Header=BB6_136 Depth=3
	v_bfe_u32 v1, v14, 23, 1
; %bb.1259:                             ;   in Loop: Header=BB6_136 Depth=3
	s_or_b64 exec, exec, s[26:27]
	v_lshrrev_b64 v[2:3], 20, v[14:15]
	v_cmp_gt_i32_e32 vcc, 16, v1
	v_cndmask_b32_e32 v3, 0, v3, vcc
	v_cndmask_b32_e32 v2, 7, v2, vcc
	v_cmp_eq_u32_e32 vcc, 0, v1
	v_min_i32_e32 v1, 15, v1
	v_cmp_eq_u64_e64 s[26:27], 0, v[2:3]
	v_lshlrev_b32_e32 v1, 3, v1
	v_and_b32_e32 v1, 0xf8, v1
	v_and_or_b32 v1, v2, 7, v1
	s_and_b64 s[26:27], vcc, s[26:27]
	v_cndmask_b32_e64 v1, v1, 0, s[26:27]
	v_or_b32_e32 v0, v1, v0
	buffer_store_dword v0, off, s[0:3], s33 offset:292 ; 4-byte Folded Spill
.LBB6_1260:                             ;   in Loop: Header=BB6_136 Depth=3
	s_or_b64 exec, exec, s[34:35]
                                        ; implicit-def: $vgpr0
.LBB6_1261:                             ;   in Loop: Header=BB6_136 Depth=3
	s_andn2_saveexec_b64 s[26:27], s[30:31]
	s_cbranch_execz .LBB6_1263
; %bb.1262:                             ;   in Loop: Header=BB6_136 Depth=3
	v_or_b32_e32 v0, 0x7e, v0
	buffer_store_dword v0, off, s[0:3], s33 offset:292 ; 4-byte Folded Spill
.LBB6_1263:                             ;   in Loop: Header=BB6_136 Depth=3
	s_or_b64 exec, exec, s[26:27]
                                        ; implicit-def: $vgpr1
.LBB6_1264:                             ;   in Loop: Header=BB6_136 Depth=3
	s_andn2_saveexec_b64 s[26:27], s[94:95]
	s_cbranch_execz .LBB6_1266
; %bb.1265:                             ;   in Loop: Header=BB6_136 Depth=3
	v_or_b32_sdwa v0, v1, s86 dst_sel:DWORD dst_unused:UNUSED_PAD src0_sel:BYTE_3 src1_sel:DWORD
	buffer_store_dword v0, off, s[0:3], s33 offset:292 ; 4-byte Folded Spill
.LBB6_1266:                             ;   in Loop: Header=BB6_136 Depth=3
	s_or_b64 exec, exec, s[26:27]
	v_cmp_lt_u32_e32 vcc, s57, v8
	v_mov_b32_e32 v0, 0
	s_and_saveexec_b64 s[26:27], vcc
	s_cbranch_execz .LBB6_1272
; %bb.1267:                             ;   in Loop: Header=BB6_136 Depth=3
	v_lshrrev_b32_e32 v14, 24, v8
	v_cmp_ne_u32_e32 vcc, s96, v14
	v_bfrev_b32_e32 v0, 1
	s_and_saveexec_b64 s[94:95], vcc
	s_cbranch_execz .LBB6_1271
; %bb.1268:                             ;   in Loop: Header=BB6_136 Depth=3
	v_bfe_u32 v1, v8, 24, 7
	v_cmp_ne_u32_e32 vcc, s86, v1
	v_mov_b32_e32 v0, 0x7f800001
	s_and_saveexec_b64 s[30:31], vcc
	s_cbranch_execz .LBB6_1270
; %bb.1269:                             ;   in Loop: Header=BB6_136 Depth=3
	v_and_b32_e32 v2, 7, v14
	v_ffbh_u32_e32 v0, v2
	v_min_u32_e32 v4, 32, v0
	v_subrev_u32_e32 v0, 28, v4
	v_lshrrev_b32_e32 v3, 3, v1
	v_cmp_gt_u32_e32 vcc, 8, v1
	v_lshlrev_b64 v[0:1], v0, v[14:15]
	v_sub_u32_e32 v1, 29, v4
	v_and_b32_e32 v0, 7, v0
	v_cndmask_b32_e32 v1, v3, v1, vcc
	v_cndmask_b32_e32 v0, v2, v0, vcc
	v_lshlrev_b32_e32 v2, 24, v14
	v_bfrev_b32_e32 v3, 60
	v_lshlrev_b32_e32 v0, 20, v0
	v_and_b32_e32 v2, 0x80000000, v2
	v_lshl_add_u32 v1, v1, 23, v3
	v_or3_b32 v0, v2, v1, v0
.LBB6_1270:                             ;   in Loop: Header=BB6_136 Depth=3
	s_or_b64 exec, exec, s[30:31]
.LBB6_1271:                             ;   in Loop: Header=BB6_136 Depth=3
	s_or_b64 exec, exec, s[94:95]
.LBB6_1272:                             ;   in Loop: Header=BB6_136 Depth=3
	s_or_b64 exec, exec, s[26:27]
	v_mul_f32_e32 v1, v18, v0
	v_and_b32_e32 v2, 0x7f800000, v1
	v_mov_b32_e32 v3, v51
	v_cmp_ne_u64_e32 vcc, s[76:77], v[2:3]
                                        ; implicit-def: $vgpr0
                                        ; kill: killed $vgpr0
	s_and_saveexec_b64 s[26:27], vcc
	s_xor_b64 s[94:95], exec, s[26:27]
	s_cbranch_execz .LBB6_1286
; %bb.1273:                             ;   in Loop: Header=BB6_136 Depth=3
	v_and_b32_e32 v2, 0x7fffffff, v1
	v_mov_b32_e32 v3, v51
	v_cmp_gt_u64_e32 vcc, s[78:79], v[2:3]
	v_and_b32_sdwa v0, v1, s96 dst_sel:DWORD dst_unused:UNUSED_PAD src0_sel:BYTE_3 src1_sel:DWORD
                                        ; implicit-def: $vgpr2
                                        ; kill: killed $vgpr2
	s_and_saveexec_b64 s[26:27], vcc
	s_xor_b64 s[30:31], exec, s[26:27]
	s_cbranch_execz .LBB6_1283
; %bb.1274:                             ;   in Loop: Header=BB6_136 Depth=3
	v_mov_b32_e32 v2, 0
	v_cmp_ne_u32_e32 vcc, 0, v1
	buffer_store_dword v2, off, s[0:3], s33 offset:296 ; 4-byte Folded Spill
	s_and_saveexec_b64 s[34:35], vcc
	s_cbranch_execz .LBB6_1282
; %bb.1275:                             ;   in Loop: Header=BB6_136 Depth=3
	v_and_b32_e32 v3, 0x7fffff, v1
	v_bfe_u32 v1, v1, 23, 8
	v_cmp_gt_u32_e64 s[26:27], s97, v1
	v_sub_u32_e32 v2, 0x79, v1
	v_cmp_eq_u32_e32 vcc, 0, v1
	v_cndmask_b32_e64 v2, 0, v2, s[26:27]
	v_mov_b32_e32 v5, 0x78
	v_cndmask_b32_e32 v2, v2, v5, vcc
	v_add_u32_e32 v5, 20, v2
	v_or_b32_e32 v4, 0x800000, v3
	v_lshlrev_b64 v[5:6], v5, -1
	v_add_u32_e32 v7, 19, v2
	v_cndmask_b32_e32 v3, v4, v3, vcc
	v_lshlrev_b64 v[14:15], v7, 1
	v_mov_b32_e32 v4, v51
	v_bfi_b32 v6, v6, 0, 0
	v_bfi_b32 v5, v5, 0, v3
	v_cmp_eq_u64_e64 s[26:27], v[5:6], v[14:15]
	v_lshrrev_b64 v[14:15], v2, v[3:4]
	v_mov_b32_e32 v16, v15
	v_mov_b32_e32 v15, v14
	s_and_saveexec_b64 s[36:37], s[26:27]
; %bb.1276:                             ;   in Loop: Header=BB6_136 Depth=3
	v_bfe_u32 v3, v14, 20, 1
	v_add_co_u32_e64 v3, s[26:27], v14, v3
	v_add_co_u32_e64 v15, s[26:27], -1, v3
; %bb.1277:                             ;   in Loop: Header=BB6_136 Depth=3
	s_or_b64 exec, exec, s[36:37]
	v_add_u32_e32 v1, 0xffffff81, v1
	v_mov_b32_e32 v3, 0xffffff82
	v_cndmask_b32_e32 v1, v1, v3, vcc
	v_lshrrev_b32_e32 v3, 23, v14
	v_add3_u32 v3, v2, v1, v3
	v_add_u32_e32 v2, 6, v3
	v_and_b32_e32 v1, 0xfffff, v15
	v_add_u32_e32 v14, v1, v14
	v_mov_b32_e32 v15, v51
	v_cmp_ne_u32_e32 vcc, 0, v2
                                        ; implicit-def: $vgpr1
	s_and_saveexec_b64 s[26:27], vcc
	s_xor_b64 s[26:27], exec, s[26:27]
; %bb.1278:                             ;   in Loop: Header=BB6_136 Depth=3
	v_cmp_lt_u64_e32 vcc, s[88:89], v[14:15]
	v_add_u32_e32 v1, 7, v3
	v_cndmask_b32_e32 v1, v2, v1, vcc
	v_cndmask_b32_e64 v2, 0, 1, vcc
	v_lshrrev_b64 v[14:15], v2, v[14:15]
; %bb.1279:                             ;   in Loop: Header=BB6_136 Depth=3
	s_andn2_saveexec_b64 s[26:27], s[26:27]
; %bb.1280:                             ;   in Loop: Header=BB6_136 Depth=3
	v_bfe_u32 v1, v14, 23, 1
; %bb.1281:                             ;   in Loop: Header=BB6_136 Depth=3
	s_or_b64 exec, exec, s[26:27]
	v_lshrrev_b64 v[2:3], 20, v[14:15]
	v_cmp_gt_i32_e32 vcc, 16, v1
	v_cndmask_b32_e32 v3, 0, v3, vcc
	v_cndmask_b32_e32 v2, 7, v2, vcc
	v_cmp_eq_u32_e32 vcc, 0, v1
	v_min_i32_e32 v1, 15, v1
	v_cmp_eq_u64_e64 s[26:27], 0, v[2:3]
	v_lshlrev_b32_e32 v1, 3, v1
	v_and_b32_e32 v1, 0xf8, v1
	v_and_or_b32 v1, v2, 7, v1
	s_and_b64 s[26:27], vcc, s[26:27]
	v_cndmask_b32_e64 v1, v1, 0, s[26:27]
	v_or_b32_e32 v0, v1, v0
	buffer_store_dword v0, off, s[0:3], s33 offset:296 ; 4-byte Folded Spill
.LBB6_1282:                             ;   in Loop: Header=BB6_136 Depth=3
	s_or_b64 exec, exec, s[34:35]
                                        ; implicit-def: $vgpr0
.LBB6_1283:                             ;   in Loop: Header=BB6_136 Depth=3
	s_andn2_saveexec_b64 s[26:27], s[30:31]
	s_cbranch_execz .LBB6_1285
; %bb.1284:                             ;   in Loop: Header=BB6_136 Depth=3
	v_or_b32_e32 v0, 0x7e, v0
	buffer_store_dword v0, off, s[0:3], s33 offset:296 ; 4-byte Folded Spill
.LBB6_1285:                             ;   in Loop: Header=BB6_136 Depth=3
	s_or_b64 exec, exec, s[26:27]
                                        ; implicit-def: $vgpr1
.LBB6_1286:                             ;   in Loop: Header=BB6_136 Depth=3
	s_andn2_saveexec_b64 s[26:27], s[94:95]
	s_cbranch_execz .LBB6_1288
; %bb.1287:                             ;   in Loop: Header=BB6_136 Depth=3
	v_or_b32_sdwa v0, v1, s86 dst_sel:DWORD dst_unused:UNUSED_PAD src0_sel:BYTE_3 src1_sel:DWORD
	buffer_store_dword v0, off, s[0:3], s33 offset:296 ; 4-byte Folded Spill
.LBB6_1288:                             ;   in Loop: Header=BB6_136 Depth=3
	s_or_b64 exec, exec, s[26:27]
	v_mov_b32_e32 v14, v9
	v_mov_b32_e32 v15, v51
	v_cmp_ne_u16_sdwa s[94:95], v9, v51 src0_sel:BYTE_0 src1_sel:DWORD
	v_mov_b32_e32 v0, 0
	s_and_saveexec_b64 s[26:27], s[94:95]
	s_cbranch_execz .LBB6_1294
; %bb.1289:                             ;   in Loop: Header=BB6_136 Depth=3
	v_cmp_ne_u16_sdwa vcc, v9, s96 src0_sel:BYTE_0 src1_sel:DWORD
	v_bfrev_b32_e32 v0, 1
	s_and_saveexec_b64 s[94:95], vcc
	s_cbranch_execz .LBB6_1293
; %bb.1290:                             ;   in Loop: Header=BB6_136 Depth=3
	v_and_b32_e32 v1, 0x7f, v9
	v_cmp_ne_u32_e32 vcc, s86, v1
	v_mov_b32_e32 v0, 0x7f800001
	s_and_saveexec_b64 s[30:31], vcc
	s_cbranch_execz .LBB6_1292
; %bb.1291:                             ;   in Loop: Header=BB6_136 Depth=3
	v_and_b32_e32 v0, 7, v9
	v_ffbh_u32_e32 v0, v0
	v_min_u32_e32 v0, 32, v0
	v_lshrrev_b32_e32 v2, 3, v1
	v_cmp_gt_u32_e32 vcc, 8, v1
	v_subrev_u32_e32 v1, 28, v0
	v_sub_u32_e32 v0, 29, v0
	v_cndmask_b32_e32 v2, v2, v0, vcc
	v_cndmask_b32_e32 v0, 0, v1, vcc
	v_lshlrev_b64 v[0:1], v0, v[14:15]
	v_lshlrev_b32_e32 v1, 24, v14
	v_lshlrev_b32_e32 v0, 20, v0
	v_bfrev_b32_e32 v3, 60
	v_and_b32_e32 v0, 0x700000, v0
	v_and_b32_e32 v1, 0x80000000, v1
	v_lshl_add_u32 v2, v2, 23, v3
	v_or3_b32 v0, v1, v2, v0
.LBB6_1292:                             ;   in Loop: Header=BB6_136 Depth=3
	s_or_b64 exec, exec, s[30:31]
.LBB6_1293:                             ;   in Loop: Header=BB6_136 Depth=3
	s_or_b64 exec, exec, s[94:95]
.LBB6_1294:                             ;   in Loop: Header=BB6_136 Depth=3
	s_or_b64 exec, exec, s[26:27]
	v_mul_f32_e32 v1, v18, v0
	v_and_b32_e32 v2, 0x7f800000, v1
	v_mov_b32_e32 v3, v51
	v_cmp_ne_u64_e32 vcc, s[76:77], v[2:3]
                                        ; implicit-def: $vgpr0
                                        ; kill: killed $vgpr0
	s_and_saveexec_b64 s[26:27], vcc
	s_xor_b64 s[94:95], exec, s[26:27]
	s_cbranch_execz .LBB6_1308
; %bb.1295:                             ;   in Loop: Header=BB6_136 Depth=3
	v_and_b32_e32 v2, 0x7fffffff, v1
	v_mov_b32_e32 v3, v51
	v_cmp_gt_u64_e32 vcc, s[78:79], v[2:3]
	v_and_b32_sdwa v0, v1, s96 dst_sel:DWORD dst_unused:UNUSED_PAD src0_sel:BYTE_3 src1_sel:DWORD
                                        ; implicit-def: $vgpr2
                                        ; kill: killed $vgpr2
	s_and_saveexec_b64 s[26:27], vcc
	s_xor_b64 s[30:31], exec, s[26:27]
	s_cbranch_execz .LBB6_1305
; %bb.1296:                             ;   in Loop: Header=BB6_136 Depth=3
	v_mov_b32_e32 v2, 0
	v_cmp_ne_u32_e32 vcc, 0, v1
	buffer_store_dword v2, off, s[0:3], s33 offset:308 ; 4-byte Folded Spill
	s_and_saveexec_b64 s[34:35], vcc
	s_cbranch_execz .LBB6_1304
; %bb.1297:                             ;   in Loop: Header=BB6_136 Depth=3
	v_and_b32_e32 v3, 0x7fffff, v1
	v_bfe_u32 v1, v1, 23, 8
	v_cmp_gt_u32_e64 s[26:27], s97, v1
	v_sub_u32_e32 v2, 0x79, v1
	v_cmp_eq_u32_e32 vcc, 0, v1
	v_cndmask_b32_e64 v2, 0, v2, s[26:27]
	v_mov_b32_e32 v5, 0x78
	v_cndmask_b32_e32 v2, v2, v5, vcc
	v_add_u32_e32 v5, 20, v2
	v_or_b32_e32 v4, 0x800000, v3
	v_lshlrev_b64 v[5:6], v5, -1
	v_add_u32_e32 v7, 19, v2
	v_cndmask_b32_e32 v3, v4, v3, vcc
	v_lshlrev_b64 v[15:16], v7, 1
	v_mov_b32_e32 v4, v51
	v_bfi_b32 v6, v6, 0, 0
	v_bfi_b32 v5, v5, 0, v3
	v_cmp_eq_u64_e64 s[26:27], v[5:6], v[15:16]
	v_lshrrev_b64 v[15:16], v2, v[3:4]
	v_mov_b32_e32 v17, v16
	v_mov_b32_e32 v16, v15
	s_and_saveexec_b64 s[36:37], s[26:27]
; %bb.1298:                             ;   in Loop: Header=BB6_136 Depth=3
	v_bfe_u32 v3, v15, 20, 1
	v_add_co_u32_e64 v3, s[26:27], v15, v3
	v_add_co_u32_e64 v16, s[26:27], -1, v3
; %bb.1299:                             ;   in Loop: Header=BB6_136 Depth=3
	s_or_b64 exec, exec, s[36:37]
	v_add_u32_e32 v1, 0xffffff81, v1
	v_mov_b32_e32 v3, 0xffffff82
	v_cndmask_b32_e32 v1, v1, v3, vcc
	v_lshrrev_b32_e32 v3, 23, v15
	v_add3_u32 v3, v2, v1, v3
	v_add_u32_e32 v2, 6, v3
	v_and_b32_e32 v1, 0xfffff, v16
	v_add_u32_e32 v15, v1, v15
	v_mov_b32_e32 v16, v51
	v_cmp_ne_u32_e32 vcc, 0, v2
                                        ; implicit-def: $vgpr1
	s_and_saveexec_b64 s[26:27], vcc
	s_xor_b64 s[26:27], exec, s[26:27]
; %bb.1300:                             ;   in Loop: Header=BB6_136 Depth=3
	v_cmp_lt_u64_e32 vcc, s[88:89], v[15:16]
	v_add_u32_e32 v1, 7, v3
	v_cndmask_b32_e32 v1, v2, v1, vcc
	v_cndmask_b32_e64 v2, 0, 1, vcc
	v_lshrrev_b64 v[15:16], v2, v[15:16]
; %bb.1301:                             ;   in Loop: Header=BB6_136 Depth=3
	s_andn2_saveexec_b64 s[26:27], s[26:27]
; %bb.1302:                             ;   in Loop: Header=BB6_136 Depth=3
	v_bfe_u32 v1, v15, 23, 1
; %bb.1303:                             ;   in Loop: Header=BB6_136 Depth=3
	s_or_b64 exec, exec, s[26:27]
	v_lshrrev_b64 v[2:3], 20, v[15:16]
	v_cmp_gt_i32_e32 vcc, 16, v1
	v_cndmask_b32_e32 v3, 0, v3, vcc
	v_cndmask_b32_e32 v2, 7, v2, vcc
	v_cmp_eq_u32_e32 vcc, 0, v1
	v_min_i32_e32 v1, 15, v1
	v_cmp_eq_u64_e64 s[26:27], 0, v[2:3]
	v_lshlrev_b32_e32 v1, 3, v1
	v_and_b32_e32 v1, 0xf8, v1
	v_and_or_b32 v1, v2, 7, v1
	s_and_b64 s[26:27], vcc, s[26:27]
	v_cndmask_b32_e64 v1, v1, 0, s[26:27]
	v_or_b32_e32 v0, v1, v0
	buffer_store_dword v0, off, s[0:3], s33 offset:308 ; 4-byte Folded Spill
.LBB6_1304:                             ;   in Loop: Header=BB6_136 Depth=3
	s_or_b64 exec, exec, s[34:35]
                                        ; implicit-def: $vgpr0
.LBB6_1305:                             ;   in Loop: Header=BB6_136 Depth=3
	s_andn2_saveexec_b64 s[26:27], s[30:31]
	s_cbranch_execz .LBB6_1307
; %bb.1306:                             ;   in Loop: Header=BB6_136 Depth=3
	v_or_b32_e32 v0, 0x7e, v0
	buffer_store_dword v0, off, s[0:3], s33 offset:308 ; 4-byte Folded Spill
.LBB6_1307:                             ;   in Loop: Header=BB6_136 Depth=3
	s_or_b64 exec, exec, s[26:27]
                                        ; implicit-def: $vgpr1
.LBB6_1308:                             ;   in Loop: Header=BB6_136 Depth=3
	s_andn2_saveexec_b64 s[26:27], s[94:95]
	s_cbranch_execz .LBB6_1310
; %bb.1309:                             ;   in Loop: Header=BB6_136 Depth=3
	v_or_b32_sdwa v0, v1, s86 dst_sel:DWORD dst_unused:UNUSED_PAD src0_sel:BYTE_3 src1_sel:DWORD
	buffer_store_dword v0, off, s[0:3], s33 offset:308 ; 4-byte Folded Spill
.LBB6_1310:                             ;   in Loop: Header=BB6_136 Depth=3
	s_or_b64 exec, exec, s[26:27]
	v_lshrrev_b16_e32 v15, 8, v14
	v_cmp_ne_u16_e32 vcc, 0, v15
	v_mov_b32_e32 v0, 0
	s_and_saveexec_b64 s[26:27], vcc
	s_cbranch_execz .LBB6_1316
; %bb.1311:                             ;   in Loop: Header=BB6_136 Depth=3
	v_cmp_ne_u16_e32 vcc, s96, v15
	v_bfrev_b32_e32 v0, 1
	s_and_saveexec_b64 s[94:95], vcc
	s_cbranch_execz .LBB6_1315
; %bb.1312:                             ;   in Loop: Header=BB6_136 Depth=3
	v_and_b32_e32 v1, 0x7f, v15
	v_cmp_ne_u32_e32 vcc, s86, v1
	v_mov_b32_e32 v0, 0x7f800001
	s_and_saveexec_b64 s[30:31], vcc
	s_cbranch_execz .LBB6_1314
; %bb.1313:                             ;   in Loop: Header=BB6_136 Depth=3
	v_and_b32_e32 v2, 7, v15
	v_ffbh_u32_e32 v0, v2
	v_min_u32_e32 v4, 32, v0
	v_subrev_u32_e32 v0, 28, v4
	v_lshrrev_b32_e32 v3, 3, v1
	v_cmp_gt_u32_e32 vcc, 8, v1
	v_lshlrev_b64 v[0:1], v0, v[15:16]
	v_sub_u32_e32 v1, 29, v4
	v_and_b32_e32 v0, 7, v0
	v_cndmask_b32_e32 v1, v3, v1, vcc
	v_cndmask_b32_e32 v0, v2, v0, vcc
	v_lshlrev_b32_e32 v2, 16, v14
	v_bfrev_b32_e32 v3, 60
	v_lshlrev_b32_e32 v0, 20, v0
	v_and_b32_e32 v2, 0x80000000, v2
	v_lshl_add_u32 v1, v1, 23, v3
	v_or3_b32 v0, v2, v1, v0
.LBB6_1314:                             ;   in Loop: Header=BB6_136 Depth=3
	s_or_b64 exec, exec, s[30:31]
.LBB6_1315:                             ;   in Loop: Header=BB6_136 Depth=3
	s_or_b64 exec, exec, s[94:95]
.LBB6_1316:                             ;   in Loop: Header=BB6_136 Depth=3
	s_or_b64 exec, exec, s[26:27]
	v_mul_f32_e32 v1, v18, v0
	v_and_b32_e32 v2, 0x7f800000, v1
	v_mov_b32_e32 v3, v51
	v_cmp_ne_u64_e32 vcc, s[76:77], v[2:3]
                                        ; implicit-def: $vgpr0
                                        ; kill: killed $vgpr0
	s_and_saveexec_b64 s[26:27], vcc
	s_xor_b64 s[94:95], exec, s[26:27]
	s_cbranch_execz .LBB6_1330
; %bb.1317:                             ;   in Loop: Header=BB6_136 Depth=3
	v_and_b32_e32 v2, 0x7fffffff, v1
	v_mov_b32_e32 v3, v51
	v_cmp_gt_u64_e32 vcc, s[78:79], v[2:3]
	v_and_b32_sdwa v0, v1, s96 dst_sel:DWORD dst_unused:UNUSED_PAD src0_sel:BYTE_3 src1_sel:DWORD
                                        ; implicit-def: $vgpr2
                                        ; kill: killed $vgpr2
	s_and_saveexec_b64 s[26:27], vcc
	s_xor_b64 s[30:31], exec, s[26:27]
	s_cbranch_execz .LBB6_1327
; %bb.1318:                             ;   in Loop: Header=BB6_136 Depth=3
	v_mov_b32_e32 v2, 0
	v_cmp_ne_u32_e32 vcc, 0, v1
	buffer_store_dword v2, off, s[0:3], s33 offset:312 ; 4-byte Folded Spill
	s_and_saveexec_b64 s[34:35], vcc
	s_cbranch_execz .LBB6_1326
; %bb.1319:                             ;   in Loop: Header=BB6_136 Depth=3
	v_and_b32_e32 v3, 0x7fffff, v1
	v_bfe_u32 v1, v1, 23, 8
	v_cmp_gt_u32_e64 s[26:27], s97, v1
	v_sub_u32_e32 v2, 0x79, v1
	v_cmp_eq_u32_e32 vcc, 0, v1
	v_cndmask_b32_e64 v2, 0, v2, s[26:27]
	v_mov_b32_e32 v5, 0x78
	v_cndmask_b32_e32 v2, v2, v5, vcc
	v_add_u32_e32 v5, 20, v2
	v_or_b32_e32 v4, 0x800000, v3
	v_lshlrev_b64 v[5:6], v5, -1
	v_add_u32_e32 v7, 19, v2
	v_cndmask_b32_e32 v3, v4, v3, vcc
	v_lshlrev_b64 v[14:15], v7, 1
	v_mov_b32_e32 v4, v51
	v_bfi_b32 v6, v6, 0, 0
	v_bfi_b32 v5, v5, 0, v3
	v_cmp_eq_u64_e64 s[26:27], v[5:6], v[14:15]
	v_lshrrev_b64 v[14:15], v2, v[3:4]
	v_mov_b32_e32 v16, v15
	v_mov_b32_e32 v15, v14
	s_and_saveexec_b64 s[36:37], s[26:27]
; %bb.1320:                             ;   in Loop: Header=BB6_136 Depth=3
	v_bfe_u32 v3, v14, 20, 1
	v_add_co_u32_e64 v3, s[26:27], v14, v3
	v_add_co_u32_e64 v15, s[26:27], -1, v3
; %bb.1321:                             ;   in Loop: Header=BB6_136 Depth=3
	s_or_b64 exec, exec, s[36:37]
	v_add_u32_e32 v1, 0xffffff81, v1
	v_mov_b32_e32 v3, 0xffffff82
	v_cndmask_b32_e32 v1, v1, v3, vcc
	v_lshrrev_b32_e32 v3, 23, v14
	v_add3_u32 v3, v2, v1, v3
	v_add_u32_e32 v2, 6, v3
	v_and_b32_e32 v1, 0xfffff, v15
	v_add_u32_e32 v14, v1, v14
	v_mov_b32_e32 v15, v51
	v_cmp_ne_u32_e32 vcc, 0, v2
                                        ; implicit-def: $vgpr1
	s_and_saveexec_b64 s[26:27], vcc
	s_xor_b64 s[26:27], exec, s[26:27]
; %bb.1322:                             ;   in Loop: Header=BB6_136 Depth=3
	v_cmp_lt_u64_e32 vcc, s[88:89], v[14:15]
	v_add_u32_e32 v1, 7, v3
	v_cndmask_b32_e32 v1, v2, v1, vcc
	v_cndmask_b32_e64 v2, 0, 1, vcc
	v_lshrrev_b64 v[14:15], v2, v[14:15]
; %bb.1323:                             ;   in Loop: Header=BB6_136 Depth=3
	s_andn2_saveexec_b64 s[26:27], s[26:27]
; %bb.1324:                             ;   in Loop: Header=BB6_136 Depth=3
	v_bfe_u32 v1, v14, 23, 1
; %bb.1325:                             ;   in Loop: Header=BB6_136 Depth=3
	s_or_b64 exec, exec, s[26:27]
	v_lshrrev_b64 v[2:3], 20, v[14:15]
	v_cmp_gt_i32_e32 vcc, 16, v1
	v_cndmask_b32_e32 v3, 0, v3, vcc
	v_cndmask_b32_e32 v2, 7, v2, vcc
	v_cmp_eq_u32_e32 vcc, 0, v1
	v_min_i32_e32 v1, 15, v1
	v_cmp_eq_u64_e64 s[26:27], 0, v[2:3]
	v_lshlrev_b32_e32 v1, 3, v1
	v_and_b32_e32 v1, 0xf8, v1
	v_and_or_b32 v1, v2, 7, v1
	s_and_b64 s[26:27], vcc, s[26:27]
	v_cndmask_b32_e64 v1, v1, 0, s[26:27]
	v_or_b32_e32 v0, v1, v0
	buffer_store_dword v0, off, s[0:3], s33 offset:312 ; 4-byte Folded Spill
.LBB6_1326:                             ;   in Loop: Header=BB6_136 Depth=3
	s_or_b64 exec, exec, s[34:35]
                                        ; implicit-def: $vgpr0
.LBB6_1327:                             ;   in Loop: Header=BB6_136 Depth=3
	s_andn2_saveexec_b64 s[26:27], s[30:31]
	s_cbranch_execz .LBB6_1329
; %bb.1328:                             ;   in Loop: Header=BB6_136 Depth=3
	v_or_b32_e32 v0, 0x7e, v0
	buffer_store_dword v0, off, s[0:3], s33 offset:312 ; 4-byte Folded Spill
.LBB6_1329:                             ;   in Loop: Header=BB6_136 Depth=3
	s_or_b64 exec, exec, s[26:27]
                                        ; implicit-def: $vgpr1
.LBB6_1330:                             ;   in Loop: Header=BB6_136 Depth=3
	s_andn2_saveexec_b64 s[26:27], s[94:95]
	s_cbranch_execz .LBB6_1332
; %bb.1331:                             ;   in Loop: Header=BB6_136 Depth=3
	v_or_b32_sdwa v0, v1, s86 dst_sel:DWORD dst_unused:UNUSED_PAD src0_sel:BYTE_3 src1_sel:DWORD
	buffer_store_dword v0, off, s[0:3], s33 offset:312 ; 4-byte Folded Spill
.LBB6_1332:                             ;   in Loop: Header=BB6_136 Depth=3
	s_or_b64 exec, exec, s[26:27]
	v_lshrrev_b32_e32 v14, 16, v9
	v_cmp_ne_u16_sdwa s[94:95], v14, v51 src0_sel:BYTE_0 src1_sel:DWORD
	v_mov_b32_e32 v0, 0
	s_and_saveexec_b64 s[26:27], s[94:95]
	s_cbranch_execz .LBB6_1338
; %bb.1333:                             ;   in Loop: Header=BB6_136 Depth=3
	v_cmp_ne_u16_sdwa vcc, v14, s96 src0_sel:BYTE_0 src1_sel:DWORD
	v_bfrev_b32_e32 v0, 1
	s_and_saveexec_b64 s[94:95], vcc
	s_cbranch_execz .LBB6_1337
; %bb.1334:                             ;   in Loop: Header=BB6_136 Depth=3
	v_bfe_u32 v1, v9, 16, 7
	v_cmp_ne_u32_e32 vcc, s86, v1
	v_mov_b32_e32 v0, 0x7f800001
	s_and_saveexec_b64 s[30:31], vcc
	s_cbranch_execz .LBB6_1336
; %bb.1335:                             ;   in Loop: Header=BB6_136 Depth=3
	v_and_b32_e32 v2, 7, v14
	v_ffbh_u32_e32 v0, v2
	v_min_u32_e32 v4, 32, v0
	v_subrev_u32_e32 v0, 28, v4
	v_lshrrev_b32_e32 v3, 3, v1
	v_cmp_gt_u32_e32 vcc, 8, v1
	v_lshlrev_b64 v[0:1], v0, v[14:15]
	v_sub_u32_e32 v1, 29, v4
	v_and_b32_e32 v0, 7, v0
	v_cndmask_b32_e32 v1, v3, v1, vcc
	v_cndmask_b32_e32 v0, v2, v0, vcc
	v_lshlrev_b32_e32 v2, 24, v14
	v_bfrev_b32_e32 v3, 60
	v_lshlrev_b32_e32 v0, 20, v0
	v_and_b32_e32 v2, 0x80000000, v2
	v_lshl_add_u32 v1, v1, 23, v3
	v_or3_b32 v0, v2, v1, v0
.LBB6_1336:                             ;   in Loop: Header=BB6_136 Depth=3
	s_or_b64 exec, exec, s[30:31]
.LBB6_1337:                             ;   in Loop: Header=BB6_136 Depth=3
	s_or_b64 exec, exec, s[94:95]
.LBB6_1338:                             ;   in Loop: Header=BB6_136 Depth=3
	s_or_b64 exec, exec, s[26:27]
	v_mul_f32_e32 v1, v18, v0
	v_and_b32_e32 v2, 0x7f800000, v1
	v_mov_b32_e32 v3, v51
	v_cmp_ne_u64_e32 vcc, s[76:77], v[2:3]
                                        ; implicit-def: $vgpr0
                                        ; kill: killed $vgpr0
	s_and_saveexec_b64 s[26:27], vcc
	s_xor_b64 s[94:95], exec, s[26:27]
	s_cbranch_execz .LBB6_1352
; %bb.1339:                             ;   in Loop: Header=BB6_136 Depth=3
	v_and_b32_e32 v2, 0x7fffffff, v1
	v_mov_b32_e32 v3, v51
	v_cmp_gt_u64_e32 vcc, s[78:79], v[2:3]
	v_and_b32_sdwa v0, v1, s96 dst_sel:DWORD dst_unused:UNUSED_PAD src0_sel:BYTE_3 src1_sel:DWORD
                                        ; implicit-def: $vgpr2
                                        ; kill: killed $vgpr2
	s_and_saveexec_b64 s[26:27], vcc
	s_xor_b64 s[30:31], exec, s[26:27]
	s_cbranch_execz .LBB6_1349
; %bb.1340:                             ;   in Loop: Header=BB6_136 Depth=3
	v_mov_b32_e32 v2, 0
	v_cmp_ne_u32_e32 vcc, 0, v1
	buffer_store_dword v2, off, s[0:3], s33 offset:360 ; 4-byte Folded Spill
	s_and_saveexec_b64 s[34:35], vcc
	s_cbranch_execz .LBB6_1348
; %bb.1341:                             ;   in Loop: Header=BB6_136 Depth=3
	v_and_b32_e32 v3, 0x7fffff, v1
	v_bfe_u32 v1, v1, 23, 8
	v_cmp_gt_u32_e64 s[26:27], s97, v1
	v_sub_u32_e32 v2, 0x79, v1
	v_cmp_eq_u32_e32 vcc, 0, v1
	v_cndmask_b32_e64 v2, 0, v2, s[26:27]
	v_mov_b32_e32 v5, 0x78
	v_cndmask_b32_e32 v2, v2, v5, vcc
	v_add_u32_e32 v5, 20, v2
	v_or_b32_e32 v4, 0x800000, v3
	v_lshlrev_b64 v[5:6], v5, -1
	v_add_u32_e32 v7, 19, v2
	v_cndmask_b32_e32 v3, v4, v3, vcc
	v_lshlrev_b64 v[14:15], v7, 1
	v_mov_b32_e32 v4, v51
	v_bfi_b32 v6, v6, 0, 0
	v_bfi_b32 v5, v5, 0, v3
	v_cmp_eq_u64_e64 s[26:27], v[5:6], v[14:15]
	v_lshrrev_b64 v[14:15], v2, v[3:4]
	v_mov_b32_e32 v16, v15
	v_mov_b32_e32 v15, v14
	s_and_saveexec_b64 s[36:37], s[26:27]
; %bb.1342:                             ;   in Loop: Header=BB6_136 Depth=3
	v_bfe_u32 v3, v14, 20, 1
	v_add_co_u32_e64 v3, s[26:27], v14, v3
	v_add_co_u32_e64 v15, s[26:27], -1, v3
; %bb.1343:                             ;   in Loop: Header=BB6_136 Depth=3
	s_or_b64 exec, exec, s[36:37]
	v_add_u32_e32 v1, 0xffffff81, v1
	v_mov_b32_e32 v3, 0xffffff82
	v_cndmask_b32_e32 v1, v1, v3, vcc
	v_lshrrev_b32_e32 v3, 23, v14
	v_add3_u32 v3, v2, v1, v3
	v_add_u32_e32 v2, 6, v3
	v_and_b32_e32 v1, 0xfffff, v15
	v_add_u32_e32 v14, v1, v14
	v_mov_b32_e32 v15, v51
	v_cmp_ne_u32_e32 vcc, 0, v2
                                        ; implicit-def: $vgpr1
	s_and_saveexec_b64 s[26:27], vcc
	s_xor_b64 s[26:27], exec, s[26:27]
; %bb.1344:                             ;   in Loop: Header=BB6_136 Depth=3
	v_cmp_lt_u64_e32 vcc, s[88:89], v[14:15]
	v_add_u32_e32 v1, 7, v3
	v_cndmask_b32_e32 v1, v2, v1, vcc
	v_cndmask_b32_e64 v2, 0, 1, vcc
	v_lshrrev_b64 v[14:15], v2, v[14:15]
; %bb.1345:                             ;   in Loop: Header=BB6_136 Depth=3
	s_andn2_saveexec_b64 s[26:27], s[26:27]
; %bb.1346:                             ;   in Loop: Header=BB6_136 Depth=3
	v_bfe_u32 v1, v14, 23, 1
; %bb.1347:                             ;   in Loop: Header=BB6_136 Depth=3
	s_or_b64 exec, exec, s[26:27]
	v_lshrrev_b64 v[2:3], 20, v[14:15]
	v_cmp_gt_i32_e32 vcc, 16, v1
	v_cndmask_b32_e32 v3, 0, v3, vcc
	v_cndmask_b32_e32 v2, 7, v2, vcc
	v_cmp_eq_u32_e32 vcc, 0, v1
	v_min_i32_e32 v1, 15, v1
	v_cmp_eq_u64_e64 s[26:27], 0, v[2:3]
	v_lshlrev_b32_e32 v1, 3, v1
	v_and_b32_e32 v1, 0xf8, v1
	v_and_or_b32 v1, v2, 7, v1
	s_and_b64 s[26:27], vcc, s[26:27]
	v_cndmask_b32_e64 v1, v1, 0, s[26:27]
	v_or_b32_e32 v0, v1, v0
	buffer_store_dword v0, off, s[0:3], s33 offset:360 ; 4-byte Folded Spill
.LBB6_1348:                             ;   in Loop: Header=BB6_136 Depth=3
	s_or_b64 exec, exec, s[34:35]
                                        ; implicit-def: $vgpr0
.LBB6_1349:                             ;   in Loop: Header=BB6_136 Depth=3
	s_andn2_saveexec_b64 s[26:27], s[30:31]
	s_cbranch_execz .LBB6_1351
; %bb.1350:                             ;   in Loop: Header=BB6_136 Depth=3
	v_or_b32_e32 v0, 0x7e, v0
	buffer_store_dword v0, off, s[0:3], s33 offset:360 ; 4-byte Folded Spill
.LBB6_1351:                             ;   in Loop: Header=BB6_136 Depth=3
	s_or_b64 exec, exec, s[26:27]
                                        ; implicit-def: $vgpr1
.LBB6_1352:                             ;   in Loop: Header=BB6_136 Depth=3
	s_andn2_saveexec_b64 s[26:27], s[94:95]
	s_cbranch_execz .LBB6_1354
; %bb.1353:                             ;   in Loop: Header=BB6_136 Depth=3
	v_or_b32_sdwa v0, v1, s86 dst_sel:DWORD dst_unused:UNUSED_PAD src0_sel:BYTE_3 src1_sel:DWORD
	buffer_store_dword v0, off, s[0:3], s33 offset:360 ; 4-byte Folded Spill
.LBB6_1354:                             ;   in Loop: Header=BB6_136 Depth=3
	s_or_b64 exec, exec, s[26:27]
	v_cmp_lt_u64_e32 vcc, s[56:57], v[8:9]
	v_mov_b32_e32 v0, 0
	s_and_saveexec_b64 s[26:27], vcc
	s_cbranch_execz .LBB6_1360
; %bb.1355:                             ;   in Loop: Header=BB6_136 Depth=3
	v_lshrrev_b32_e32 v8, 24, v9
	v_cmp_ne_u32_e32 vcc, s96, v8
	v_bfrev_b32_e32 v0, 1
	s_and_saveexec_b64 s[94:95], vcc
	s_cbranch_execz .LBB6_1359
; %bb.1356:                             ;   in Loop: Header=BB6_136 Depth=3
	v_bfe_u32 v1, v9, 24, 7
	v_cmp_ne_u32_e32 vcc, s86, v1
	v_mov_b32_e32 v0, 0x7f800001
	s_and_saveexec_b64 s[30:31], vcc
	s_cbranch_execz .LBB6_1358
; %bb.1357:                             ;   in Loop: Header=BB6_136 Depth=3
	v_and_b32_e32 v2, 7, v8
	v_ffbh_u32_e32 v0, v2
	v_min_u32_e32 v4, 32, v0
	v_subrev_u32_e32 v0, 28, v4
	v_lshrrev_b32_e32 v3, 3, v1
	v_cmp_gt_u32_e32 vcc, 8, v1
	v_lshlrev_b64 v[0:1], v0, v[8:9]
	v_sub_u32_e32 v1, 29, v4
	v_and_b32_e32 v0, 7, v0
	v_cndmask_b32_e32 v1, v3, v1, vcc
	v_cndmask_b32_e32 v0, v2, v0, vcc
	v_lshlrev_b32_e32 v2, 24, v8
	v_bfrev_b32_e32 v3, 60
	v_lshlrev_b32_e32 v0, 20, v0
	v_and_b32_e32 v2, 0x80000000, v2
	v_lshl_add_u32 v1, v1, 23, v3
	v_or3_b32 v0, v2, v1, v0
.LBB6_1358:                             ;   in Loop: Header=BB6_136 Depth=3
	s_or_b64 exec, exec, s[30:31]
.LBB6_1359:                             ;   in Loop: Header=BB6_136 Depth=3
	s_or_b64 exec, exec, s[94:95]
.LBB6_1360:                             ;   in Loop: Header=BB6_136 Depth=3
	s_or_b64 exec, exec, s[26:27]
	v_mul_f32_e32 v1, v18, v0
	v_and_b32_e32 v2, 0x7f800000, v1
	v_mov_b32_e32 v3, v51
	v_cmp_ne_u64_e32 vcc, s[76:77], v[2:3]
                                        ; implicit-def: $vgpr0
                                        ; kill: killed $vgpr0
	s_and_saveexec_b64 s[26:27], vcc
	s_xor_b64 s[94:95], exec, s[26:27]
	s_cbranch_execz .LBB6_1374
; %bb.1361:                             ;   in Loop: Header=BB6_136 Depth=3
	v_and_b32_e32 v2, 0x7fffffff, v1
	v_mov_b32_e32 v3, v51
	v_cmp_gt_u64_e32 vcc, s[78:79], v[2:3]
	v_and_b32_sdwa v0, v1, s96 dst_sel:DWORD dst_unused:UNUSED_PAD src0_sel:BYTE_3 src1_sel:DWORD
                                        ; implicit-def: $vgpr2
                                        ; kill: killed $vgpr2
	s_and_saveexec_b64 s[26:27], vcc
	s_xor_b64 s[30:31], exec, s[26:27]
	s_cbranch_execz .LBB6_1371
; %bb.1362:                             ;   in Loop: Header=BB6_136 Depth=3
	v_mov_b32_e32 v2, 0
	v_cmp_ne_u32_e32 vcc, 0, v1
	buffer_store_dword v2, off, s[0:3], s33 offset:364 ; 4-byte Folded Spill
	s_and_saveexec_b64 s[34:35], vcc
	s_cbranch_execz .LBB6_1370
; %bb.1363:                             ;   in Loop: Header=BB6_136 Depth=3
	v_and_b32_e32 v3, 0x7fffff, v1
	v_bfe_u32 v1, v1, 23, 8
	v_cmp_gt_u32_e64 s[26:27], s97, v1
	v_sub_u32_e32 v2, 0x79, v1
	v_cmp_eq_u32_e32 vcc, 0, v1
	v_cndmask_b32_e64 v2, 0, v2, s[26:27]
	v_mov_b32_e32 v5, 0x78
	v_cndmask_b32_e32 v2, v2, v5, vcc
	v_add_u32_e32 v5, 20, v2
	v_or_b32_e32 v4, 0x800000, v3
	v_lshlrev_b64 v[5:6], v5, -1
	v_add_u32_e32 v7, 19, v2
	v_cndmask_b32_e32 v3, v4, v3, vcc
	v_lshlrev_b64 v[7:8], v7, 1
	v_mov_b32_e32 v4, v51
	v_bfi_b32 v6, v6, 0, 0
	v_bfi_b32 v5, v5, 0, v3
	v_cmp_eq_u64_e64 s[26:27], v[5:6], v[7:8]
	v_lshrrev_b64 v[8:9], v2, v[3:4]
	v_mov_b32_e32 v15, v9
	v_mov_b32_e32 v14, v8
	s_and_saveexec_b64 s[36:37], s[26:27]
; %bb.1364:                             ;   in Loop: Header=BB6_136 Depth=3
	v_bfe_u32 v3, v8, 20, 1
	v_add_co_u32_e64 v3, s[26:27], v8, v3
	v_add_co_u32_e64 v14, s[26:27], -1, v3
; %bb.1365:                             ;   in Loop: Header=BB6_136 Depth=3
	s_or_b64 exec, exec, s[36:37]
	v_add_u32_e32 v1, 0xffffff81, v1
	v_mov_b32_e32 v3, 0xffffff82
	v_cndmask_b32_e32 v1, v1, v3, vcc
	v_lshrrev_b32_e32 v3, 23, v8
	v_add3_u32 v3, v2, v1, v3
	v_add_u32_e32 v2, 6, v3
	v_and_b32_e32 v1, 0xfffff, v14
	v_add_u32_e32 v8, v1, v8
	v_mov_b32_e32 v9, v51
	v_cmp_ne_u32_e32 vcc, 0, v2
                                        ; implicit-def: $vgpr1
	s_and_saveexec_b64 s[26:27], vcc
	s_xor_b64 s[26:27], exec, s[26:27]
; %bb.1366:                             ;   in Loop: Header=BB6_136 Depth=3
	v_cmp_lt_u64_e32 vcc, s[88:89], v[8:9]
	v_add_u32_e32 v1, 7, v3
	v_cndmask_b32_e32 v1, v2, v1, vcc
	v_cndmask_b32_e64 v2, 0, 1, vcc
	v_lshrrev_b64 v[8:9], v2, v[8:9]
; %bb.1367:                             ;   in Loop: Header=BB6_136 Depth=3
	s_andn2_saveexec_b64 s[26:27], s[26:27]
; %bb.1368:                             ;   in Loop: Header=BB6_136 Depth=3
	v_bfe_u32 v1, v8, 23, 1
; %bb.1369:                             ;   in Loop: Header=BB6_136 Depth=3
	s_or_b64 exec, exec, s[26:27]
	v_lshrrev_b64 v[2:3], 20, v[8:9]
	v_cmp_gt_i32_e32 vcc, 16, v1
	v_cndmask_b32_e32 v3, 0, v3, vcc
	v_cndmask_b32_e32 v2, 7, v2, vcc
	v_cmp_eq_u32_e32 vcc, 0, v1
	v_min_i32_e32 v1, 15, v1
	v_cmp_eq_u64_e64 s[26:27], 0, v[2:3]
	v_lshlrev_b32_e32 v1, 3, v1
	v_and_b32_e32 v1, 0xf8, v1
	v_and_or_b32 v1, v2, 7, v1
	s_and_b64 s[26:27], vcc, s[26:27]
	v_cndmask_b32_e64 v1, v1, 0, s[26:27]
	v_or_b32_e32 v0, v1, v0
	buffer_store_dword v0, off, s[0:3], s33 offset:364 ; 4-byte Folded Spill
.LBB6_1370:                             ;   in Loop: Header=BB6_136 Depth=3
	s_or_b64 exec, exec, s[34:35]
                                        ; implicit-def: $vgpr0
.LBB6_1371:                             ;   in Loop: Header=BB6_136 Depth=3
	s_andn2_saveexec_b64 s[26:27], s[30:31]
	s_cbranch_execz .LBB6_1373
; %bb.1372:                             ;   in Loop: Header=BB6_136 Depth=3
	v_or_b32_e32 v0, 0x7e, v0
	buffer_store_dword v0, off, s[0:3], s33 offset:364 ; 4-byte Folded Spill
.LBB6_1373:                             ;   in Loop: Header=BB6_136 Depth=3
	s_or_b64 exec, exec, s[26:27]
                                        ; implicit-def: $vgpr1
.LBB6_1374:                             ;   in Loop: Header=BB6_136 Depth=3
	s_andn2_saveexec_b64 s[26:27], s[94:95]
	s_cbranch_execz .LBB6_1376
; %bb.1375:                             ;   in Loop: Header=BB6_136 Depth=3
	v_or_b32_sdwa v0, v1, s86 dst_sel:DWORD dst_unused:UNUSED_PAD src0_sel:BYTE_3 src1_sel:DWORD
	buffer_store_dword v0, off, s[0:3], s33 offset:364 ; 4-byte Folded Spill
.LBB6_1376:                             ;   in Loop: Header=BB6_136 Depth=3
	s_or_b64 exec, exec, s[26:27]
	v_cmp_ne_u16_sdwa s[94:95], v10, v51 src0_sel:BYTE_0 src1_sel:DWORD
	v_mov_b32_e32 v0, 0
	s_and_saveexec_b64 s[26:27], s[94:95]
	s_cbranch_execz .LBB6_1382
; %bb.1377:                             ;   in Loop: Header=BB6_136 Depth=3
	v_cmp_ne_u16_sdwa vcc, v10, s96 src0_sel:BYTE_0 src1_sel:DWORD
	v_bfrev_b32_e32 v0, 1
	s_and_saveexec_b64 s[94:95], vcc
	s_cbranch_execz .LBB6_1381
; %bb.1378:                             ;   in Loop: Header=BB6_136 Depth=3
	v_and_b32_e32 v1, 0x7f, v10
	v_cmp_ne_u32_e32 vcc, s86, v1
	v_mov_b32_e32 v0, 0x7f800001
	s_and_saveexec_b64 s[30:31], vcc
	s_cbranch_execz .LBB6_1380
; %bb.1379:                             ;   in Loop: Header=BB6_136 Depth=3
	v_and_b32_e32 v0, 7, v10
	v_ffbh_u32_e32 v0, v0
	v_min_u32_e32 v0, 32, v0
	v_lshrrev_b32_e32 v2, 3, v1
	v_cmp_gt_u32_e32 vcc, 8, v1
	v_subrev_u32_e32 v1, 28, v0
	v_sub_u32_e32 v0, 29, v0
	v_cndmask_b32_e32 v2, v2, v0, vcc
	v_cndmask_b32_e32 v0, 0, v1, vcc
	v_lshlrev_b64 v[0:1], v0, v[10:11]
	v_lshlrev_b32_e32 v1, 24, v10
	v_lshlrev_b32_e32 v0, 20, v0
	v_bfrev_b32_e32 v3, 60
	v_and_b32_e32 v0, 0x700000, v0
	v_and_b32_e32 v1, 0x80000000, v1
	v_lshl_add_u32 v2, v2, 23, v3
	v_or3_b32 v0, v1, v2, v0
.LBB6_1380:                             ;   in Loop: Header=BB6_136 Depth=3
	s_or_b64 exec, exec, s[30:31]
.LBB6_1381:                             ;   in Loop: Header=BB6_136 Depth=3
	s_or_b64 exec, exec, s[94:95]
.LBB6_1382:                             ;   in Loop: Header=BB6_136 Depth=3
	s_or_b64 exec, exec, s[26:27]
	v_mul_f32_e32 v1, v18, v0
	v_and_b32_e32 v2, 0x7f800000, v1
	v_mov_b32_e32 v3, v51
	v_cmp_ne_u64_e32 vcc, s[76:77], v[2:3]
                                        ; implicit-def: $vgpr0
                                        ; kill: killed $vgpr0
	s_and_saveexec_b64 s[26:27], vcc
	s_xor_b64 s[94:95], exec, s[26:27]
	s_cbranch_execz .LBB6_1396
; %bb.1383:                             ;   in Loop: Header=BB6_136 Depth=3
	v_and_b32_e32 v2, 0x7fffffff, v1
	v_mov_b32_e32 v3, v51
	v_cmp_gt_u64_e32 vcc, s[78:79], v[2:3]
	v_and_b32_sdwa v0, v1, s96 dst_sel:DWORD dst_unused:UNUSED_PAD src0_sel:BYTE_3 src1_sel:DWORD
                                        ; implicit-def: $vgpr2
                                        ; kill: killed $vgpr2
	s_and_saveexec_b64 s[26:27], vcc
	s_xor_b64 s[30:31], exec, s[26:27]
	s_cbranch_execz .LBB6_1393
; %bb.1384:                             ;   in Loop: Header=BB6_136 Depth=3
	v_mov_b32_e32 v2, 0
	v_cmp_ne_u32_e32 vcc, 0, v1
	buffer_store_dword v2, off, s[0:3], s33 offset:420 ; 4-byte Folded Spill
	s_and_saveexec_b64 s[34:35], vcc
	s_cbranch_execz .LBB6_1392
; %bb.1385:                             ;   in Loop: Header=BB6_136 Depth=3
	v_and_b32_e32 v3, 0x7fffff, v1
	v_bfe_u32 v1, v1, 23, 8
	v_cmp_gt_u32_e64 s[26:27], s97, v1
	v_sub_u32_e32 v2, 0x79, v1
	v_cmp_eq_u32_e32 vcc, 0, v1
	v_cndmask_b32_e64 v2, 0, v2, s[26:27]
	v_mov_b32_e32 v5, 0x78
	v_cndmask_b32_e32 v2, v2, v5, vcc
	v_add_u32_e32 v5, 20, v2
	v_or_b32_e32 v4, 0x800000, v3
	v_lshlrev_b64 v[5:6], v5, -1
	v_add_u32_e32 v7, 19, v2
	v_cndmask_b32_e32 v3, v4, v3, vcc
	v_lshlrev_b64 v[7:8], v7, 1
	v_mov_b32_e32 v4, v51
	v_bfi_b32 v6, v6, 0, 0
	v_bfi_b32 v5, v5, 0, v3
	v_cmp_eq_u64_e64 s[26:27], v[5:6], v[7:8]
	v_lshrrev_b64 v[8:9], v2, v[3:4]
	v_mov_b32_e32 v15, v9
	v_mov_b32_e32 v14, v8
	s_and_saveexec_b64 s[36:37], s[26:27]
; %bb.1386:                             ;   in Loop: Header=BB6_136 Depth=3
	v_bfe_u32 v3, v8, 20, 1
	v_add_co_u32_e64 v3, s[26:27], v8, v3
	v_add_co_u32_e64 v14, s[26:27], -1, v3
; %bb.1387:                             ;   in Loop: Header=BB6_136 Depth=3
	s_or_b64 exec, exec, s[36:37]
	v_add_u32_e32 v1, 0xffffff81, v1
	v_mov_b32_e32 v3, 0xffffff82
	v_cndmask_b32_e32 v1, v1, v3, vcc
	v_lshrrev_b32_e32 v3, 23, v8
	v_add3_u32 v3, v2, v1, v3
	v_add_u32_e32 v2, 6, v3
	v_and_b32_e32 v1, 0xfffff, v14
	v_add_u32_e32 v8, v1, v8
	v_mov_b32_e32 v9, v51
	v_cmp_ne_u32_e32 vcc, 0, v2
                                        ; implicit-def: $vgpr1
	s_and_saveexec_b64 s[26:27], vcc
	s_xor_b64 s[26:27], exec, s[26:27]
; %bb.1388:                             ;   in Loop: Header=BB6_136 Depth=3
	v_cmp_lt_u64_e32 vcc, s[88:89], v[8:9]
	v_add_u32_e32 v1, 7, v3
	v_cndmask_b32_e32 v1, v2, v1, vcc
	v_cndmask_b32_e64 v2, 0, 1, vcc
	v_lshrrev_b64 v[8:9], v2, v[8:9]
; %bb.1389:                             ;   in Loop: Header=BB6_136 Depth=3
	s_andn2_saveexec_b64 s[26:27], s[26:27]
; %bb.1390:                             ;   in Loop: Header=BB6_136 Depth=3
	v_bfe_u32 v1, v8, 23, 1
; %bb.1391:                             ;   in Loop: Header=BB6_136 Depth=3
	s_or_b64 exec, exec, s[26:27]
	v_lshrrev_b64 v[2:3], 20, v[8:9]
	v_cmp_gt_i32_e32 vcc, 16, v1
	v_cndmask_b32_e32 v3, 0, v3, vcc
	v_cndmask_b32_e32 v2, 7, v2, vcc
	v_cmp_eq_u32_e32 vcc, 0, v1
	v_min_i32_e32 v1, 15, v1
	v_cmp_eq_u64_e64 s[26:27], 0, v[2:3]
	v_lshlrev_b32_e32 v1, 3, v1
	v_and_b32_e32 v1, 0xf8, v1
	v_and_or_b32 v1, v2, 7, v1
	s_and_b64 s[26:27], vcc, s[26:27]
	v_cndmask_b32_e64 v1, v1, 0, s[26:27]
	v_or_b32_e32 v0, v1, v0
	buffer_store_dword v0, off, s[0:3], s33 offset:420 ; 4-byte Folded Spill
.LBB6_1392:                             ;   in Loop: Header=BB6_136 Depth=3
	s_or_b64 exec, exec, s[34:35]
                                        ; implicit-def: $vgpr0
.LBB6_1393:                             ;   in Loop: Header=BB6_136 Depth=3
	s_andn2_saveexec_b64 s[26:27], s[30:31]
	s_cbranch_execz .LBB6_1395
; %bb.1394:                             ;   in Loop: Header=BB6_136 Depth=3
	v_or_b32_e32 v0, 0x7e, v0
	buffer_store_dword v0, off, s[0:3], s33 offset:420 ; 4-byte Folded Spill
.LBB6_1395:                             ;   in Loop: Header=BB6_136 Depth=3
	s_or_b64 exec, exec, s[26:27]
                                        ; implicit-def: $vgpr1
.LBB6_1396:                             ;   in Loop: Header=BB6_136 Depth=3
	s_andn2_saveexec_b64 s[26:27], s[94:95]
	s_cbranch_execz .LBB6_1398
; %bb.1397:                             ;   in Loop: Header=BB6_136 Depth=3
	v_or_b32_sdwa v0, v1, s86 dst_sel:DWORD dst_unused:UNUSED_PAD src0_sel:BYTE_3 src1_sel:DWORD
	buffer_store_dword v0, off, s[0:3], s33 offset:420 ; 4-byte Folded Spill
.LBB6_1398:                             ;   in Loop: Header=BB6_136 Depth=3
	s_or_b64 exec, exec, s[26:27]
	v_lshrrev_b16_e32 v8, 8, v10
	v_cmp_ne_u16_e32 vcc, 0, v8
	v_mov_b32_e32 v0, 0
	s_and_saveexec_b64 s[26:27], vcc
	s_cbranch_execz .LBB6_1404
; %bb.1399:                             ;   in Loop: Header=BB6_136 Depth=3
	v_cmp_ne_u16_e32 vcc, s96, v8
	v_bfrev_b32_e32 v0, 1
	s_and_saveexec_b64 s[94:95], vcc
	s_cbranch_execz .LBB6_1403
; %bb.1400:                             ;   in Loop: Header=BB6_136 Depth=3
	v_and_b32_e32 v1, 0x7f, v8
	v_cmp_ne_u32_e32 vcc, s86, v1
	v_mov_b32_e32 v0, 0x7f800001
	s_and_saveexec_b64 s[30:31], vcc
	s_cbranch_execz .LBB6_1402
; %bb.1401:                             ;   in Loop: Header=BB6_136 Depth=3
	v_and_b32_e32 v2, 7, v8
	v_ffbh_u32_e32 v0, v2
	v_min_u32_e32 v4, 32, v0
	v_subrev_u32_e32 v0, 28, v4
	v_lshrrev_b32_e32 v3, 3, v1
	v_cmp_gt_u32_e32 vcc, 8, v1
	v_lshlrev_b64 v[0:1], v0, v[8:9]
	v_sub_u32_e32 v1, 29, v4
	v_and_b32_e32 v0, 7, v0
	v_cndmask_b32_e32 v1, v3, v1, vcc
	v_cndmask_b32_e32 v0, v2, v0, vcc
	v_lshlrev_b32_e32 v2, 16, v10
	v_bfrev_b32_e32 v3, 60
	v_lshlrev_b32_e32 v0, 20, v0
	v_and_b32_e32 v2, 0x80000000, v2
	v_lshl_add_u32 v1, v1, 23, v3
	v_or3_b32 v0, v2, v1, v0
.LBB6_1402:                             ;   in Loop: Header=BB6_136 Depth=3
	s_or_b64 exec, exec, s[30:31]
.LBB6_1403:                             ;   in Loop: Header=BB6_136 Depth=3
	s_or_b64 exec, exec, s[94:95]
.LBB6_1404:                             ;   in Loop: Header=BB6_136 Depth=3
	s_or_b64 exec, exec, s[26:27]
	v_mul_f32_e32 v1, v18, v0
	v_and_b32_e32 v2, 0x7f800000, v1
	v_mov_b32_e32 v3, v51
	v_cmp_ne_u64_e32 vcc, s[76:77], v[2:3]
                                        ; implicit-def: $vgpr0
                                        ; kill: killed $vgpr0
	s_and_saveexec_b64 s[26:27], vcc
	s_xor_b64 s[94:95], exec, s[26:27]
	s_cbranch_execz .LBB6_1418
; %bb.1405:                             ;   in Loop: Header=BB6_136 Depth=3
	v_and_b32_e32 v2, 0x7fffffff, v1
	v_mov_b32_e32 v3, v51
	v_cmp_gt_u64_e32 vcc, s[78:79], v[2:3]
	v_and_b32_sdwa v0, v1, s96 dst_sel:DWORD dst_unused:UNUSED_PAD src0_sel:BYTE_3 src1_sel:DWORD
                                        ; implicit-def: $vgpr2
                                        ; kill: killed $vgpr2
	s_and_saveexec_b64 s[26:27], vcc
	s_xor_b64 s[30:31], exec, s[26:27]
	s_cbranch_execz .LBB6_1415
; %bb.1406:                             ;   in Loop: Header=BB6_136 Depth=3
	v_mov_b32_e32 v2, 0
	v_cmp_ne_u32_e32 vcc, 0, v1
	buffer_store_dword v2, off, s[0:3], s33 offset:436 ; 4-byte Folded Spill
	s_and_saveexec_b64 s[34:35], vcc
	s_cbranch_execz .LBB6_1414
; %bb.1407:                             ;   in Loop: Header=BB6_136 Depth=3
	v_and_b32_e32 v3, 0x7fffff, v1
	v_bfe_u32 v1, v1, 23, 8
	v_cmp_gt_u32_e64 s[26:27], s97, v1
	v_sub_u32_e32 v2, 0x79, v1
	v_cmp_eq_u32_e32 vcc, 0, v1
	v_cndmask_b32_e64 v2, 0, v2, s[26:27]
	v_mov_b32_e32 v5, 0x78
	v_cndmask_b32_e32 v2, v2, v5, vcc
	v_add_u32_e32 v5, 20, v2
	v_or_b32_e32 v4, 0x800000, v3
	v_lshlrev_b64 v[5:6], v5, -1
	v_add_u32_e32 v7, 19, v2
	v_cndmask_b32_e32 v3, v4, v3, vcc
	v_lshlrev_b64 v[7:8], v7, 1
	v_mov_b32_e32 v4, v51
	v_bfi_b32 v6, v6, 0, 0
	v_bfi_b32 v5, v5, 0, v3
	v_cmp_eq_u64_e64 s[26:27], v[5:6], v[7:8]
	v_lshrrev_b64 v[8:9], v2, v[3:4]
	v_mov_b32_e32 v15, v9
	v_mov_b32_e32 v14, v8
	s_and_saveexec_b64 s[36:37], s[26:27]
; %bb.1408:                             ;   in Loop: Header=BB6_136 Depth=3
	v_bfe_u32 v3, v8, 20, 1
	v_add_co_u32_e64 v3, s[26:27], v8, v3
	v_add_co_u32_e64 v14, s[26:27], -1, v3
; %bb.1409:                             ;   in Loop: Header=BB6_136 Depth=3
	s_or_b64 exec, exec, s[36:37]
	v_add_u32_e32 v1, 0xffffff81, v1
	v_mov_b32_e32 v3, 0xffffff82
	v_cndmask_b32_e32 v1, v1, v3, vcc
	v_lshrrev_b32_e32 v3, 23, v8
	v_add3_u32 v3, v2, v1, v3
	v_add_u32_e32 v2, 6, v3
	v_and_b32_e32 v1, 0xfffff, v14
	v_add_u32_e32 v8, v1, v8
	v_mov_b32_e32 v9, v51
	v_cmp_ne_u32_e32 vcc, 0, v2
                                        ; implicit-def: $vgpr1
	s_and_saveexec_b64 s[26:27], vcc
	s_xor_b64 s[26:27], exec, s[26:27]
; %bb.1410:                             ;   in Loop: Header=BB6_136 Depth=3
	v_cmp_lt_u64_e32 vcc, s[88:89], v[8:9]
	v_add_u32_e32 v1, 7, v3
	v_cndmask_b32_e32 v1, v2, v1, vcc
	v_cndmask_b32_e64 v2, 0, 1, vcc
	v_lshrrev_b64 v[8:9], v2, v[8:9]
; %bb.1411:                             ;   in Loop: Header=BB6_136 Depth=3
	s_andn2_saveexec_b64 s[26:27], s[26:27]
; %bb.1412:                             ;   in Loop: Header=BB6_136 Depth=3
	v_bfe_u32 v1, v8, 23, 1
; %bb.1413:                             ;   in Loop: Header=BB6_136 Depth=3
	s_or_b64 exec, exec, s[26:27]
	v_lshrrev_b64 v[2:3], 20, v[8:9]
	v_cmp_gt_i32_e32 vcc, 16, v1
	v_cndmask_b32_e32 v3, 0, v3, vcc
	v_cndmask_b32_e32 v2, 7, v2, vcc
	v_cmp_eq_u32_e32 vcc, 0, v1
	v_min_i32_e32 v1, 15, v1
	v_cmp_eq_u64_e64 s[26:27], 0, v[2:3]
	v_lshlrev_b32_e32 v1, 3, v1
	v_and_b32_e32 v1, 0xf8, v1
	v_and_or_b32 v1, v2, 7, v1
	s_and_b64 s[26:27], vcc, s[26:27]
	v_cndmask_b32_e64 v1, v1, 0, s[26:27]
	v_or_b32_e32 v0, v1, v0
	buffer_store_dword v0, off, s[0:3], s33 offset:436 ; 4-byte Folded Spill
.LBB6_1414:                             ;   in Loop: Header=BB6_136 Depth=3
	s_or_b64 exec, exec, s[34:35]
                                        ; implicit-def: $vgpr0
.LBB6_1415:                             ;   in Loop: Header=BB6_136 Depth=3
	s_andn2_saveexec_b64 s[26:27], s[30:31]
	s_cbranch_execz .LBB6_1417
; %bb.1416:                             ;   in Loop: Header=BB6_136 Depth=3
	v_or_b32_e32 v0, 0x7e, v0
	buffer_store_dword v0, off, s[0:3], s33 offset:436 ; 4-byte Folded Spill
.LBB6_1417:                             ;   in Loop: Header=BB6_136 Depth=3
	s_or_b64 exec, exec, s[26:27]
                                        ; implicit-def: $vgpr1
.LBB6_1418:                             ;   in Loop: Header=BB6_136 Depth=3
	s_andn2_saveexec_b64 s[26:27], s[94:95]
	s_cbranch_execz .LBB6_1420
; %bb.1419:                             ;   in Loop: Header=BB6_136 Depth=3
	v_or_b32_sdwa v0, v1, s86 dst_sel:DWORD dst_unused:UNUSED_PAD src0_sel:BYTE_3 src1_sel:DWORD
	buffer_store_dword v0, off, s[0:3], s33 offset:436 ; 4-byte Folded Spill
.LBB6_1420:                             ;   in Loop: Header=BB6_136 Depth=3
	s_or_b64 exec, exec, s[26:27]
	v_lshrrev_b32_e32 v8, 16, v10
	v_cmp_ne_u16_sdwa s[94:95], v8, v51 src0_sel:BYTE_0 src1_sel:DWORD
	v_mov_b32_e32 v0, 0
	s_and_saveexec_b64 s[26:27], s[94:95]
	s_cbranch_execz .LBB6_1426
; %bb.1421:                             ;   in Loop: Header=BB6_136 Depth=3
	v_cmp_ne_u16_sdwa vcc, v8, s96 src0_sel:BYTE_0 src1_sel:DWORD
	v_bfrev_b32_e32 v0, 1
	s_and_saveexec_b64 s[94:95], vcc
	s_cbranch_execz .LBB6_1425
; %bb.1422:                             ;   in Loop: Header=BB6_136 Depth=3
	v_bfe_u32 v1, v10, 16, 7
	v_cmp_ne_u32_e32 vcc, s86, v1
	v_mov_b32_e32 v0, 0x7f800001
	s_and_saveexec_b64 s[30:31], vcc
	s_cbranch_execz .LBB6_1424
; %bb.1423:                             ;   in Loop: Header=BB6_136 Depth=3
	v_and_b32_e32 v2, 7, v8
	v_ffbh_u32_e32 v0, v2
	v_min_u32_e32 v4, 32, v0
	v_subrev_u32_e32 v0, 28, v4
	v_lshrrev_b32_e32 v3, 3, v1
	v_cmp_gt_u32_e32 vcc, 8, v1
	v_lshlrev_b64 v[0:1], v0, v[8:9]
	v_sub_u32_e32 v1, 29, v4
	v_and_b32_e32 v0, 7, v0
	v_cndmask_b32_e32 v1, v3, v1, vcc
	v_cndmask_b32_e32 v0, v2, v0, vcc
	v_lshlrev_b32_e32 v2, 24, v8
	v_bfrev_b32_e32 v3, 60
	v_lshlrev_b32_e32 v0, 20, v0
	v_and_b32_e32 v2, 0x80000000, v2
	v_lshl_add_u32 v1, v1, 23, v3
	v_or3_b32 v0, v2, v1, v0
.LBB6_1424:                             ;   in Loop: Header=BB6_136 Depth=3
	s_or_b64 exec, exec, s[30:31]
.LBB6_1425:                             ;   in Loop: Header=BB6_136 Depth=3
	s_or_b64 exec, exec, s[94:95]
.LBB6_1426:                             ;   in Loop: Header=BB6_136 Depth=3
	s_or_b64 exec, exec, s[26:27]
	v_mul_f32_e32 v1, v18, v0
	v_and_b32_e32 v2, 0x7f800000, v1
	v_mov_b32_e32 v3, v51
	v_cmp_ne_u64_e32 vcc, s[76:77], v[2:3]
                                        ; implicit-def: $vgpr0
                                        ; kill: killed $vgpr0
	s_and_saveexec_b64 s[26:27], vcc
	s_xor_b64 s[94:95], exec, s[26:27]
	s_cbranch_execz .LBB6_1440
; %bb.1427:                             ;   in Loop: Header=BB6_136 Depth=3
	v_and_b32_e32 v2, 0x7fffffff, v1
	v_mov_b32_e32 v3, v51
	v_cmp_gt_u64_e32 vcc, s[78:79], v[2:3]
	v_and_b32_sdwa v0, v1, s96 dst_sel:DWORD dst_unused:UNUSED_PAD src0_sel:BYTE_3 src1_sel:DWORD
                                        ; implicit-def: $vgpr2
                                        ; kill: killed $vgpr2
	s_and_saveexec_b64 s[26:27], vcc
	s_xor_b64 s[30:31], exec, s[26:27]
	s_cbranch_execz .LBB6_1437
; %bb.1428:                             ;   in Loop: Header=BB6_136 Depth=3
	v_mov_b32_e32 v2, 0
	v_cmp_ne_u32_e32 vcc, 0, v1
	buffer_store_dword v2, off, s[0:3], s33 offset:444 ; 4-byte Folded Spill
	s_and_saveexec_b64 s[34:35], vcc
	s_cbranch_execz .LBB6_1436
; %bb.1429:                             ;   in Loop: Header=BB6_136 Depth=3
	v_and_b32_e32 v3, 0x7fffff, v1
	v_bfe_u32 v1, v1, 23, 8
	v_cmp_gt_u32_e64 s[26:27], s97, v1
	v_sub_u32_e32 v2, 0x79, v1
	v_cmp_eq_u32_e32 vcc, 0, v1
	v_cndmask_b32_e64 v2, 0, v2, s[26:27]
	v_mov_b32_e32 v5, 0x78
	v_cndmask_b32_e32 v2, v2, v5, vcc
	v_add_u32_e32 v5, 20, v2
	v_or_b32_e32 v4, 0x800000, v3
	v_lshlrev_b64 v[5:6], v5, -1
	v_add_u32_e32 v7, 19, v2
	v_cndmask_b32_e32 v3, v4, v3, vcc
	v_lshlrev_b64 v[7:8], v7, 1
	v_mov_b32_e32 v4, v51
	v_bfi_b32 v6, v6, 0, 0
	v_bfi_b32 v5, v5, 0, v3
	v_cmp_eq_u64_e64 s[26:27], v[5:6], v[7:8]
	v_lshrrev_b64 v[8:9], v2, v[3:4]
	v_mov_b32_e32 v15, v9
	v_mov_b32_e32 v14, v8
	s_and_saveexec_b64 s[36:37], s[26:27]
; %bb.1430:                             ;   in Loop: Header=BB6_136 Depth=3
	v_bfe_u32 v3, v8, 20, 1
	v_add_co_u32_e64 v3, s[26:27], v8, v3
	v_add_co_u32_e64 v14, s[26:27], -1, v3
; %bb.1431:                             ;   in Loop: Header=BB6_136 Depth=3
	s_or_b64 exec, exec, s[36:37]
	v_add_u32_e32 v1, 0xffffff81, v1
	v_mov_b32_e32 v3, 0xffffff82
	v_cndmask_b32_e32 v1, v1, v3, vcc
	v_lshrrev_b32_e32 v3, 23, v8
	v_add3_u32 v3, v2, v1, v3
	v_add_u32_e32 v2, 6, v3
	v_and_b32_e32 v1, 0xfffff, v14
	v_add_u32_e32 v8, v1, v8
	v_mov_b32_e32 v9, v51
	v_cmp_ne_u32_e32 vcc, 0, v2
                                        ; implicit-def: $vgpr1
	s_and_saveexec_b64 s[26:27], vcc
	s_xor_b64 s[26:27], exec, s[26:27]
; %bb.1432:                             ;   in Loop: Header=BB6_136 Depth=3
	v_cmp_lt_u64_e32 vcc, s[88:89], v[8:9]
	v_add_u32_e32 v1, 7, v3
	v_cndmask_b32_e32 v1, v2, v1, vcc
	v_cndmask_b32_e64 v2, 0, 1, vcc
	v_lshrrev_b64 v[8:9], v2, v[8:9]
; %bb.1433:                             ;   in Loop: Header=BB6_136 Depth=3
	s_andn2_saveexec_b64 s[26:27], s[26:27]
; %bb.1434:                             ;   in Loop: Header=BB6_136 Depth=3
	v_bfe_u32 v1, v8, 23, 1
; %bb.1435:                             ;   in Loop: Header=BB6_136 Depth=3
	s_or_b64 exec, exec, s[26:27]
	v_lshrrev_b64 v[2:3], 20, v[8:9]
	v_cmp_gt_i32_e32 vcc, 16, v1
	v_cndmask_b32_e32 v3, 0, v3, vcc
	v_cndmask_b32_e32 v2, 7, v2, vcc
	v_cmp_eq_u32_e32 vcc, 0, v1
	v_min_i32_e32 v1, 15, v1
	v_cmp_eq_u64_e64 s[26:27], 0, v[2:3]
	v_lshlrev_b32_e32 v1, 3, v1
	v_and_b32_e32 v1, 0xf8, v1
	v_and_or_b32 v1, v2, 7, v1
	s_and_b64 s[26:27], vcc, s[26:27]
	v_cndmask_b32_e64 v1, v1, 0, s[26:27]
	v_or_b32_e32 v0, v1, v0
	buffer_store_dword v0, off, s[0:3], s33 offset:444 ; 4-byte Folded Spill
.LBB6_1436:                             ;   in Loop: Header=BB6_136 Depth=3
	s_or_b64 exec, exec, s[34:35]
                                        ; implicit-def: $vgpr0
.LBB6_1437:                             ;   in Loop: Header=BB6_136 Depth=3
	s_andn2_saveexec_b64 s[26:27], s[30:31]
	s_cbranch_execz .LBB6_1439
; %bb.1438:                             ;   in Loop: Header=BB6_136 Depth=3
	v_or_b32_e32 v0, 0x7e, v0
	buffer_store_dword v0, off, s[0:3], s33 offset:444 ; 4-byte Folded Spill
.LBB6_1439:                             ;   in Loop: Header=BB6_136 Depth=3
	s_or_b64 exec, exec, s[26:27]
                                        ; implicit-def: $vgpr1
.LBB6_1440:                             ;   in Loop: Header=BB6_136 Depth=3
	s_andn2_saveexec_b64 s[26:27], s[94:95]
	s_cbranch_execz .LBB6_1442
; %bb.1441:                             ;   in Loop: Header=BB6_136 Depth=3
	v_or_b32_sdwa v0, v1, s86 dst_sel:DWORD dst_unused:UNUSED_PAD src0_sel:BYTE_3 src1_sel:DWORD
	buffer_store_dword v0, off, s[0:3], s33 offset:444 ; 4-byte Folded Spill
.LBB6_1442:                             ;   in Loop: Header=BB6_136 Depth=3
	s_or_b64 exec, exec, s[26:27]
	v_cmp_lt_u32_e32 vcc, s57, v10
	v_mov_b32_e32 v0, 0
	s_and_saveexec_b64 s[26:27], vcc
	s_cbranch_execz .LBB6_1448
; %bb.1443:                             ;   in Loop: Header=BB6_136 Depth=3
	v_lshrrev_b32_e32 v8, 24, v10
	v_cmp_ne_u32_e32 vcc, s96, v8
	v_bfrev_b32_e32 v0, 1
	s_and_saveexec_b64 s[94:95], vcc
	s_cbranch_execz .LBB6_1447
; %bb.1444:                             ;   in Loop: Header=BB6_136 Depth=3
	v_bfe_u32 v1, v10, 24, 7
	v_cmp_ne_u32_e32 vcc, s86, v1
	v_mov_b32_e32 v0, 0x7f800001
	s_and_saveexec_b64 s[30:31], vcc
	s_cbranch_execz .LBB6_1446
; %bb.1445:                             ;   in Loop: Header=BB6_136 Depth=3
	v_and_b32_e32 v2, 7, v8
	v_ffbh_u32_e32 v0, v2
	v_min_u32_e32 v4, 32, v0
	v_subrev_u32_e32 v0, 28, v4
	v_lshrrev_b32_e32 v3, 3, v1
	v_cmp_gt_u32_e32 vcc, 8, v1
	v_lshlrev_b64 v[0:1], v0, v[8:9]
	v_sub_u32_e32 v1, 29, v4
	v_and_b32_e32 v0, 7, v0
	v_cndmask_b32_e32 v1, v3, v1, vcc
	v_cndmask_b32_e32 v0, v2, v0, vcc
	v_lshlrev_b32_e32 v2, 24, v8
	v_bfrev_b32_e32 v3, 60
	v_lshlrev_b32_e32 v0, 20, v0
	v_and_b32_e32 v2, 0x80000000, v2
	v_lshl_add_u32 v1, v1, 23, v3
	v_or3_b32 v0, v2, v1, v0
.LBB6_1446:                             ;   in Loop: Header=BB6_136 Depth=3
	s_or_b64 exec, exec, s[30:31]
.LBB6_1447:                             ;   in Loop: Header=BB6_136 Depth=3
	s_or_b64 exec, exec, s[94:95]
.LBB6_1448:                             ;   in Loop: Header=BB6_136 Depth=3
	s_or_b64 exec, exec, s[26:27]
	v_mul_f32_e32 v1, v18, v0
	v_and_b32_e32 v2, 0x7f800000, v1
	v_mov_b32_e32 v3, v51
	v_cmp_ne_u64_e32 vcc, s[76:77], v[2:3]
                                        ; implicit-def: $vgpr0
                                        ; kill: killed $vgpr0
	s_and_saveexec_b64 s[26:27], vcc
	s_xor_b64 s[94:95], exec, s[26:27]
	s_cbranch_execz .LBB6_1462
; %bb.1449:                             ;   in Loop: Header=BB6_136 Depth=3
	v_and_b32_e32 v2, 0x7fffffff, v1
	v_mov_b32_e32 v3, v51
	v_cmp_gt_u64_e32 vcc, s[78:79], v[2:3]
	v_and_b32_sdwa v0, v1, s96 dst_sel:DWORD dst_unused:UNUSED_PAD src0_sel:BYTE_3 src1_sel:DWORD
                                        ; implicit-def: $vgpr2
                                        ; kill: killed $vgpr2
	s_and_saveexec_b64 s[26:27], vcc
	s_xor_b64 s[30:31], exec, s[26:27]
	s_cbranch_execz .LBB6_1459
; %bb.1450:                             ;   in Loop: Header=BB6_136 Depth=3
	v_mov_b32_e32 v2, 0
	v_cmp_ne_u32_e32 vcc, 0, v1
	buffer_store_dword v2, off, s[0:3], s33 offset:452 ; 4-byte Folded Spill
	s_and_saveexec_b64 s[34:35], vcc
	s_cbranch_execz .LBB6_1458
; %bb.1451:                             ;   in Loop: Header=BB6_136 Depth=3
	v_and_b32_e32 v3, 0x7fffff, v1
	v_bfe_u32 v1, v1, 23, 8
	v_cmp_gt_u32_e64 s[26:27], s97, v1
	v_sub_u32_e32 v2, 0x79, v1
	v_cmp_eq_u32_e32 vcc, 0, v1
	v_cndmask_b32_e64 v2, 0, v2, s[26:27]
	v_mov_b32_e32 v5, 0x78
	v_cndmask_b32_e32 v2, v2, v5, vcc
	v_add_u32_e32 v5, 20, v2
	v_or_b32_e32 v4, 0x800000, v3
	v_lshlrev_b64 v[5:6], v5, -1
	v_add_u32_e32 v7, 19, v2
	v_cndmask_b32_e32 v3, v4, v3, vcc
	v_lshlrev_b64 v[7:8], v7, 1
	v_mov_b32_e32 v4, v51
	v_bfi_b32 v6, v6, 0, 0
	v_bfi_b32 v5, v5, 0, v3
	v_cmp_eq_u64_e64 s[26:27], v[5:6], v[7:8]
	v_lshrrev_b64 v[8:9], v2, v[3:4]
	v_mov_b32_e32 v15, v9
	v_mov_b32_e32 v14, v8
	s_and_saveexec_b64 s[36:37], s[26:27]
; %bb.1452:                             ;   in Loop: Header=BB6_136 Depth=3
	v_bfe_u32 v3, v8, 20, 1
	v_add_co_u32_e64 v3, s[26:27], v8, v3
	v_add_co_u32_e64 v14, s[26:27], -1, v3
; %bb.1453:                             ;   in Loop: Header=BB6_136 Depth=3
	s_or_b64 exec, exec, s[36:37]
	v_add_u32_e32 v1, 0xffffff81, v1
	v_mov_b32_e32 v3, 0xffffff82
	v_cndmask_b32_e32 v1, v1, v3, vcc
	v_lshrrev_b32_e32 v3, 23, v8
	v_add3_u32 v3, v2, v1, v3
	v_add_u32_e32 v2, 6, v3
	v_and_b32_e32 v1, 0xfffff, v14
	v_add_u32_e32 v8, v1, v8
	v_mov_b32_e32 v9, v51
	v_cmp_ne_u32_e32 vcc, 0, v2
                                        ; implicit-def: $vgpr1
	s_and_saveexec_b64 s[26:27], vcc
	s_xor_b64 s[26:27], exec, s[26:27]
; %bb.1454:                             ;   in Loop: Header=BB6_136 Depth=3
	v_cmp_lt_u64_e32 vcc, s[88:89], v[8:9]
	v_add_u32_e32 v1, 7, v3
	v_cndmask_b32_e32 v1, v2, v1, vcc
	v_cndmask_b32_e64 v2, 0, 1, vcc
	v_lshrrev_b64 v[8:9], v2, v[8:9]
; %bb.1455:                             ;   in Loop: Header=BB6_136 Depth=3
	s_andn2_saveexec_b64 s[26:27], s[26:27]
; %bb.1456:                             ;   in Loop: Header=BB6_136 Depth=3
	v_bfe_u32 v1, v8, 23, 1
; %bb.1457:                             ;   in Loop: Header=BB6_136 Depth=3
	s_or_b64 exec, exec, s[26:27]
	v_lshrrev_b64 v[2:3], 20, v[8:9]
	v_cmp_gt_i32_e32 vcc, 16, v1
	v_cndmask_b32_e32 v3, 0, v3, vcc
	v_cndmask_b32_e32 v2, 7, v2, vcc
	v_cmp_eq_u32_e32 vcc, 0, v1
	v_min_i32_e32 v1, 15, v1
	v_cmp_eq_u64_e64 s[26:27], 0, v[2:3]
	v_lshlrev_b32_e32 v1, 3, v1
	v_and_b32_e32 v1, 0xf8, v1
	v_and_or_b32 v1, v2, 7, v1
	s_and_b64 s[26:27], vcc, s[26:27]
	v_cndmask_b32_e64 v1, v1, 0, s[26:27]
	v_or_b32_e32 v0, v1, v0
	buffer_store_dword v0, off, s[0:3], s33 offset:452 ; 4-byte Folded Spill
.LBB6_1458:                             ;   in Loop: Header=BB6_136 Depth=3
	s_or_b64 exec, exec, s[34:35]
                                        ; implicit-def: $vgpr0
.LBB6_1459:                             ;   in Loop: Header=BB6_136 Depth=3
	s_andn2_saveexec_b64 s[26:27], s[30:31]
	s_cbranch_execz .LBB6_1461
; %bb.1460:                             ;   in Loop: Header=BB6_136 Depth=3
	v_or_b32_e32 v0, 0x7e, v0
	buffer_store_dword v0, off, s[0:3], s33 offset:452 ; 4-byte Folded Spill
.LBB6_1461:                             ;   in Loop: Header=BB6_136 Depth=3
	s_or_b64 exec, exec, s[26:27]
                                        ; implicit-def: $vgpr1
.LBB6_1462:                             ;   in Loop: Header=BB6_136 Depth=3
	s_andn2_saveexec_b64 s[26:27], s[94:95]
	s_cbranch_execz .LBB6_1464
; %bb.1463:                             ;   in Loop: Header=BB6_136 Depth=3
	v_or_b32_sdwa v0, v1, s86 dst_sel:DWORD dst_unused:UNUSED_PAD src0_sel:BYTE_3 src1_sel:DWORD
	buffer_store_dword v0, off, s[0:3], s33 offset:452 ; 4-byte Folded Spill
.LBB6_1464:                             ;   in Loop: Header=BB6_136 Depth=3
	s_or_b64 exec, exec, s[26:27]
	v_mov_b32_e32 v8, v11
	v_mov_b32_e32 v9, v51
	v_cmp_ne_u16_sdwa s[94:95], v11, v51 src0_sel:BYTE_0 src1_sel:DWORD
	v_mov_b32_e32 v0, 0
	s_and_saveexec_b64 s[26:27], s[94:95]
	s_cbranch_execz .LBB6_1470
; %bb.1465:                             ;   in Loop: Header=BB6_136 Depth=3
	v_cmp_ne_u16_sdwa vcc, v11, s96 src0_sel:BYTE_0 src1_sel:DWORD
	v_bfrev_b32_e32 v0, 1
	s_and_saveexec_b64 s[94:95], vcc
	s_cbranch_execz .LBB6_1469
; %bb.1466:                             ;   in Loop: Header=BB6_136 Depth=3
	v_and_b32_e32 v1, 0x7f, v11
	v_cmp_ne_u32_e32 vcc, s86, v1
	v_mov_b32_e32 v0, 0x7f800001
	s_and_saveexec_b64 s[30:31], vcc
	s_cbranch_execz .LBB6_1468
; %bb.1467:                             ;   in Loop: Header=BB6_136 Depth=3
	v_and_b32_e32 v0, 7, v11
	v_ffbh_u32_e32 v0, v0
	v_min_u32_e32 v0, 32, v0
	v_lshrrev_b32_e32 v2, 3, v1
	v_cmp_gt_u32_e32 vcc, 8, v1
	v_subrev_u32_e32 v1, 28, v0
	v_sub_u32_e32 v0, 29, v0
	v_cndmask_b32_e32 v2, v2, v0, vcc
	v_cndmask_b32_e32 v0, 0, v1, vcc
	v_lshlrev_b64 v[0:1], v0, v[8:9]
	v_lshlrev_b32_e32 v1, 24, v8
	v_lshlrev_b32_e32 v0, 20, v0
	v_bfrev_b32_e32 v3, 60
	v_and_b32_e32 v0, 0x700000, v0
	v_and_b32_e32 v1, 0x80000000, v1
	v_lshl_add_u32 v2, v2, 23, v3
	v_or3_b32 v0, v1, v2, v0
.LBB6_1468:                             ;   in Loop: Header=BB6_136 Depth=3
	s_or_b64 exec, exec, s[30:31]
.LBB6_1469:                             ;   in Loop: Header=BB6_136 Depth=3
	s_or_b64 exec, exec, s[94:95]
.LBB6_1470:                             ;   in Loop: Header=BB6_136 Depth=3
	s_or_b64 exec, exec, s[26:27]
	v_mul_f32_e32 v1, v18, v0
	v_and_b32_e32 v2, 0x7f800000, v1
	v_mov_b32_e32 v3, v51
	v_cmp_ne_u64_e32 vcc, s[76:77], v[2:3]
                                        ; implicit-def: $vgpr0
                                        ; kill: killed $vgpr0
	s_and_saveexec_b64 s[26:27], vcc
	s_xor_b64 s[94:95], exec, s[26:27]
	s_cbranch_execz .LBB6_1484
; %bb.1471:                             ;   in Loop: Header=BB6_136 Depth=3
	v_and_b32_e32 v2, 0x7fffffff, v1
	v_mov_b32_e32 v3, v51
	v_cmp_gt_u64_e32 vcc, s[78:79], v[2:3]
	v_and_b32_sdwa v0, v1, s96 dst_sel:DWORD dst_unused:UNUSED_PAD src0_sel:BYTE_3 src1_sel:DWORD
                                        ; implicit-def: $vgpr2
                                        ; kill: killed $vgpr2
	s_and_saveexec_b64 s[26:27], vcc
	s_xor_b64 s[30:31], exec, s[26:27]
	s_cbranch_execz .LBB6_1481
; %bb.1472:                             ;   in Loop: Header=BB6_136 Depth=3
	v_mov_b32_e32 v2, 0
	v_cmp_ne_u32_e32 vcc, 0, v1
	buffer_store_dword v2, off, s[0:3], s33 offset:456 ; 4-byte Folded Spill
	s_and_saveexec_b64 s[34:35], vcc
	s_cbranch_execz .LBB6_1480
; %bb.1473:                             ;   in Loop: Header=BB6_136 Depth=3
	v_and_b32_e32 v3, 0x7fffff, v1
	v_bfe_u32 v1, v1, 23, 8
	v_cmp_gt_u32_e64 s[26:27], s97, v1
	v_sub_u32_e32 v2, 0x79, v1
	v_cmp_eq_u32_e32 vcc, 0, v1
	v_cndmask_b32_e64 v2, 0, v2, s[26:27]
	v_mov_b32_e32 v5, 0x78
	v_cndmask_b32_e32 v2, v2, v5, vcc
	v_add_u32_e32 v5, 20, v2
	v_or_b32_e32 v4, 0x800000, v3
	v_lshlrev_b64 v[5:6], v5, -1
	v_add_u32_e32 v7, 19, v2
	v_cndmask_b32_e32 v3, v4, v3, vcc
	v_lshlrev_b64 v[14:15], v7, 1
	v_mov_b32_e32 v4, v51
	v_bfi_b32 v6, v6, 0, 0
	v_bfi_b32 v5, v5, 0, v3
	v_cmp_eq_u64_e64 s[26:27], v[5:6], v[14:15]
	v_lshrrev_b64 v[14:15], v2, v[3:4]
	v_mov_b32_e32 v16, v15
	v_mov_b32_e32 v15, v14
	s_and_saveexec_b64 s[36:37], s[26:27]
; %bb.1474:                             ;   in Loop: Header=BB6_136 Depth=3
	v_bfe_u32 v3, v14, 20, 1
	v_add_co_u32_e64 v3, s[26:27], v14, v3
	v_add_co_u32_e64 v15, s[26:27], -1, v3
; %bb.1475:                             ;   in Loop: Header=BB6_136 Depth=3
	s_or_b64 exec, exec, s[36:37]
	v_add_u32_e32 v1, 0xffffff81, v1
	v_mov_b32_e32 v3, 0xffffff82
	v_cndmask_b32_e32 v1, v1, v3, vcc
	v_lshrrev_b32_e32 v3, 23, v14
	v_add3_u32 v3, v2, v1, v3
	v_add_u32_e32 v2, 6, v3
	v_and_b32_e32 v1, 0xfffff, v15
	v_add_u32_e32 v14, v1, v14
	v_mov_b32_e32 v15, v51
	v_cmp_ne_u32_e32 vcc, 0, v2
                                        ; implicit-def: $vgpr1
	s_and_saveexec_b64 s[26:27], vcc
	s_xor_b64 s[26:27], exec, s[26:27]
; %bb.1476:                             ;   in Loop: Header=BB6_136 Depth=3
	v_cmp_lt_u64_e32 vcc, s[88:89], v[14:15]
	v_add_u32_e32 v1, 7, v3
	v_cndmask_b32_e32 v1, v2, v1, vcc
	v_cndmask_b32_e64 v2, 0, 1, vcc
	v_lshrrev_b64 v[14:15], v2, v[14:15]
; %bb.1477:                             ;   in Loop: Header=BB6_136 Depth=3
	s_andn2_saveexec_b64 s[26:27], s[26:27]
; %bb.1478:                             ;   in Loop: Header=BB6_136 Depth=3
	v_bfe_u32 v1, v14, 23, 1
; %bb.1479:                             ;   in Loop: Header=BB6_136 Depth=3
	s_or_b64 exec, exec, s[26:27]
	v_lshrrev_b64 v[2:3], 20, v[14:15]
	v_cmp_gt_i32_e32 vcc, 16, v1
	v_cndmask_b32_e32 v3, 0, v3, vcc
	v_cndmask_b32_e32 v2, 7, v2, vcc
	v_cmp_eq_u32_e32 vcc, 0, v1
	v_min_i32_e32 v1, 15, v1
	v_cmp_eq_u64_e64 s[26:27], 0, v[2:3]
	v_lshlrev_b32_e32 v1, 3, v1
	v_and_b32_e32 v1, 0xf8, v1
	v_and_or_b32 v1, v2, 7, v1
	s_and_b64 s[26:27], vcc, s[26:27]
	v_cndmask_b32_e64 v1, v1, 0, s[26:27]
	v_or_b32_e32 v0, v1, v0
	buffer_store_dword v0, off, s[0:3], s33 offset:456 ; 4-byte Folded Spill
.LBB6_1480:                             ;   in Loop: Header=BB6_136 Depth=3
	s_or_b64 exec, exec, s[34:35]
                                        ; implicit-def: $vgpr0
.LBB6_1481:                             ;   in Loop: Header=BB6_136 Depth=3
	s_andn2_saveexec_b64 s[26:27], s[30:31]
	s_cbranch_execz .LBB6_1483
; %bb.1482:                             ;   in Loop: Header=BB6_136 Depth=3
	v_or_b32_e32 v0, 0x7e, v0
	buffer_store_dword v0, off, s[0:3], s33 offset:456 ; 4-byte Folded Spill
.LBB6_1483:                             ;   in Loop: Header=BB6_136 Depth=3
	s_or_b64 exec, exec, s[26:27]
                                        ; implicit-def: $vgpr1
.LBB6_1484:                             ;   in Loop: Header=BB6_136 Depth=3
	s_andn2_saveexec_b64 s[26:27], s[94:95]
	s_cbranch_execz .LBB6_1486
; %bb.1485:                             ;   in Loop: Header=BB6_136 Depth=3
	v_or_b32_sdwa v0, v1, s86 dst_sel:DWORD dst_unused:UNUSED_PAD src0_sel:BYTE_3 src1_sel:DWORD
	buffer_store_dword v0, off, s[0:3], s33 offset:456 ; 4-byte Folded Spill
.LBB6_1486:                             ;   in Loop: Header=BB6_136 Depth=3
	s_or_b64 exec, exec, s[26:27]
	v_lshrrev_b16_e32 v9, 8, v8
	v_cmp_ne_u16_e32 vcc, 0, v9
	v_mov_b32_e32 v0, 0
	s_and_saveexec_b64 s[26:27], vcc
	s_cbranch_execz .LBB6_1492
; %bb.1487:                             ;   in Loop: Header=BB6_136 Depth=3
	v_cmp_ne_u16_e32 vcc, s96, v9
	v_bfrev_b32_e32 v0, 1
	s_and_saveexec_b64 s[94:95], vcc
	s_cbranch_execz .LBB6_1491
; %bb.1488:                             ;   in Loop: Header=BB6_136 Depth=3
	v_and_b32_e32 v1, 0x7f, v9
	v_cmp_ne_u32_e32 vcc, s86, v1
	v_mov_b32_e32 v0, 0x7f800001
	s_and_saveexec_b64 s[30:31], vcc
	s_cbranch_execz .LBB6_1490
; %bb.1489:                             ;   in Loop: Header=BB6_136 Depth=3
	v_and_b32_e32 v2, 7, v9
	v_ffbh_u32_e32 v0, v2
	v_min_u32_e32 v4, 32, v0
	v_subrev_u32_e32 v0, 28, v4
	v_lshrrev_b32_e32 v3, 3, v1
	v_cmp_gt_u32_e32 vcc, 8, v1
	v_lshlrev_b64 v[0:1], v0, v[9:10]
	v_sub_u32_e32 v1, 29, v4
	v_and_b32_e32 v0, 7, v0
	v_cndmask_b32_e32 v1, v3, v1, vcc
	v_cndmask_b32_e32 v0, v2, v0, vcc
	v_lshlrev_b32_e32 v2, 16, v8
	v_bfrev_b32_e32 v3, 60
	v_lshlrev_b32_e32 v0, 20, v0
	v_and_b32_e32 v2, 0x80000000, v2
	v_lshl_add_u32 v1, v1, 23, v3
	v_or3_b32 v0, v2, v1, v0
.LBB6_1490:                             ;   in Loop: Header=BB6_136 Depth=3
	s_or_b64 exec, exec, s[30:31]
.LBB6_1491:                             ;   in Loop: Header=BB6_136 Depth=3
	s_or_b64 exec, exec, s[94:95]
.LBB6_1492:                             ;   in Loop: Header=BB6_136 Depth=3
	s_or_b64 exec, exec, s[26:27]
	v_mul_f32_e32 v1, v18, v0
	v_and_b32_e32 v2, 0x7f800000, v1
	v_mov_b32_e32 v3, v51
	v_cmp_ne_u64_e32 vcc, s[76:77], v[2:3]
                                        ; implicit-def: $vgpr0
                                        ; kill: killed $vgpr0
	s_and_saveexec_b64 s[26:27], vcc
	s_xor_b64 s[94:95], exec, s[26:27]
	s_cbranch_execz .LBB6_1506
; %bb.1493:                             ;   in Loop: Header=BB6_136 Depth=3
	v_and_b32_e32 v2, 0x7fffffff, v1
	v_mov_b32_e32 v3, v51
	v_cmp_gt_u64_e32 vcc, s[78:79], v[2:3]
	v_and_b32_sdwa v0, v1, s96 dst_sel:DWORD dst_unused:UNUSED_PAD src0_sel:BYTE_3 src1_sel:DWORD
                                        ; implicit-def: $vgpr2
                                        ; kill: killed $vgpr2
	s_and_saveexec_b64 s[26:27], vcc
	s_xor_b64 s[30:31], exec, s[26:27]
	s_cbranch_execz .LBB6_1503
; %bb.1494:                             ;   in Loop: Header=BB6_136 Depth=3
	v_mov_b32_e32 v2, 0
	v_cmp_ne_u32_e32 vcc, 0, v1
	buffer_store_dword v2, off, s[0:3], s33 offset:460 ; 4-byte Folded Spill
	s_and_saveexec_b64 s[34:35], vcc
	s_cbranch_execz .LBB6_1502
; %bb.1495:                             ;   in Loop: Header=BB6_136 Depth=3
	v_and_b32_e32 v3, 0x7fffff, v1
	v_bfe_u32 v1, v1, 23, 8
	v_cmp_gt_u32_e64 s[26:27], s97, v1
	v_sub_u32_e32 v2, 0x79, v1
	v_cmp_eq_u32_e32 vcc, 0, v1
	v_cndmask_b32_e64 v2, 0, v2, s[26:27]
	v_mov_b32_e32 v5, 0x78
	v_cndmask_b32_e32 v2, v2, v5, vcc
	v_add_u32_e32 v5, 20, v2
	v_or_b32_e32 v4, 0x800000, v3
	v_lshlrev_b64 v[5:6], v5, -1
	v_add_u32_e32 v7, 19, v2
	v_cndmask_b32_e32 v3, v4, v3, vcc
	v_lshlrev_b64 v[7:8], v7, 1
	v_mov_b32_e32 v4, v51
	v_bfi_b32 v6, v6, 0, 0
	v_bfi_b32 v5, v5, 0, v3
	v_cmp_eq_u64_e64 s[26:27], v[5:6], v[7:8]
	v_lshrrev_b64 v[8:9], v2, v[3:4]
	v_mov_b32_e32 v15, v9
	v_mov_b32_e32 v14, v8
	s_and_saveexec_b64 s[36:37], s[26:27]
; %bb.1496:                             ;   in Loop: Header=BB6_136 Depth=3
	v_bfe_u32 v3, v8, 20, 1
	v_add_co_u32_e64 v3, s[26:27], v8, v3
	v_add_co_u32_e64 v14, s[26:27], -1, v3
; %bb.1497:                             ;   in Loop: Header=BB6_136 Depth=3
	s_or_b64 exec, exec, s[36:37]
	v_add_u32_e32 v1, 0xffffff81, v1
	v_mov_b32_e32 v3, 0xffffff82
	v_cndmask_b32_e32 v1, v1, v3, vcc
	v_lshrrev_b32_e32 v3, 23, v8
	v_add3_u32 v3, v2, v1, v3
	v_add_u32_e32 v2, 6, v3
	v_and_b32_e32 v1, 0xfffff, v14
	v_add_u32_e32 v8, v1, v8
	v_mov_b32_e32 v9, v51
	v_cmp_ne_u32_e32 vcc, 0, v2
                                        ; implicit-def: $vgpr1
	s_and_saveexec_b64 s[26:27], vcc
	s_xor_b64 s[26:27], exec, s[26:27]
; %bb.1498:                             ;   in Loop: Header=BB6_136 Depth=3
	v_cmp_lt_u64_e32 vcc, s[88:89], v[8:9]
	v_add_u32_e32 v1, 7, v3
	v_cndmask_b32_e32 v1, v2, v1, vcc
	v_cndmask_b32_e64 v2, 0, 1, vcc
	v_lshrrev_b64 v[8:9], v2, v[8:9]
; %bb.1499:                             ;   in Loop: Header=BB6_136 Depth=3
	s_andn2_saveexec_b64 s[26:27], s[26:27]
; %bb.1500:                             ;   in Loop: Header=BB6_136 Depth=3
	v_bfe_u32 v1, v8, 23, 1
; %bb.1501:                             ;   in Loop: Header=BB6_136 Depth=3
	s_or_b64 exec, exec, s[26:27]
	v_lshrrev_b64 v[2:3], 20, v[8:9]
	v_cmp_gt_i32_e32 vcc, 16, v1
	v_cndmask_b32_e32 v3, 0, v3, vcc
	v_cndmask_b32_e32 v2, 7, v2, vcc
	v_cmp_eq_u32_e32 vcc, 0, v1
	v_min_i32_e32 v1, 15, v1
	v_cmp_eq_u64_e64 s[26:27], 0, v[2:3]
	v_lshlrev_b32_e32 v1, 3, v1
	v_and_b32_e32 v1, 0xf8, v1
	v_and_or_b32 v1, v2, 7, v1
	s_and_b64 s[26:27], vcc, s[26:27]
	v_cndmask_b32_e64 v1, v1, 0, s[26:27]
	v_or_b32_e32 v0, v1, v0
	buffer_store_dword v0, off, s[0:3], s33 offset:460 ; 4-byte Folded Spill
.LBB6_1502:                             ;   in Loop: Header=BB6_136 Depth=3
	s_or_b64 exec, exec, s[34:35]
                                        ; implicit-def: $vgpr0
.LBB6_1503:                             ;   in Loop: Header=BB6_136 Depth=3
	s_andn2_saveexec_b64 s[26:27], s[30:31]
	s_cbranch_execz .LBB6_1505
; %bb.1504:                             ;   in Loop: Header=BB6_136 Depth=3
	v_or_b32_e32 v0, 0x7e, v0
	buffer_store_dword v0, off, s[0:3], s33 offset:460 ; 4-byte Folded Spill
.LBB6_1505:                             ;   in Loop: Header=BB6_136 Depth=3
	s_or_b64 exec, exec, s[26:27]
                                        ; implicit-def: $vgpr1
.LBB6_1506:                             ;   in Loop: Header=BB6_136 Depth=3
	s_andn2_saveexec_b64 s[26:27], s[94:95]
	s_cbranch_execz .LBB6_1508
; %bb.1507:                             ;   in Loop: Header=BB6_136 Depth=3
	v_or_b32_sdwa v0, v1, s86 dst_sel:DWORD dst_unused:UNUSED_PAD src0_sel:BYTE_3 src1_sel:DWORD
	buffer_store_dword v0, off, s[0:3], s33 offset:460 ; 4-byte Folded Spill
.LBB6_1508:                             ;   in Loop: Header=BB6_136 Depth=3
	s_or_b64 exec, exec, s[26:27]
	v_lshrrev_b32_e32 v8, 16, v11
	v_cmp_ne_u16_sdwa s[94:95], v8, v51 src0_sel:BYTE_0 src1_sel:DWORD
	v_mov_b32_e32 v0, 0
	s_and_saveexec_b64 s[26:27], s[94:95]
	s_cbranch_execz .LBB6_1514
; %bb.1509:                             ;   in Loop: Header=BB6_136 Depth=3
	v_cmp_ne_u16_sdwa vcc, v8, s96 src0_sel:BYTE_0 src1_sel:DWORD
	v_bfrev_b32_e32 v0, 1
	s_and_saveexec_b64 s[94:95], vcc
	s_cbranch_execz .LBB6_1513
; %bb.1510:                             ;   in Loop: Header=BB6_136 Depth=3
	v_bfe_u32 v1, v11, 16, 7
	v_cmp_ne_u32_e32 vcc, s86, v1
	v_mov_b32_e32 v0, 0x7f800001
	s_and_saveexec_b64 s[30:31], vcc
	s_cbranch_execz .LBB6_1512
; %bb.1511:                             ;   in Loop: Header=BB6_136 Depth=3
	v_and_b32_e32 v2, 7, v8
	v_ffbh_u32_e32 v0, v2
	v_min_u32_e32 v4, 32, v0
	v_subrev_u32_e32 v0, 28, v4
	v_lshrrev_b32_e32 v3, 3, v1
	v_cmp_gt_u32_e32 vcc, 8, v1
	v_lshlrev_b64 v[0:1], v0, v[8:9]
	v_sub_u32_e32 v1, 29, v4
	v_and_b32_e32 v0, 7, v0
	v_cndmask_b32_e32 v1, v3, v1, vcc
	v_cndmask_b32_e32 v0, v2, v0, vcc
	v_lshlrev_b32_e32 v2, 24, v8
	v_bfrev_b32_e32 v3, 60
	v_lshlrev_b32_e32 v0, 20, v0
	v_and_b32_e32 v2, 0x80000000, v2
	v_lshl_add_u32 v1, v1, 23, v3
	v_or3_b32 v0, v2, v1, v0
.LBB6_1512:                             ;   in Loop: Header=BB6_136 Depth=3
	s_or_b64 exec, exec, s[30:31]
.LBB6_1513:                             ;   in Loop: Header=BB6_136 Depth=3
	s_or_b64 exec, exec, s[94:95]
.LBB6_1514:                             ;   in Loop: Header=BB6_136 Depth=3
	s_or_b64 exec, exec, s[26:27]
	v_mul_f32_e32 v1, v18, v0
	v_and_b32_e32 v2, 0x7f800000, v1
	v_mov_b32_e32 v3, v51
	v_cmp_ne_u64_e32 vcc, s[76:77], v[2:3]
                                        ; implicit-def: $vgpr0
                                        ; kill: killed $vgpr0
	s_and_saveexec_b64 s[26:27], vcc
	s_xor_b64 s[94:95], exec, s[26:27]
	s_cbranch_execz .LBB6_1528
; %bb.1515:                             ;   in Loop: Header=BB6_136 Depth=3
	v_and_b32_e32 v2, 0x7fffffff, v1
	v_mov_b32_e32 v3, v51
	v_cmp_gt_u64_e32 vcc, s[78:79], v[2:3]
	v_and_b32_sdwa v0, v1, s96 dst_sel:DWORD dst_unused:UNUSED_PAD src0_sel:BYTE_3 src1_sel:DWORD
                                        ; implicit-def: $vgpr2
                                        ; kill: killed $vgpr2
	s_and_saveexec_b64 s[26:27], vcc
	s_xor_b64 s[30:31], exec, s[26:27]
	s_cbranch_execz .LBB6_1525
; %bb.1516:                             ;   in Loop: Header=BB6_136 Depth=3
	v_mov_b32_e32 v2, 0
	v_cmp_ne_u32_e32 vcc, 0, v1
	buffer_store_dword v2, off, s[0:3], s33 offset:464 ; 4-byte Folded Spill
	s_and_saveexec_b64 s[34:35], vcc
	s_cbranch_execz .LBB6_1524
; %bb.1517:                             ;   in Loop: Header=BB6_136 Depth=3
	v_and_b32_e32 v3, 0x7fffff, v1
	v_bfe_u32 v1, v1, 23, 8
	v_cmp_gt_u32_e64 s[26:27], s97, v1
	v_sub_u32_e32 v2, 0x79, v1
	v_cmp_eq_u32_e32 vcc, 0, v1
	v_cndmask_b32_e64 v2, 0, v2, s[26:27]
	v_mov_b32_e32 v5, 0x78
	v_cndmask_b32_e32 v2, v2, v5, vcc
	v_add_u32_e32 v5, 20, v2
	v_or_b32_e32 v4, 0x800000, v3
	v_lshlrev_b64 v[5:6], v5, -1
	v_add_u32_e32 v7, 19, v2
	v_cndmask_b32_e32 v3, v4, v3, vcc
	v_lshlrev_b64 v[7:8], v7, 1
	v_mov_b32_e32 v4, v51
	v_bfi_b32 v6, v6, 0, 0
	v_bfi_b32 v5, v5, 0, v3
	v_cmp_eq_u64_e64 s[26:27], v[5:6], v[7:8]
	v_lshrrev_b64 v[8:9], v2, v[3:4]
	v_mov_b32_e32 v15, v9
	v_mov_b32_e32 v14, v8
	s_and_saveexec_b64 s[36:37], s[26:27]
; %bb.1518:                             ;   in Loop: Header=BB6_136 Depth=3
	v_bfe_u32 v3, v8, 20, 1
	v_add_co_u32_e64 v3, s[26:27], v8, v3
	v_add_co_u32_e64 v14, s[26:27], -1, v3
; %bb.1519:                             ;   in Loop: Header=BB6_136 Depth=3
	s_or_b64 exec, exec, s[36:37]
	v_add_u32_e32 v1, 0xffffff81, v1
	v_mov_b32_e32 v3, 0xffffff82
	v_cndmask_b32_e32 v1, v1, v3, vcc
	v_lshrrev_b32_e32 v3, 23, v8
	v_add3_u32 v3, v2, v1, v3
	v_add_u32_e32 v2, 6, v3
	v_and_b32_e32 v1, 0xfffff, v14
	v_add_u32_e32 v8, v1, v8
	v_mov_b32_e32 v9, v51
	v_cmp_ne_u32_e32 vcc, 0, v2
                                        ; implicit-def: $vgpr1
	s_and_saveexec_b64 s[26:27], vcc
	s_xor_b64 s[26:27], exec, s[26:27]
; %bb.1520:                             ;   in Loop: Header=BB6_136 Depth=3
	v_cmp_lt_u64_e32 vcc, s[88:89], v[8:9]
	v_add_u32_e32 v1, 7, v3
	v_cndmask_b32_e32 v1, v2, v1, vcc
	v_cndmask_b32_e64 v2, 0, 1, vcc
	v_lshrrev_b64 v[8:9], v2, v[8:9]
; %bb.1521:                             ;   in Loop: Header=BB6_136 Depth=3
	s_andn2_saveexec_b64 s[26:27], s[26:27]
; %bb.1522:                             ;   in Loop: Header=BB6_136 Depth=3
	v_bfe_u32 v1, v8, 23, 1
; %bb.1523:                             ;   in Loop: Header=BB6_136 Depth=3
	s_or_b64 exec, exec, s[26:27]
	v_lshrrev_b64 v[2:3], 20, v[8:9]
	v_cmp_gt_i32_e32 vcc, 16, v1
	v_cndmask_b32_e32 v3, 0, v3, vcc
	v_cndmask_b32_e32 v2, 7, v2, vcc
	v_cmp_eq_u32_e32 vcc, 0, v1
	v_min_i32_e32 v1, 15, v1
	v_cmp_eq_u64_e64 s[26:27], 0, v[2:3]
	v_lshlrev_b32_e32 v1, 3, v1
	v_and_b32_e32 v1, 0xf8, v1
	v_and_or_b32 v1, v2, 7, v1
	s_and_b64 s[26:27], vcc, s[26:27]
	v_cndmask_b32_e64 v1, v1, 0, s[26:27]
	v_or_b32_e32 v0, v1, v0
	buffer_store_dword v0, off, s[0:3], s33 offset:464 ; 4-byte Folded Spill
.LBB6_1524:                             ;   in Loop: Header=BB6_136 Depth=3
	s_or_b64 exec, exec, s[34:35]
                                        ; implicit-def: $vgpr0
.LBB6_1525:                             ;   in Loop: Header=BB6_136 Depth=3
	s_andn2_saveexec_b64 s[26:27], s[30:31]
	s_cbranch_execz .LBB6_1527
; %bb.1526:                             ;   in Loop: Header=BB6_136 Depth=3
	v_or_b32_e32 v0, 0x7e, v0
	buffer_store_dword v0, off, s[0:3], s33 offset:464 ; 4-byte Folded Spill
.LBB6_1527:                             ;   in Loop: Header=BB6_136 Depth=3
	s_or_b64 exec, exec, s[26:27]
                                        ; implicit-def: $vgpr1
.LBB6_1528:                             ;   in Loop: Header=BB6_136 Depth=3
	s_andn2_saveexec_b64 s[26:27], s[94:95]
	s_cbranch_execz .LBB6_1530
; %bb.1529:                             ;   in Loop: Header=BB6_136 Depth=3
	v_or_b32_sdwa v0, v1, s86 dst_sel:DWORD dst_unused:UNUSED_PAD src0_sel:BYTE_3 src1_sel:DWORD
	buffer_store_dword v0, off, s[0:3], s33 offset:464 ; 4-byte Folded Spill
.LBB6_1530:                             ;   in Loop: Header=BB6_136 Depth=3
	s_or_b64 exec, exec, s[26:27]
	v_cmp_lt_u64_e32 vcc, s[56:57], v[10:11]
	v_mov_b32_e32 v0, 0
	s_and_saveexec_b64 s[26:27], vcc
	s_cbranch_execz .LBB6_1536
; %bb.1531:                             ;   in Loop: Header=BB6_136 Depth=3
	v_lshrrev_b32_e32 v8, 24, v11
	v_cmp_ne_u32_e32 vcc, s96, v8
	v_bfrev_b32_e32 v0, 1
	s_and_saveexec_b64 s[94:95], vcc
	s_cbranch_execz .LBB6_1535
; %bb.1532:                             ;   in Loop: Header=BB6_136 Depth=3
	v_bfe_u32 v1, v11, 24, 7
	v_cmp_ne_u32_e32 vcc, s86, v1
	v_mov_b32_e32 v0, 0x7f800001
	s_and_saveexec_b64 s[30:31], vcc
	s_cbranch_execz .LBB6_1534
; %bb.1533:                             ;   in Loop: Header=BB6_136 Depth=3
	v_and_b32_e32 v2, 7, v8
	v_ffbh_u32_e32 v0, v2
	v_min_u32_e32 v4, 32, v0
	v_subrev_u32_e32 v0, 28, v4
	v_lshrrev_b32_e32 v3, 3, v1
	v_cmp_gt_u32_e32 vcc, 8, v1
	v_lshlrev_b64 v[0:1], v0, v[8:9]
	v_sub_u32_e32 v1, 29, v4
	v_and_b32_e32 v0, 7, v0
	v_cndmask_b32_e32 v1, v3, v1, vcc
	v_cndmask_b32_e32 v0, v2, v0, vcc
	v_lshlrev_b32_e32 v2, 24, v8
	v_bfrev_b32_e32 v3, 60
	v_lshlrev_b32_e32 v0, 20, v0
	v_and_b32_e32 v2, 0x80000000, v2
	v_lshl_add_u32 v1, v1, 23, v3
	v_or3_b32 v0, v2, v1, v0
.LBB6_1534:                             ;   in Loop: Header=BB6_136 Depth=3
	s_or_b64 exec, exec, s[30:31]
.LBB6_1535:                             ;   in Loop: Header=BB6_136 Depth=3
	s_or_b64 exec, exec, s[94:95]
.LBB6_1536:                             ;   in Loop: Header=BB6_136 Depth=3
	s_or_b64 exec, exec, s[26:27]
	v_mul_f32_e32 v1, v18, v0
	v_and_b32_e32 v2, 0x7f800000, v1
	v_mov_b32_e32 v3, v51
	v_cmp_ne_u64_e32 vcc, s[76:77], v[2:3]
                                        ; implicit-def: $vgpr0
                                        ; kill: killed $vgpr0
	s_and_saveexec_b64 s[26:27], vcc
	s_xor_b64 s[94:95], exec, s[26:27]
	s_cbranch_execz .LBB6_1550
; %bb.1537:                             ;   in Loop: Header=BB6_136 Depth=3
	v_and_b32_e32 v2, 0x7fffffff, v1
	v_mov_b32_e32 v3, v51
	v_cmp_gt_u64_e32 vcc, s[78:79], v[2:3]
	v_and_b32_sdwa v0, v1, s96 dst_sel:DWORD dst_unused:UNUSED_PAD src0_sel:BYTE_3 src1_sel:DWORD
                                        ; implicit-def: $vgpr2
                                        ; kill: killed $vgpr2
	s_and_saveexec_b64 s[26:27], vcc
	s_xor_b64 s[30:31], exec, s[26:27]
	s_cbranch_execz .LBB6_1547
; %bb.1538:                             ;   in Loop: Header=BB6_136 Depth=3
	v_mov_b32_e32 v2, 0
	v_cmp_ne_u32_e32 vcc, 0, v1
	buffer_store_dword v2, off, s[0:3], s33 offset:472 ; 4-byte Folded Spill
	s_and_saveexec_b64 s[34:35], vcc
	s_cbranch_execz .LBB6_1546
; %bb.1539:                             ;   in Loop: Header=BB6_136 Depth=3
	v_and_b32_e32 v3, 0x7fffff, v1
	v_bfe_u32 v1, v1, 23, 8
	v_cmp_gt_u32_e64 s[26:27], s97, v1
	v_sub_u32_e32 v2, 0x79, v1
	v_cmp_eq_u32_e32 vcc, 0, v1
	v_cndmask_b32_e64 v2, 0, v2, s[26:27]
	v_mov_b32_e32 v5, 0x78
	v_cndmask_b32_e32 v2, v2, v5, vcc
	v_add_u32_e32 v5, 20, v2
	v_or_b32_e32 v4, 0x800000, v3
	v_lshlrev_b64 v[5:6], v5, -1
	v_add_u32_e32 v7, 19, v2
	v_cndmask_b32_e32 v3, v4, v3, vcc
	v_lshlrev_b64 v[7:8], v7, 1
	v_mov_b32_e32 v4, v51
	v_bfi_b32 v6, v6, 0, 0
	v_bfi_b32 v5, v5, 0, v3
	v_cmp_eq_u64_e64 s[26:27], v[5:6], v[7:8]
	v_lshrrev_b64 v[8:9], v2, v[3:4]
	v_mov_b32_e32 v10, v9
	v_mov_b32_e32 v9, v8
	s_and_saveexec_b64 s[36:37], s[26:27]
; %bb.1540:                             ;   in Loop: Header=BB6_136 Depth=3
	v_bfe_u32 v3, v8, 20, 1
	v_add_co_u32_e64 v3, s[26:27], v8, v3
	v_add_co_u32_e64 v9, s[26:27], -1, v3
; %bb.1541:                             ;   in Loop: Header=BB6_136 Depth=3
	s_or_b64 exec, exec, s[36:37]
	v_add_u32_e32 v1, 0xffffff81, v1
	v_mov_b32_e32 v3, 0xffffff82
	v_cndmask_b32_e32 v1, v1, v3, vcc
	v_lshrrev_b32_e32 v3, 23, v8
	v_add3_u32 v3, v2, v1, v3
	v_add_u32_e32 v2, 6, v3
	v_and_b32_e32 v1, 0xfffff, v9
	v_add_u32_e32 v8, v1, v8
	v_mov_b32_e32 v9, v51
	v_cmp_ne_u32_e32 vcc, 0, v2
                                        ; implicit-def: $vgpr1
	s_and_saveexec_b64 s[26:27], vcc
	s_xor_b64 s[26:27], exec, s[26:27]
; %bb.1542:                             ;   in Loop: Header=BB6_136 Depth=3
	v_cmp_lt_u64_e32 vcc, s[88:89], v[8:9]
	v_add_u32_e32 v1, 7, v3
	v_cndmask_b32_e32 v1, v2, v1, vcc
	v_cndmask_b32_e64 v2, 0, 1, vcc
	v_lshrrev_b64 v[8:9], v2, v[8:9]
; %bb.1543:                             ;   in Loop: Header=BB6_136 Depth=3
	s_andn2_saveexec_b64 s[26:27], s[26:27]
; %bb.1544:                             ;   in Loop: Header=BB6_136 Depth=3
	v_bfe_u32 v1, v8, 23, 1
; %bb.1545:                             ;   in Loop: Header=BB6_136 Depth=3
	s_or_b64 exec, exec, s[26:27]
	v_lshrrev_b64 v[2:3], 20, v[8:9]
	v_cmp_gt_i32_e32 vcc, 16, v1
	v_cndmask_b32_e32 v3, 0, v3, vcc
	v_cndmask_b32_e32 v2, 7, v2, vcc
	v_cmp_eq_u32_e32 vcc, 0, v1
	v_min_i32_e32 v1, 15, v1
	v_cmp_eq_u64_e64 s[26:27], 0, v[2:3]
	v_lshlrev_b32_e32 v1, 3, v1
	v_and_b32_e32 v1, 0xf8, v1
	v_and_or_b32 v1, v2, 7, v1
	s_and_b64 s[26:27], vcc, s[26:27]
	v_cndmask_b32_e64 v1, v1, 0, s[26:27]
	v_or_b32_e32 v0, v1, v0
	buffer_store_dword v0, off, s[0:3], s33 offset:472 ; 4-byte Folded Spill
.LBB6_1546:                             ;   in Loop: Header=BB6_136 Depth=3
	s_or_b64 exec, exec, s[34:35]
                                        ; implicit-def: $vgpr0
.LBB6_1547:                             ;   in Loop: Header=BB6_136 Depth=3
	s_andn2_saveexec_b64 s[26:27], s[30:31]
	s_cbranch_execz .LBB6_1549
; %bb.1548:                             ;   in Loop: Header=BB6_136 Depth=3
	v_or_b32_e32 v0, 0x7e, v0
	buffer_store_dword v0, off, s[0:3], s33 offset:472 ; 4-byte Folded Spill
.LBB6_1549:                             ;   in Loop: Header=BB6_136 Depth=3
	s_or_b64 exec, exec, s[26:27]
                                        ; implicit-def: $vgpr1
.LBB6_1550:                             ;   in Loop: Header=BB6_136 Depth=3
	s_andn2_saveexec_b64 s[26:27], s[94:95]
	s_cbranch_execz .LBB6_1552
; %bb.1551:                             ;   in Loop: Header=BB6_136 Depth=3
	v_or_b32_sdwa v0, v1, s86 dst_sel:DWORD dst_unused:UNUSED_PAD src0_sel:BYTE_3 src1_sel:DWORD
	buffer_store_dword v0, off, s[0:3], s33 offset:472 ; 4-byte Folded Spill
.LBB6_1552:                             ;   in Loop: Header=BB6_136 Depth=3
	s_or_b64 exec, exec, s[26:27]
	v_add_co_u32_e32 v0, vcc, 0x1000, v12
	v_addc_co_u32_e32 v1, vcc, 0, v13, vcc
	global_load_dwordx4 v[8:11], v[0:1], off glc slc
	v_mov_b32_e32 v0, 0
	s_waitcnt vmcnt(0)
	v_cmp_ne_u16_sdwa s[94:95], v8, v51 src0_sel:BYTE_0 src1_sel:DWORD
	s_and_saveexec_b64 s[26:27], s[94:95]
	s_cbranch_execz .LBB6_1558
; %bb.1553:                             ;   in Loop: Header=BB6_136 Depth=3
	v_cmp_ne_u16_sdwa vcc, v8, s96 src0_sel:BYTE_0 src1_sel:DWORD
	v_bfrev_b32_e32 v0, 1
	s_and_saveexec_b64 s[94:95], vcc
	s_cbranch_execz .LBB6_1557
; %bb.1554:                             ;   in Loop: Header=BB6_136 Depth=3
	v_and_b32_e32 v1, 0x7f, v8
	v_cmp_ne_u32_e32 vcc, s86, v1
	v_mov_b32_e32 v0, 0x7f800001
	s_and_saveexec_b64 s[30:31], vcc
	s_cbranch_execz .LBB6_1556
; %bb.1555:                             ;   in Loop: Header=BB6_136 Depth=3
	v_and_b32_e32 v0, 7, v8
	v_ffbh_u32_e32 v0, v0
	v_min_u32_e32 v0, 32, v0
	v_lshrrev_b32_e32 v2, 3, v1
	v_cmp_gt_u32_e32 vcc, 8, v1
	v_subrev_u32_e32 v1, 28, v0
	v_sub_u32_e32 v0, 29, v0
	v_cndmask_b32_e32 v2, v2, v0, vcc
	v_cndmask_b32_e32 v0, 0, v1, vcc
	v_lshlrev_b64 v[0:1], v0, v[8:9]
	v_lshlrev_b32_e32 v1, 24, v8
	v_lshlrev_b32_e32 v0, 20, v0
	v_bfrev_b32_e32 v3, 60
	v_and_b32_e32 v0, 0x700000, v0
	v_and_b32_e32 v1, 0x80000000, v1
	v_lshl_add_u32 v2, v2, 23, v3
	v_or3_b32 v0, v1, v2, v0
.LBB6_1556:                             ;   in Loop: Header=BB6_136 Depth=3
	s_or_b64 exec, exec, s[30:31]
.LBB6_1557:                             ;   in Loop: Header=BB6_136 Depth=3
	s_or_b64 exec, exec, s[94:95]
.LBB6_1558:                             ;   in Loop: Header=BB6_136 Depth=3
	s_or_b64 exec, exec, s[26:27]
	v_mul_f32_e32 v1, v18, v0
	v_and_b32_e32 v2, 0x7f800000, v1
	v_mov_b32_e32 v3, v51
	v_cmp_ne_u64_e32 vcc, s[76:77], v[2:3]
                                        ; implicit-def: $vgpr0
                                        ; kill: killed $vgpr0
	s_and_saveexec_b64 s[26:27], vcc
	s_xor_b64 s[94:95], exec, s[26:27]
	s_cbranch_execz .LBB6_1572
; %bb.1559:                             ;   in Loop: Header=BB6_136 Depth=3
	v_and_b32_e32 v2, 0x7fffffff, v1
	v_mov_b32_e32 v3, v51
	v_cmp_gt_u64_e32 vcc, s[78:79], v[2:3]
	v_and_b32_sdwa v0, v1, s96 dst_sel:DWORD dst_unused:UNUSED_PAD src0_sel:BYTE_3 src1_sel:DWORD
                                        ; implicit-def: $vgpr2
                                        ; kill: killed $vgpr2
	s_and_saveexec_b64 s[26:27], vcc
	s_xor_b64 s[30:31], exec, s[26:27]
	s_cbranch_execz .LBB6_1569
; %bb.1560:                             ;   in Loop: Header=BB6_136 Depth=3
	v_mov_b32_e32 v2, 0
	v_cmp_ne_u32_e32 vcc, 0, v1
	buffer_store_dword v2, off, s[0:3], s33 offset:476 ; 4-byte Folded Spill
	s_and_saveexec_b64 s[34:35], vcc
	s_cbranch_execz .LBB6_1568
; %bb.1561:                             ;   in Loop: Header=BB6_136 Depth=3
	v_and_b32_e32 v3, 0x7fffff, v1
	v_bfe_u32 v1, v1, 23, 8
	v_cmp_gt_u32_e64 s[26:27], s97, v1
	v_sub_u32_e32 v2, 0x79, v1
	v_cmp_eq_u32_e32 vcc, 0, v1
	v_cndmask_b32_e64 v2, 0, v2, s[26:27]
	v_mov_b32_e32 v5, 0x78
	v_cndmask_b32_e32 v2, v2, v5, vcc
	v_add_u32_e32 v5, 20, v2
	v_or_b32_e32 v4, 0x800000, v3
	v_lshlrev_b64 v[5:6], v5, -1
	v_add_u32_e32 v7, 19, v2
	v_cndmask_b32_e32 v3, v4, v3, vcc
	v_lshlrev_b64 v[14:15], v7, 1
	v_mov_b32_e32 v4, v51
	v_bfi_b32 v6, v6, 0, 0
	v_bfi_b32 v5, v5, 0, v3
	v_cmp_eq_u64_e64 s[26:27], v[5:6], v[14:15]
	v_lshrrev_b64 v[14:15], v2, v[3:4]
	v_mov_b32_e32 v16, v15
	v_mov_b32_e32 v15, v14
	s_and_saveexec_b64 s[36:37], s[26:27]
; %bb.1562:                             ;   in Loop: Header=BB6_136 Depth=3
	v_bfe_u32 v3, v14, 20, 1
	v_add_co_u32_e64 v3, s[26:27], v14, v3
	v_add_co_u32_e64 v15, s[26:27], -1, v3
; %bb.1563:                             ;   in Loop: Header=BB6_136 Depth=3
	s_or_b64 exec, exec, s[36:37]
	v_add_u32_e32 v1, 0xffffff81, v1
	v_mov_b32_e32 v3, 0xffffff82
	v_cndmask_b32_e32 v1, v1, v3, vcc
	v_lshrrev_b32_e32 v3, 23, v14
	v_add3_u32 v3, v2, v1, v3
	v_add_u32_e32 v2, 6, v3
	v_and_b32_e32 v1, 0xfffff, v15
	v_add_u32_e32 v14, v1, v14
	v_mov_b32_e32 v15, v51
	v_cmp_ne_u32_e32 vcc, 0, v2
                                        ; implicit-def: $vgpr1
	s_and_saveexec_b64 s[26:27], vcc
	s_xor_b64 s[26:27], exec, s[26:27]
; %bb.1564:                             ;   in Loop: Header=BB6_136 Depth=3
	v_cmp_lt_u64_e32 vcc, s[88:89], v[14:15]
	v_add_u32_e32 v1, 7, v3
	v_cndmask_b32_e32 v1, v2, v1, vcc
	v_cndmask_b32_e64 v2, 0, 1, vcc
	v_lshrrev_b64 v[14:15], v2, v[14:15]
; %bb.1565:                             ;   in Loop: Header=BB6_136 Depth=3
	s_andn2_saveexec_b64 s[26:27], s[26:27]
; %bb.1566:                             ;   in Loop: Header=BB6_136 Depth=3
	v_bfe_u32 v1, v14, 23, 1
; %bb.1567:                             ;   in Loop: Header=BB6_136 Depth=3
	s_or_b64 exec, exec, s[26:27]
	v_lshrrev_b64 v[2:3], 20, v[14:15]
	v_cmp_gt_i32_e32 vcc, 16, v1
	v_cndmask_b32_e32 v3, 0, v3, vcc
	v_cndmask_b32_e32 v2, 7, v2, vcc
	v_cmp_eq_u32_e32 vcc, 0, v1
	v_min_i32_e32 v1, 15, v1
	v_cmp_eq_u64_e64 s[26:27], 0, v[2:3]
	v_lshlrev_b32_e32 v1, 3, v1
	v_and_b32_e32 v1, 0xf8, v1
	v_and_or_b32 v1, v2, 7, v1
	s_and_b64 s[26:27], vcc, s[26:27]
	v_cndmask_b32_e64 v1, v1, 0, s[26:27]
	v_or_b32_e32 v0, v1, v0
	buffer_store_dword v0, off, s[0:3], s33 offset:476 ; 4-byte Folded Spill
.LBB6_1568:                             ;   in Loop: Header=BB6_136 Depth=3
	s_or_b64 exec, exec, s[34:35]
                                        ; implicit-def: $vgpr0
.LBB6_1569:                             ;   in Loop: Header=BB6_136 Depth=3
	s_andn2_saveexec_b64 s[26:27], s[30:31]
	s_cbranch_execz .LBB6_1571
; %bb.1570:                             ;   in Loop: Header=BB6_136 Depth=3
	v_or_b32_e32 v0, 0x7e, v0
	buffer_store_dword v0, off, s[0:3], s33 offset:476 ; 4-byte Folded Spill
.LBB6_1571:                             ;   in Loop: Header=BB6_136 Depth=3
	s_or_b64 exec, exec, s[26:27]
                                        ; implicit-def: $vgpr1
.LBB6_1572:                             ;   in Loop: Header=BB6_136 Depth=3
	s_andn2_saveexec_b64 s[26:27], s[94:95]
	s_cbranch_execz .LBB6_1574
; %bb.1573:                             ;   in Loop: Header=BB6_136 Depth=3
	v_or_b32_sdwa v0, v1, s86 dst_sel:DWORD dst_unused:UNUSED_PAD src0_sel:BYTE_3 src1_sel:DWORD
	buffer_store_dword v0, off, s[0:3], s33 offset:476 ; 4-byte Folded Spill
.LBB6_1574:                             ;   in Loop: Header=BB6_136 Depth=3
	s_or_b64 exec, exec, s[26:27]
	v_lshrrev_b16_e32 v14, 8, v8
	v_cmp_ne_u16_e32 vcc, 0, v14
	v_mov_b32_e32 v0, 0
	s_and_saveexec_b64 s[26:27], vcc
	s_cbranch_execz .LBB6_1580
; %bb.1575:                             ;   in Loop: Header=BB6_136 Depth=3
	v_cmp_ne_u16_e32 vcc, s96, v14
	v_bfrev_b32_e32 v0, 1
	s_and_saveexec_b64 s[94:95], vcc
	s_cbranch_execz .LBB6_1579
; %bb.1576:                             ;   in Loop: Header=BB6_136 Depth=3
	v_and_b32_e32 v1, 0x7f, v14
	v_cmp_ne_u32_e32 vcc, s86, v1
	v_mov_b32_e32 v0, 0x7f800001
	s_and_saveexec_b64 s[30:31], vcc
	s_cbranch_execz .LBB6_1578
; %bb.1577:                             ;   in Loop: Header=BB6_136 Depth=3
	v_and_b32_e32 v2, 7, v14
	v_ffbh_u32_e32 v0, v2
	v_min_u32_e32 v4, 32, v0
	v_subrev_u32_e32 v0, 28, v4
	v_lshrrev_b32_e32 v3, 3, v1
	v_cmp_gt_u32_e32 vcc, 8, v1
	v_lshlrev_b64 v[0:1], v0, v[14:15]
	v_sub_u32_e32 v1, 29, v4
	v_and_b32_e32 v0, 7, v0
	v_cndmask_b32_e32 v1, v3, v1, vcc
	v_cndmask_b32_e32 v0, v2, v0, vcc
	v_lshlrev_b32_e32 v2, 16, v8
	v_bfrev_b32_e32 v3, 60
	v_lshlrev_b32_e32 v0, 20, v0
	v_and_b32_e32 v2, 0x80000000, v2
	v_lshl_add_u32 v1, v1, 23, v3
	v_or3_b32 v0, v2, v1, v0
.LBB6_1578:                             ;   in Loop: Header=BB6_136 Depth=3
	s_or_b64 exec, exec, s[30:31]
.LBB6_1579:                             ;   in Loop: Header=BB6_136 Depth=3
	s_or_b64 exec, exec, s[94:95]
.LBB6_1580:                             ;   in Loop: Header=BB6_136 Depth=3
	s_or_b64 exec, exec, s[26:27]
	v_mul_f32_e32 v1, v18, v0
	v_and_b32_e32 v2, 0x7f800000, v1
	v_mov_b32_e32 v3, v51
	v_cmp_ne_u64_e32 vcc, s[76:77], v[2:3]
                                        ; implicit-def: $vgpr0
                                        ; kill: killed $vgpr0
	s_and_saveexec_b64 s[26:27], vcc
	s_xor_b64 s[94:95], exec, s[26:27]
	s_cbranch_execz .LBB6_1594
; %bb.1581:                             ;   in Loop: Header=BB6_136 Depth=3
	v_and_b32_e32 v2, 0x7fffffff, v1
	v_mov_b32_e32 v3, v51
	v_cmp_gt_u64_e32 vcc, s[78:79], v[2:3]
	v_and_b32_sdwa v0, v1, s96 dst_sel:DWORD dst_unused:UNUSED_PAD src0_sel:BYTE_3 src1_sel:DWORD
                                        ; implicit-def: $vgpr2
                                        ; kill: killed $vgpr2
	s_and_saveexec_b64 s[26:27], vcc
	s_xor_b64 s[30:31], exec, s[26:27]
	s_cbranch_execz .LBB6_1591
; %bb.1582:                             ;   in Loop: Header=BB6_136 Depth=3
	v_mov_b32_e32 v2, 0
	v_cmp_ne_u32_e32 vcc, 0, v1
	buffer_store_dword v2, off, s[0:3], s33 offset:480 ; 4-byte Folded Spill
	s_and_saveexec_b64 s[34:35], vcc
	s_cbranch_execz .LBB6_1590
; %bb.1583:                             ;   in Loop: Header=BB6_136 Depth=3
	v_and_b32_e32 v3, 0x7fffff, v1
	v_bfe_u32 v1, v1, 23, 8
	v_cmp_gt_u32_e64 s[26:27], s97, v1
	v_sub_u32_e32 v2, 0x79, v1
	v_cmp_eq_u32_e32 vcc, 0, v1
	v_cndmask_b32_e64 v2, 0, v2, s[26:27]
	v_mov_b32_e32 v5, 0x78
	v_cndmask_b32_e32 v2, v2, v5, vcc
	v_add_u32_e32 v5, 20, v2
	v_or_b32_e32 v4, 0x800000, v3
	v_lshlrev_b64 v[5:6], v5, -1
	v_add_u32_e32 v7, 19, v2
	v_cndmask_b32_e32 v3, v4, v3, vcc
	v_lshlrev_b64 v[14:15], v7, 1
	v_mov_b32_e32 v4, v51
	v_bfi_b32 v6, v6, 0, 0
	v_bfi_b32 v5, v5, 0, v3
	v_cmp_eq_u64_e64 s[26:27], v[5:6], v[14:15]
	v_lshrrev_b64 v[14:15], v2, v[3:4]
	v_mov_b32_e32 v16, v15
	v_mov_b32_e32 v15, v14
	s_and_saveexec_b64 s[36:37], s[26:27]
; %bb.1584:                             ;   in Loop: Header=BB6_136 Depth=3
	v_bfe_u32 v3, v14, 20, 1
	v_add_co_u32_e64 v3, s[26:27], v14, v3
	v_add_co_u32_e64 v15, s[26:27], -1, v3
; %bb.1585:                             ;   in Loop: Header=BB6_136 Depth=3
	s_or_b64 exec, exec, s[36:37]
	v_add_u32_e32 v1, 0xffffff81, v1
	v_mov_b32_e32 v3, 0xffffff82
	v_cndmask_b32_e32 v1, v1, v3, vcc
	v_lshrrev_b32_e32 v3, 23, v14
	v_add3_u32 v3, v2, v1, v3
	v_add_u32_e32 v2, 6, v3
	v_and_b32_e32 v1, 0xfffff, v15
	v_add_u32_e32 v14, v1, v14
	v_mov_b32_e32 v15, v51
	v_cmp_ne_u32_e32 vcc, 0, v2
                                        ; implicit-def: $vgpr1
	s_and_saveexec_b64 s[26:27], vcc
	s_xor_b64 s[26:27], exec, s[26:27]
; %bb.1586:                             ;   in Loop: Header=BB6_136 Depth=3
	v_cmp_lt_u64_e32 vcc, s[88:89], v[14:15]
	v_add_u32_e32 v1, 7, v3
	v_cndmask_b32_e32 v1, v2, v1, vcc
	v_cndmask_b32_e64 v2, 0, 1, vcc
	v_lshrrev_b64 v[14:15], v2, v[14:15]
; %bb.1587:                             ;   in Loop: Header=BB6_136 Depth=3
	s_andn2_saveexec_b64 s[26:27], s[26:27]
; %bb.1588:                             ;   in Loop: Header=BB6_136 Depth=3
	v_bfe_u32 v1, v14, 23, 1
; %bb.1589:                             ;   in Loop: Header=BB6_136 Depth=3
	s_or_b64 exec, exec, s[26:27]
	v_lshrrev_b64 v[2:3], 20, v[14:15]
	v_cmp_gt_i32_e32 vcc, 16, v1
	v_cndmask_b32_e32 v3, 0, v3, vcc
	v_cndmask_b32_e32 v2, 7, v2, vcc
	v_cmp_eq_u32_e32 vcc, 0, v1
	v_min_i32_e32 v1, 15, v1
	v_cmp_eq_u64_e64 s[26:27], 0, v[2:3]
	v_lshlrev_b32_e32 v1, 3, v1
	v_and_b32_e32 v1, 0xf8, v1
	v_and_or_b32 v1, v2, 7, v1
	s_and_b64 s[26:27], vcc, s[26:27]
	v_cndmask_b32_e64 v1, v1, 0, s[26:27]
	v_or_b32_e32 v0, v1, v0
	buffer_store_dword v0, off, s[0:3], s33 offset:480 ; 4-byte Folded Spill
.LBB6_1590:                             ;   in Loop: Header=BB6_136 Depth=3
	s_or_b64 exec, exec, s[34:35]
                                        ; implicit-def: $vgpr0
.LBB6_1591:                             ;   in Loop: Header=BB6_136 Depth=3
	s_andn2_saveexec_b64 s[26:27], s[30:31]
	s_cbranch_execz .LBB6_1593
; %bb.1592:                             ;   in Loop: Header=BB6_136 Depth=3
	v_or_b32_e32 v0, 0x7e, v0
	buffer_store_dword v0, off, s[0:3], s33 offset:480 ; 4-byte Folded Spill
.LBB6_1593:                             ;   in Loop: Header=BB6_136 Depth=3
	s_or_b64 exec, exec, s[26:27]
                                        ; implicit-def: $vgpr1
.LBB6_1594:                             ;   in Loop: Header=BB6_136 Depth=3
	s_andn2_saveexec_b64 s[26:27], s[94:95]
	s_cbranch_execz .LBB6_1596
; %bb.1595:                             ;   in Loop: Header=BB6_136 Depth=3
	v_or_b32_sdwa v0, v1, s86 dst_sel:DWORD dst_unused:UNUSED_PAD src0_sel:BYTE_3 src1_sel:DWORD
	buffer_store_dword v0, off, s[0:3], s33 offset:480 ; 4-byte Folded Spill
.LBB6_1596:                             ;   in Loop: Header=BB6_136 Depth=3
	s_or_b64 exec, exec, s[26:27]
	v_lshrrev_b32_e32 v14, 16, v8
	v_cmp_ne_u16_sdwa s[94:95], v14, v51 src0_sel:BYTE_0 src1_sel:DWORD
	v_mov_b32_e32 v0, 0
	s_and_saveexec_b64 s[26:27], s[94:95]
	s_cbranch_execz .LBB6_1602
; %bb.1597:                             ;   in Loop: Header=BB6_136 Depth=3
	v_cmp_ne_u16_sdwa vcc, v14, s96 src0_sel:BYTE_0 src1_sel:DWORD
	v_bfrev_b32_e32 v0, 1
	s_and_saveexec_b64 s[94:95], vcc
	s_cbranch_execz .LBB6_1601
; %bb.1598:                             ;   in Loop: Header=BB6_136 Depth=3
	v_bfe_u32 v1, v8, 16, 7
	v_cmp_ne_u32_e32 vcc, s86, v1
	v_mov_b32_e32 v0, 0x7f800001
	s_and_saveexec_b64 s[30:31], vcc
	s_cbranch_execz .LBB6_1600
; %bb.1599:                             ;   in Loop: Header=BB6_136 Depth=3
	v_and_b32_e32 v2, 7, v14
	v_ffbh_u32_e32 v0, v2
	v_min_u32_e32 v4, 32, v0
	v_subrev_u32_e32 v0, 28, v4
	v_lshrrev_b32_e32 v3, 3, v1
	v_cmp_gt_u32_e32 vcc, 8, v1
	v_lshlrev_b64 v[0:1], v0, v[14:15]
	v_sub_u32_e32 v1, 29, v4
	v_and_b32_e32 v0, 7, v0
	v_cndmask_b32_e32 v1, v3, v1, vcc
	v_cndmask_b32_e32 v0, v2, v0, vcc
	v_lshlrev_b32_e32 v2, 24, v14
	v_bfrev_b32_e32 v3, 60
	v_lshlrev_b32_e32 v0, 20, v0
	v_and_b32_e32 v2, 0x80000000, v2
	v_lshl_add_u32 v1, v1, 23, v3
	v_or3_b32 v0, v2, v1, v0
.LBB6_1600:                             ;   in Loop: Header=BB6_136 Depth=3
	s_or_b64 exec, exec, s[30:31]
.LBB6_1601:                             ;   in Loop: Header=BB6_136 Depth=3
	s_or_b64 exec, exec, s[94:95]
.LBB6_1602:                             ;   in Loop: Header=BB6_136 Depth=3
	s_or_b64 exec, exec, s[26:27]
	v_mul_f32_e32 v1, v18, v0
	v_and_b32_e32 v2, 0x7f800000, v1
	v_mov_b32_e32 v3, v51
	v_cmp_ne_u64_e32 vcc, s[76:77], v[2:3]
                                        ; implicit-def: $vgpr0
                                        ; kill: killed $vgpr0
	s_and_saveexec_b64 s[26:27], vcc
	s_xor_b64 s[94:95], exec, s[26:27]
	s_cbranch_execz .LBB6_1616
; %bb.1603:                             ;   in Loop: Header=BB6_136 Depth=3
	v_and_b32_e32 v2, 0x7fffffff, v1
	v_mov_b32_e32 v3, v51
	v_cmp_gt_u64_e32 vcc, s[78:79], v[2:3]
	v_and_b32_sdwa v0, v1, s96 dst_sel:DWORD dst_unused:UNUSED_PAD src0_sel:BYTE_3 src1_sel:DWORD
                                        ; implicit-def: $vgpr2
                                        ; kill: killed $vgpr2
	s_and_saveexec_b64 s[26:27], vcc
	s_xor_b64 s[30:31], exec, s[26:27]
	s_cbranch_execz .LBB6_1613
; %bb.1604:                             ;   in Loop: Header=BB6_136 Depth=3
	v_mov_b32_e32 v2, 0
	v_cmp_ne_u32_e32 vcc, 0, v1
	buffer_store_dword v2, off, s[0:3], s33 offset:484 ; 4-byte Folded Spill
	s_and_saveexec_b64 s[34:35], vcc
	s_cbranch_execz .LBB6_1612
; %bb.1605:                             ;   in Loop: Header=BB6_136 Depth=3
	v_and_b32_e32 v3, 0x7fffff, v1
	v_bfe_u32 v1, v1, 23, 8
	v_cmp_gt_u32_e64 s[26:27], s97, v1
	v_sub_u32_e32 v2, 0x79, v1
	v_cmp_eq_u32_e32 vcc, 0, v1
	v_cndmask_b32_e64 v2, 0, v2, s[26:27]
	v_mov_b32_e32 v5, 0x78
	v_cndmask_b32_e32 v2, v2, v5, vcc
	v_add_u32_e32 v5, 20, v2
	v_or_b32_e32 v4, 0x800000, v3
	v_lshlrev_b64 v[5:6], v5, -1
	v_add_u32_e32 v7, 19, v2
	v_cndmask_b32_e32 v3, v4, v3, vcc
	v_lshlrev_b64 v[14:15], v7, 1
	v_mov_b32_e32 v4, v51
	v_bfi_b32 v6, v6, 0, 0
	v_bfi_b32 v5, v5, 0, v3
	v_cmp_eq_u64_e64 s[26:27], v[5:6], v[14:15]
	v_lshrrev_b64 v[14:15], v2, v[3:4]
	v_mov_b32_e32 v16, v15
	v_mov_b32_e32 v15, v14
	s_and_saveexec_b64 s[36:37], s[26:27]
; %bb.1606:                             ;   in Loop: Header=BB6_136 Depth=3
	v_bfe_u32 v3, v14, 20, 1
	v_add_co_u32_e64 v3, s[26:27], v14, v3
	v_add_co_u32_e64 v15, s[26:27], -1, v3
; %bb.1607:                             ;   in Loop: Header=BB6_136 Depth=3
	s_or_b64 exec, exec, s[36:37]
	v_add_u32_e32 v1, 0xffffff81, v1
	v_mov_b32_e32 v3, 0xffffff82
	v_cndmask_b32_e32 v1, v1, v3, vcc
	v_lshrrev_b32_e32 v3, 23, v14
	v_add3_u32 v3, v2, v1, v3
	v_add_u32_e32 v2, 6, v3
	v_and_b32_e32 v1, 0xfffff, v15
	v_add_u32_e32 v14, v1, v14
	v_mov_b32_e32 v15, v51
	v_cmp_ne_u32_e32 vcc, 0, v2
                                        ; implicit-def: $vgpr1
	s_and_saveexec_b64 s[26:27], vcc
	s_xor_b64 s[26:27], exec, s[26:27]
; %bb.1608:                             ;   in Loop: Header=BB6_136 Depth=3
	v_cmp_lt_u64_e32 vcc, s[88:89], v[14:15]
	v_add_u32_e32 v1, 7, v3
	v_cndmask_b32_e32 v1, v2, v1, vcc
	v_cndmask_b32_e64 v2, 0, 1, vcc
	v_lshrrev_b64 v[14:15], v2, v[14:15]
; %bb.1609:                             ;   in Loop: Header=BB6_136 Depth=3
	s_andn2_saveexec_b64 s[26:27], s[26:27]
; %bb.1610:                             ;   in Loop: Header=BB6_136 Depth=3
	v_bfe_u32 v1, v14, 23, 1
; %bb.1611:                             ;   in Loop: Header=BB6_136 Depth=3
	s_or_b64 exec, exec, s[26:27]
	v_lshrrev_b64 v[2:3], 20, v[14:15]
	v_cmp_gt_i32_e32 vcc, 16, v1
	v_cndmask_b32_e32 v3, 0, v3, vcc
	v_cndmask_b32_e32 v2, 7, v2, vcc
	v_cmp_eq_u32_e32 vcc, 0, v1
	v_min_i32_e32 v1, 15, v1
	v_cmp_eq_u64_e64 s[26:27], 0, v[2:3]
	v_lshlrev_b32_e32 v1, 3, v1
	v_and_b32_e32 v1, 0xf8, v1
	v_and_or_b32 v1, v2, 7, v1
	s_and_b64 s[26:27], vcc, s[26:27]
	v_cndmask_b32_e64 v1, v1, 0, s[26:27]
	v_or_b32_e32 v0, v1, v0
	buffer_store_dword v0, off, s[0:3], s33 offset:484 ; 4-byte Folded Spill
.LBB6_1612:                             ;   in Loop: Header=BB6_136 Depth=3
	s_or_b64 exec, exec, s[34:35]
                                        ; implicit-def: $vgpr0
.LBB6_1613:                             ;   in Loop: Header=BB6_136 Depth=3
	s_andn2_saveexec_b64 s[26:27], s[30:31]
	s_cbranch_execz .LBB6_1615
; %bb.1614:                             ;   in Loop: Header=BB6_136 Depth=3
	v_or_b32_e32 v0, 0x7e, v0
	buffer_store_dword v0, off, s[0:3], s33 offset:484 ; 4-byte Folded Spill
.LBB6_1615:                             ;   in Loop: Header=BB6_136 Depth=3
	s_or_b64 exec, exec, s[26:27]
                                        ; implicit-def: $vgpr1
.LBB6_1616:                             ;   in Loop: Header=BB6_136 Depth=3
	s_andn2_saveexec_b64 s[26:27], s[94:95]
	s_cbranch_execz .LBB6_1618
; %bb.1617:                             ;   in Loop: Header=BB6_136 Depth=3
	v_or_b32_sdwa v0, v1, s86 dst_sel:DWORD dst_unused:UNUSED_PAD src0_sel:BYTE_3 src1_sel:DWORD
	buffer_store_dword v0, off, s[0:3], s33 offset:484 ; 4-byte Folded Spill
.LBB6_1618:                             ;   in Loop: Header=BB6_136 Depth=3
	s_or_b64 exec, exec, s[26:27]
	v_cmp_lt_u32_e32 vcc, s57, v8
	v_mov_b32_e32 v0, 0
	s_and_saveexec_b64 s[26:27], vcc
	s_cbranch_execz .LBB6_1624
; %bb.1619:                             ;   in Loop: Header=BB6_136 Depth=3
	v_lshrrev_b32_e32 v14, 24, v8
	v_cmp_ne_u32_e32 vcc, s96, v14
	v_bfrev_b32_e32 v0, 1
	s_and_saveexec_b64 s[94:95], vcc
	s_cbranch_execz .LBB6_1623
; %bb.1620:                             ;   in Loop: Header=BB6_136 Depth=3
	v_bfe_u32 v1, v8, 24, 7
	v_cmp_ne_u32_e32 vcc, s86, v1
	v_mov_b32_e32 v0, 0x7f800001
	s_and_saveexec_b64 s[30:31], vcc
	s_cbranch_execz .LBB6_1622
; %bb.1621:                             ;   in Loop: Header=BB6_136 Depth=3
	v_and_b32_e32 v2, 7, v14
	v_ffbh_u32_e32 v0, v2
	v_min_u32_e32 v4, 32, v0
	v_subrev_u32_e32 v0, 28, v4
	v_lshrrev_b32_e32 v3, 3, v1
	v_cmp_gt_u32_e32 vcc, 8, v1
	v_lshlrev_b64 v[0:1], v0, v[14:15]
	v_sub_u32_e32 v1, 29, v4
	v_and_b32_e32 v0, 7, v0
	v_cndmask_b32_e32 v1, v3, v1, vcc
	v_cndmask_b32_e32 v0, v2, v0, vcc
	v_lshlrev_b32_e32 v2, 24, v14
	v_bfrev_b32_e32 v3, 60
	v_lshlrev_b32_e32 v0, 20, v0
	v_and_b32_e32 v2, 0x80000000, v2
	v_lshl_add_u32 v1, v1, 23, v3
	v_or3_b32 v0, v2, v1, v0
.LBB6_1622:                             ;   in Loop: Header=BB6_136 Depth=3
	s_or_b64 exec, exec, s[30:31]
.LBB6_1623:                             ;   in Loop: Header=BB6_136 Depth=3
	s_or_b64 exec, exec, s[94:95]
.LBB6_1624:                             ;   in Loop: Header=BB6_136 Depth=3
	s_or_b64 exec, exec, s[26:27]
	v_mul_f32_e32 v1, v18, v0
	v_and_b32_e32 v2, 0x7f800000, v1
	v_mov_b32_e32 v3, v51
	v_cmp_ne_u64_e32 vcc, s[76:77], v[2:3]
                                        ; implicit-def: $vgpr0
                                        ; kill: killed $vgpr0
	s_and_saveexec_b64 s[26:27], vcc
	s_xor_b64 s[94:95], exec, s[26:27]
	s_cbranch_execz .LBB6_1638
; %bb.1625:                             ;   in Loop: Header=BB6_136 Depth=3
	v_and_b32_e32 v2, 0x7fffffff, v1
	v_mov_b32_e32 v3, v51
	v_cmp_gt_u64_e32 vcc, s[78:79], v[2:3]
	v_and_b32_sdwa v0, v1, s96 dst_sel:DWORD dst_unused:UNUSED_PAD src0_sel:BYTE_3 src1_sel:DWORD
                                        ; implicit-def: $vgpr2
                                        ; kill: killed $vgpr2
	s_and_saveexec_b64 s[26:27], vcc
	s_xor_b64 s[30:31], exec, s[26:27]
	s_cbranch_execz .LBB6_1635
; %bb.1626:                             ;   in Loop: Header=BB6_136 Depth=3
	v_mov_b32_e32 v2, 0
	v_cmp_ne_u32_e32 vcc, 0, v1
	buffer_store_dword v2, off, s[0:3], s33 offset:488 ; 4-byte Folded Spill
	s_and_saveexec_b64 s[34:35], vcc
	s_cbranch_execz .LBB6_1634
; %bb.1627:                             ;   in Loop: Header=BB6_136 Depth=3
	v_and_b32_e32 v3, 0x7fffff, v1
	v_bfe_u32 v1, v1, 23, 8
	v_cmp_gt_u32_e64 s[26:27], s97, v1
	v_sub_u32_e32 v2, 0x79, v1
	v_cmp_eq_u32_e32 vcc, 0, v1
	v_cndmask_b32_e64 v2, 0, v2, s[26:27]
	v_mov_b32_e32 v5, 0x78
	v_cndmask_b32_e32 v2, v2, v5, vcc
	v_add_u32_e32 v5, 20, v2
	v_or_b32_e32 v4, 0x800000, v3
	v_lshlrev_b64 v[5:6], v5, -1
	v_add_u32_e32 v7, 19, v2
	v_cndmask_b32_e32 v3, v4, v3, vcc
	v_lshlrev_b64 v[14:15], v7, 1
	v_mov_b32_e32 v4, v51
	v_bfi_b32 v6, v6, 0, 0
	v_bfi_b32 v5, v5, 0, v3
	v_cmp_eq_u64_e64 s[26:27], v[5:6], v[14:15]
	v_lshrrev_b64 v[14:15], v2, v[3:4]
	v_mov_b32_e32 v16, v15
	v_mov_b32_e32 v15, v14
	s_and_saveexec_b64 s[36:37], s[26:27]
; %bb.1628:                             ;   in Loop: Header=BB6_136 Depth=3
	v_bfe_u32 v3, v14, 20, 1
	v_add_co_u32_e64 v3, s[26:27], v14, v3
	v_add_co_u32_e64 v15, s[26:27], -1, v3
; %bb.1629:                             ;   in Loop: Header=BB6_136 Depth=3
	s_or_b64 exec, exec, s[36:37]
	v_add_u32_e32 v1, 0xffffff81, v1
	v_mov_b32_e32 v3, 0xffffff82
	v_cndmask_b32_e32 v1, v1, v3, vcc
	v_lshrrev_b32_e32 v3, 23, v14
	v_add3_u32 v3, v2, v1, v3
	v_add_u32_e32 v2, 6, v3
	v_and_b32_e32 v1, 0xfffff, v15
	v_add_u32_e32 v14, v1, v14
	v_mov_b32_e32 v15, v51
	v_cmp_ne_u32_e32 vcc, 0, v2
                                        ; implicit-def: $vgpr1
	s_and_saveexec_b64 s[26:27], vcc
	s_xor_b64 s[26:27], exec, s[26:27]
; %bb.1630:                             ;   in Loop: Header=BB6_136 Depth=3
	v_cmp_lt_u64_e32 vcc, s[88:89], v[14:15]
	v_add_u32_e32 v1, 7, v3
	v_cndmask_b32_e32 v1, v2, v1, vcc
	v_cndmask_b32_e64 v2, 0, 1, vcc
	v_lshrrev_b64 v[14:15], v2, v[14:15]
; %bb.1631:                             ;   in Loop: Header=BB6_136 Depth=3
	s_andn2_saveexec_b64 s[26:27], s[26:27]
; %bb.1632:                             ;   in Loop: Header=BB6_136 Depth=3
	v_bfe_u32 v1, v14, 23, 1
; %bb.1633:                             ;   in Loop: Header=BB6_136 Depth=3
	s_or_b64 exec, exec, s[26:27]
	v_lshrrev_b64 v[2:3], 20, v[14:15]
	v_cmp_gt_i32_e32 vcc, 16, v1
	v_cndmask_b32_e32 v3, 0, v3, vcc
	v_cndmask_b32_e32 v2, 7, v2, vcc
	v_cmp_eq_u32_e32 vcc, 0, v1
	v_min_i32_e32 v1, 15, v1
	v_cmp_eq_u64_e64 s[26:27], 0, v[2:3]
	v_lshlrev_b32_e32 v1, 3, v1
	v_and_b32_e32 v1, 0xf8, v1
	v_and_or_b32 v1, v2, 7, v1
	s_and_b64 s[26:27], vcc, s[26:27]
	v_cndmask_b32_e64 v1, v1, 0, s[26:27]
	v_or_b32_e32 v0, v1, v0
	buffer_store_dword v0, off, s[0:3], s33 offset:488 ; 4-byte Folded Spill
.LBB6_1634:                             ;   in Loop: Header=BB6_136 Depth=3
	s_or_b64 exec, exec, s[34:35]
                                        ; implicit-def: $vgpr0
.LBB6_1635:                             ;   in Loop: Header=BB6_136 Depth=3
	s_andn2_saveexec_b64 s[26:27], s[30:31]
	s_cbranch_execz .LBB6_1637
; %bb.1636:                             ;   in Loop: Header=BB6_136 Depth=3
	v_or_b32_e32 v0, 0x7e, v0
	buffer_store_dword v0, off, s[0:3], s33 offset:488 ; 4-byte Folded Spill
.LBB6_1637:                             ;   in Loop: Header=BB6_136 Depth=3
	s_or_b64 exec, exec, s[26:27]
                                        ; implicit-def: $vgpr1
.LBB6_1638:                             ;   in Loop: Header=BB6_136 Depth=3
	s_andn2_saveexec_b64 s[26:27], s[94:95]
	s_cbranch_execz .LBB6_1640
; %bb.1639:                             ;   in Loop: Header=BB6_136 Depth=3
	v_or_b32_sdwa v0, v1, s86 dst_sel:DWORD dst_unused:UNUSED_PAD src0_sel:BYTE_3 src1_sel:DWORD
	buffer_store_dword v0, off, s[0:3], s33 offset:488 ; 4-byte Folded Spill
.LBB6_1640:                             ;   in Loop: Header=BB6_136 Depth=3
	s_or_b64 exec, exec, s[26:27]
	v_mov_b32_e32 v14, v9
	v_mov_b32_e32 v15, v51
	v_cmp_ne_u16_sdwa s[94:95], v9, v51 src0_sel:BYTE_0 src1_sel:DWORD
	v_mov_b32_e32 v0, 0
	s_and_saveexec_b64 s[26:27], s[94:95]
	s_cbranch_execz .LBB6_1646
; %bb.1641:                             ;   in Loop: Header=BB6_136 Depth=3
	v_cmp_ne_u16_sdwa vcc, v9, s96 src0_sel:BYTE_0 src1_sel:DWORD
	v_bfrev_b32_e32 v0, 1
	s_and_saveexec_b64 s[94:95], vcc
	s_cbranch_execz .LBB6_1645
; %bb.1642:                             ;   in Loop: Header=BB6_136 Depth=3
	v_and_b32_e32 v1, 0x7f, v9
	v_cmp_ne_u32_e32 vcc, s86, v1
	v_mov_b32_e32 v0, 0x7f800001
	s_and_saveexec_b64 s[30:31], vcc
	s_cbranch_execz .LBB6_1644
; %bb.1643:                             ;   in Loop: Header=BB6_136 Depth=3
	v_and_b32_e32 v0, 7, v9
	v_ffbh_u32_e32 v0, v0
	v_min_u32_e32 v0, 32, v0
	v_lshrrev_b32_e32 v2, 3, v1
	v_cmp_gt_u32_e32 vcc, 8, v1
	v_subrev_u32_e32 v1, 28, v0
	v_sub_u32_e32 v0, 29, v0
	v_cndmask_b32_e32 v2, v2, v0, vcc
	v_cndmask_b32_e32 v0, 0, v1, vcc
	v_lshlrev_b64 v[0:1], v0, v[14:15]
	v_lshlrev_b32_e32 v1, 24, v14
	v_lshlrev_b32_e32 v0, 20, v0
	v_bfrev_b32_e32 v3, 60
	v_and_b32_e32 v0, 0x700000, v0
	v_and_b32_e32 v1, 0x80000000, v1
	v_lshl_add_u32 v2, v2, 23, v3
	v_or3_b32 v0, v1, v2, v0
.LBB6_1644:                             ;   in Loop: Header=BB6_136 Depth=3
	s_or_b64 exec, exec, s[30:31]
.LBB6_1645:                             ;   in Loop: Header=BB6_136 Depth=3
	s_or_b64 exec, exec, s[94:95]
.LBB6_1646:                             ;   in Loop: Header=BB6_136 Depth=3
	s_or_b64 exec, exec, s[26:27]
	v_mul_f32_e32 v1, v18, v0
	v_and_b32_e32 v2, 0x7f800000, v1
	v_mov_b32_e32 v3, v51
	v_cmp_ne_u64_e32 vcc, s[76:77], v[2:3]
                                        ; implicit-def: $vgpr0
                                        ; kill: killed $vgpr0
	s_and_saveexec_b64 s[26:27], vcc
	s_xor_b64 s[94:95], exec, s[26:27]
	s_cbranch_execz .LBB6_1660
; %bb.1647:                             ;   in Loop: Header=BB6_136 Depth=3
	v_and_b32_e32 v2, 0x7fffffff, v1
	v_mov_b32_e32 v3, v51
	v_cmp_gt_u64_e32 vcc, s[78:79], v[2:3]
	v_and_b32_sdwa v0, v1, s96 dst_sel:DWORD dst_unused:UNUSED_PAD src0_sel:BYTE_3 src1_sel:DWORD
                                        ; implicit-def: $vgpr2
                                        ; kill: killed $vgpr2
	s_and_saveexec_b64 s[26:27], vcc
	s_xor_b64 s[30:31], exec, s[26:27]
	s_cbranch_execz .LBB6_1657
; %bb.1648:                             ;   in Loop: Header=BB6_136 Depth=3
	v_mov_b32_e32 v2, 0
	v_cmp_ne_u32_e32 vcc, 0, v1
	buffer_store_dword v2, off, s[0:3], s33 offset:492 ; 4-byte Folded Spill
	s_and_saveexec_b64 s[34:35], vcc
	s_cbranch_execz .LBB6_1656
; %bb.1649:                             ;   in Loop: Header=BB6_136 Depth=3
	v_and_b32_e32 v3, 0x7fffff, v1
	v_bfe_u32 v1, v1, 23, 8
	v_cmp_gt_u32_e64 s[26:27], s97, v1
	v_sub_u32_e32 v2, 0x79, v1
	v_cmp_eq_u32_e32 vcc, 0, v1
	v_cndmask_b32_e64 v2, 0, v2, s[26:27]
	v_mov_b32_e32 v5, 0x78
	v_cndmask_b32_e32 v2, v2, v5, vcc
	v_add_u32_e32 v5, 20, v2
	v_or_b32_e32 v4, 0x800000, v3
	v_lshlrev_b64 v[5:6], v5, -1
	v_add_u32_e32 v7, 19, v2
	v_cndmask_b32_e32 v3, v4, v3, vcc
	v_lshlrev_b64 v[15:16], v7, 1
	v_mov_b32_e32 v4, v51
	v_bfi_b32 v6, v6, 0, 0
	v_bfi_b32 v5, v5, 0, v3
	v_cmp_eq_u64_e64 s[26:27], v[5:6], v[15:16]
	v_lshrrev_b64 v[15:16], v2, v[3:4]
	v_mov_b32_e32 v17, v16
	v_mov_b32_e32 v16, v15
	s_and_saveexec_b64 s[36:37], s[26:27]
; %bb.1650:                             ;   in Loop: Header=BB6_136 Depth=3
	v_bfe_u32 v3, v15, 20, 1
	v_add_co_u32_e64 v3, s[26:27], v15, v3
	v_add_co_u32_e64 v16, s[26:27], -1, v3
; %bb.1651:                             ;   in Loop: Header=BB6_136 Depth=3
	s_or_b64 exec, exec, s[36:37]
	v_add_u32_e32 v1, 0xffffff81, v1
	v_mov_b32_e32 v3, 0xffffff82
	v_cndmask_b32_e32 v1, v1, v3, vcc
	v_lshrrev_b32_e32 v3, 23, v15
	v_add3_u32 v3, v2, v1, v3
	v_add_u32_e32 v2, 6, v3
	v_and_b32_e32 v1, 0xfffff, v16
	v_add_u32_e32 v15, v1, v15
	v_mov_b32_e32 v16, v51
	v_cmp_ne_u32_e32 vcc, 0, v2
                                        ; implicit-def: $vgpr1
	s_and_saveexec_b64 s[26:27], vcc
	s_xor_b64 s[26:27], exec, s[26:27]
; %bb.1652:                             ;   in Loop: Header=BB6_136 Depth=3
	v_cmp_lt_u64_e32 vcc, s[88:89], v[15:16]
	v_add_u32_e32 v1, 7, v3
	v_cndmask_b32_e32 v1, v2, v1, vcc
	v_cndmask_b32_e64 v2, 0, 1, vcc
	v_lshrrev_b64 v[15:16], v2, v[15:16]
; %bb.1653:                             ;   in Loop: Header=BB6_136 Depth=3
	s_andn2_saveexec_b64 s[26:27], s[26:27]
; %bb.1654:                             ;   in Loop: Header=BB6_136 Depth=3
	v_bfe_u32 v1, v15, 23, 1
; %bb.1655:                             ;   in Loop: Header=BB6_136 Depth=3
	s_or_b64 exec, exec, s[26:27]
	v_lshrrev_b64 v[2:3], 20, v[15:16]
	v_cmp_gt_i32_e32 vcc, 16, v1
	v_cndmask_b32_e32 v3, 0, v3, vcc
	v_cndmask_b32_e32 v2, 7, v2, vcc
	v_cmp_eq_u32_e32 vcc, 0, v1
	v_min_i32_e32 v1, 15, v1
	v_cmp_eq_u64_e64 s[26:27], 0, v[2:3]
	v_lshlrev_b32_e32 v1, 3, v1
	v_and_b32_e32 v1, 0xf8, v1
	v_and_or_b32 v1, v2, 7, v1
	s_and_b64 s[26:27], vcc, s[26:27]
	v_cndmask_b32_e64 v1, v1, 0, s[26:27]
	v_or_b32_e32 v0, v1, v0
	buffer_store_dword v0, off, s[0:3], s33 offset:492 ; 4-byte Folded Spill
.LBB6_1656:                             ;   in Loop: Header=BB6_136 Depth=3
	s_or_b64 exec, exec, s[34:35]
                                        ; implicit-def: $vgpr0
.LBB6_1657:                             ;   in Loop: Header=BB6_136 Depth=3
	s_andn2_saveexec_b64 s[26:27], s[30:31]
	s_cbranch_execz .LBB6_1659
; %bb.1658:                             ;   in Loop: Header=BB6_136 Depth=3
	v_or_b32_e32 v0, 0x7e, v0
	buffer_store_dword v0, off, s[0:3], s33 offset:492 ; 4-byte Folded Spill
.LBB6_1659:                             ;   in Loop: Header=BB6_136 Depth=3
	s_or_b64 exec, exec, s[26:27]
                                        ; implicit-def: $vgpr1
.LBB6_1660:                             ;   in Loop: Header=BB6_136 Depth=3
	s_andn2_saveexec_b64 s[26:27], s[94:95]
	s_cbranch_execz .LBB6_1662
; %bb.1661:                             ;   in Loop: Header=BB6_136 Depth=3
	v_or_b32_sdwa v0, v1, s86 dst_sel:DWORD dst_unused:UNUSED_PAD src0_sel:BYTE_3 src1_sel:DWORD
	buffer_store_dword v0, off, s[0:3], s33 offset:492 ; 4-byte Folded Spill
.LBB6_1662:                             ;   in Loop: Header=BB6_136 Depth=3
	s_or_b64 exec, exec, s[26:27]
	v_lshrrev_b16_e32 v15, 8, v14
	v_cmp_ne_u16_e32 vcc, 0, v15
	v_mov_b32_e32 v0, 0
	s_and_saveexec_b64 s[26:27], vcc
	s_cbranch_execz .LBB6_1668
; %bb.1663:                             ;   in Loop: Header=BB6_136 Depth=3
	v_cmp_ne_u16_e32 vcc, s96, v15
	v_bfrev_b32_e32 v0, 1
	s_and_saveexec_b64 s[94:95], vcc
	s_cbranch_execz .LBB6_1667
; %bb.1664:                             ;   in Loop: Header=BB6_136 Depth=3
	v_and_b32_e32 v1, 0x7f, v15
	v_cmp_ne_u32_e32 vcc, s86, v1
	v_mov_b32_e32 v0, 0x7f800001
	s_and_saveexec_b64 s[30:31], vcc
	s_cbranch_execz .LBB6_1666
; %bb.1665:                             ;   in Loop: Header=BB6_136 Depth=3
	v_and_b32_e32 v2, 7, v15
	v_ffbh_u32_e32 v0, v2
	v_min_u32_e32 v4, 32, v0
	v_subrev_u32_e32 v0, 28, v4
	v_lshrrev_b32_e32 v3, 3, v1
	v_cmp_gt_u32_e32 vcc, 8, v1
	v_lshlrev_b64 v[0:1], v0, v[15:16]
	v_sub_u32_e32 v1, 29, v4
	v_and_b32_e32 v0, 7, v0
	v_cndmask_b32_e32 v1, v3, v1, vcc
	v_cndmask_b32_e32 v0, v2, v0, vcc
	v_lshlrev_b32_e32 v2, 16, v14
	v_bfrev_b32_e32 v3, 60
	v_lshlrev_b32_e32 v0, 20, v0
	v_and_b32_e32 v2, 0x80000000, v2
	v_lshl_add_u32 v1, v1, 23, v3
	v_or3_b32 v0, v2, v1, v0
.LBB6_1666:                             ;   in Loop: Header=BB6_136 Depth=3
	s_or_b64 exec, exec, s[30:31]
.LBB6_1667:                             ;   in Loop: Header=BB6_136 Depth=3
	s_or_b64 exec, exec, s[94:95]
.LBB6_1668:                             ;   in Loop: Header=BB6_136 Depth=3
	s_or_b64 exec, exec, s[26:27]
	v_mul_f32_e32 v1, v18, v0
	v_and_b32_e32 v2, 0x7f800000, v1
	v_mov_b32_e32 v3, v51
	v_cmp_ne_u64_e32 vcc, s[76:77], v[2:3]
                                        ; implicit-def: $vgpr0
                                        ; kill: killed $vgpr0
	s_and_saveexec_b64 s[26:27], vcc
	s_xor_b64 s[94:95], exec, s[26:27]
	s_cbranch_execz .LBB6_1682
; %bb.1669:                             ;   in Loop: Header=BB6_136 Depth=3
	v_and_b32_e32 v2, 0x7fffffff, v1
	v_mov_b32_e32 v3, v51
	v_cmp_gt_u64_e32 vcc, s[78:79], v[2:3]
	v_and_b32_sdwa v0, v1, s96 dst_sel:DWORD dst_unused:UNUSED_PAD src0_sel:BYTE_3 src1_sel:DWORD
                                        ; implicit-def: $vgpr2
                                        ; kill: killed $vgpr2
	s_and_saveexec_b64 s[26:27], vcc
	s_xor_b64 s[30:31], exec, s[26:27]
	s_cbranch_execz .LBB6_1679
; %bb.1670:                             ;   in Loop: Header=BB6_136 Depth=3
	v_mov_b32_e32 v2, 0
	v_cmp_ne_u32_e32 vcc, 0, v1
	buffer_store_dword v2, off, s[0:3], s33 offset:496 ; 4-byte Folded Spill
	s_and_saveexec_b64 s[34:35], vcc
	s_cbranch_execz .LBB6_1678
; %bb.1671:                             ;   in Loop: Header=BB6_136 Depth=3
	v_and_b32_e32 v3, 0x7fffff, v1
	v_bfe_u32 v1, v1, 23, 8
	v_cmp_gt_u32_e64 s[26:27], s97, v1
	v_sub_u32_e32 v2, 0x79, v1
	v_cmp_eq_u32_e32 vcc, 0, v1
	v_cndmask_b32_e64 v2, 0, v2, s[26:27]
	v_mov_b32_e32 v5, 0x78
	v_cndmask_b32_e32 v2, v2, v5, vcc
	v_add_u32_e32 v5, 20, v2
	v_or_b32_e32 v4, 0x800000, v3
	v_lshlrev_b64 v[5:6], v5, -1
	v_add_u32_e32 v7, 19, v2
	v_cndmask_b32_e32 v3, v4, v3, vcc
	v_lshlrev_b64 v[14:15], v7, 1
	v_mov_b32_e32 v4, v51
	v_bfi_b32 v6, v6, 0, 0
	v_bfi_b32 v5, v5, 0, v3
	v_cmp_eq_u64_e64 s[26:27], v[5:6], v[14:15]
	v_lshrrev_b64 v[14:15], v2, v[3:4]
	v_mov_b32_e32 v16, v15
	v_mov_b32_e32 v15, v14
	s_and_saveexec_b64 s[36:37], s[26:27]
; %bb.1672:                             ;   in Loop: Header=BB6_136 Depth=3
	v_bfe_u32 v3, v14, 20, 1
	v_add_co_u32_e64 v3, s[26:27], v14, v3
	v_add_co_u32_e64 v15, s[26:27], -1, v3
; %bb.1673:                             ;   in Loop: Header=BB6_136 Depth=3
	s_or_b64 exec, exec, s[36:37]
	v_add_u32_e32 v1, 0xffffff81, v1
	v_mov_b32_e32 v3, 0xffffff82
	v_cndmask_b32_e32 v1, v1, v3, vcc
	v_lshrrev_b32_e32 v3, 23, v14
	v_add3_u32 v3, v2, v1, v3
	v_add_u32_e32 v2, 6, v3
	v_and_b32_e32 v1, 0xfffff, v15
	v_add_u32_e32 v14, v1, v14
	v_mov_b32_e32 v15, v51
	v_cmp_ne_u32_e32 vcc, 0, v2
                                        ; implicit-def: $vgpr1
	s_and_saveexec_b64 s[26:27], vcc
	s_xor_b64 s[26:27], exec, s[26:27]
; %bb.1674:                             ;   in Loop: Header=BB6_136 Depth=3
	v_cmp_lt_u64_e32 vcc, s[88:89], v[14:15]
	v_add_u32_e32 v1, 7, v3
	v_cndmask_b32_e32 v1, v2, v1, vcc
	v_cndmask_b32_e64 v2, 0, 1, vcc
	v_lshrrev_b64 v[14:15], v2, v[14:15]
; %bb.1675:                             ;   in Loop: Header=BB6_136 Depth=3
	s_andn2_saveexec_b64 s[26:27], s[26:27]
; %bb.1676:                             ;   in Loop: Header=BB6_136 Depth=3
	v_bfe_u32 v1, v14, 23, 1
; %bb.1677:                             ;   in Loop: Header=BB6_136 Depth=3
	s_or_b64 exec, exec, s[26:27]
	v_lshrrev_b64 v[2:3], 20, v[14:15]
	v_cmp_gt_i32_e32 vcc, 16, v1
	v_cndmask_b32_e32 v3, 0, v3, vcc
	v_cndmask_b32_e32 v2, 7, v2, vcc
	v_cmp_eq_u32_e32 vcc, 0, v1
	v_min_i32_e32 v1, 15, v1
	v_cmp_eq_u64_e64 s[26:27], 0, v[2:3]
	v_lshlrev_b32_e32 v1, 3, v1
	v_and_b32_e32 v1, 0xf8, v1
	v_and_or_b32 v1, v2, 7, v1
	s_and_b64 s[26:27], vcc, s[26:27]
	v_cndmask_b32_e64 v1, v1, 0, s[26:27]
	v_or_b32_e32 v0, v1, v0
	buffer_store_dword v0, off, s[0:3], s33 offset:496 ; 4-byte Folded Spill
.LBB6_1678:                             ;   in Loop: Header=BB6_136 Depth=3
	s_or_b64 exec, exec, s[34:35]
                                        ; implicit-def: $vgpr0
.LBB6_1679:                             ;   in Loop: Header=BB6_136 Depth=3
	s_andn2_saveexec_b64 s[26:27], s[30:31]
	s_cbranch_execz .LBB6_1681
; %bb.1680:                             ;   in Loop: Header=BB6_136 Depth=3
	v_or_b32_e32 v0, 0x7e, v0
	buffer_store_dword v0, off, s[0:3], s33 offset:496 ; 4-byte Folded Spill
.LBB6_1681:                             ;   in Loop: Header=BB6_136 Depth=3
	s_or_b64 exec, exec, s[26:27]
                                        ; implicit-def: $vgpr1
.LBB6_1682:                             ;   in Loop: Header=BB6_136 Depth=3
	s_andn2_saveexec_b64 s[26:27], s[94:95]
	s_cbranch_execz .LBB6_1684
; %bb.1683:                             ;   in Loop: Header=BB6_136 Depth=3
	v_or_b32_sdwa v0, v1, s86 dst_sel:DWORD dst_unused:UNUSED_PAD src0_sel:BYTE_3 src1_sel:DWORD
	buffer_store_dword v0, off, s[0:3], s33 offset:496 ; 4-byte Folded Spill
.LBB6_1684:                             ;   in Loop: Header=BB6_136 Depth=3
	s_or_b64 exec, exec, s[26:27]
	v_lshrrev_b32_e32 v14, 16, v9
	v_cmp_ne_u16_sdwa s[94:95], v14, v51 src0_sel:BYTE_0 src1_sel:DWORD
	v_mov_b32_e32 v0, 0
	s_and_saveexec_b64 s[26:27], s[94:95]
	s_cbranch_execz .LBB6_1690
; %bb.1685:                             ;   in Loop: Header=BB6_136 Depth=3
	v_cmp_ne_u16_sdwa vcc, v14, s96 src0_sel:BYTE_0 src1_sel:DWORD
	v_bfrev_b32_e32 v0, 1
	s_and_saveexec_b64 s[94:95], vcc
	s_cbranch_execz .LBB6_1689
; %bb.1686:                             ;   in Loop: Header=BB6_136 Depth=3
	v_bfe_u32 v1, v9, 16, 7
	v_cmp_ne_u32_e32 vcc, s86, v1
	v_mov_b32_e32 v0, 0x7f800001
	s_and_saveexec_b64 s[30:31], vcc
	s_cbranch_execz .LBB6_1688
; %bb.1687:                             ;   in Loop: Header=BB6_136 Depth=3
	v_and_b32_e32 v2, 7, v14
	v_ffbh_u32_e32 v0, v2
	v_min_u32_e32 v4, 32, v0
	v_subrev_u32_e32 v0, 28, v4
	v_lshrrev_b32_e32 v3, 3, v1
	v_cmp_gt_u32_e32 vcc, 8, v1
	v_lshlrev_b64 v[0:1], v0, v[14:15]
	v_sub_u32_e32 v1, 29, v4
	v_and_b32_e32 v0, 7, v0
	v_cndmask_b32_e32 v1, v3, v1, vcc
	v_cndmask_b32_e32 v0, v2, v0, vcc
	v_lshlrev_b32_e32 v2, 24, v14
	v_bfrev_b32_e32 v3, 60
	v_lshlrev_b32_e32 v0, 20, v0
	v_and_b32_e32 v2, 0x80000000, v2
	v_lshl_add_u32 v1, v1, 23, v3
	v_or3_b32 v0, v2, v1, v0
.LBB6_1688:                             ;   in Loop: Header=BB6_136 Depth=3
	s_or_b64 exec, exec, s[30:31]
.LBB6_1689:                             ;   in Loop: Header=BB6_136 Depth=3
	s_or_b64 exec, exec, s[94:95]
.LBB6_1690:                             ;   in Loop: Header=BB6_136 Depth=3
	s_or_b64 exec, exec, s[26:27]
	v_mul_f32_e32 v1, v18, v0
	v_and_b32_e32 v2, 0x7f800000, v1
	v_mov_b32_e32 v3, v51
	v_cmp_ne_u64_e32 vcc, s[76:77], v[2:3]
                                        ; implicit-def: $vgpr0
                                        ; kill: killed $vgpr0
	s_and_saveexec_b64 s[26:27], vcc
	s_xor_b64 s[94:95], exec, s[26:27]
	s_cbranch_execz .LBB6_1704
; %bb.1691:                             ;   in Loop: Header=BB6_136 Depth=3
	v_and_b32_e32 v2, 0x7fffffff, v1
	v_mov_b32_e32 v3, v51
	v_cmp_gt_u64_e32 vcc, s[78:79], v[2:3]
	v_and_b32_sdwa v0, v1, s96 dst_sel:DWORD dst_unused:UNUSED_PAD src0_sel:BYTE_3 src1_sel:DWORD
                                        ; implicit-def: $vgpr2
                                        ; kill: killed $vgpr2
	s_and_saveexec_b64 s[26:27], vcc
	s_xor_b64 s[30:31], exec, s[26:27]
	s_cbranch_execz .LBB6_1701
; %bb.1692:                             ;   in Loop: Header=BB6_136 Depth=3
	v_mov_b32_e32 v2, 0
	v_cmp_ne_u32_e32 vcc, 0, v1
	buffer_store_dword v2, off, s[0:3], s33 offset:500 ; 4-byte Folded Spill
	s_and_saveexec_b64 s[34:35], vcc
	s_cbranch_execz .LBB6_1700
; %bb.1693:                             ;   in Loop: Header=BB6_136 Depth=3
	v_and_b32_e32 v3, 0x7fffff, v1
	v_bfe_u32 v1, v1, 23, 8
	v_cmp_gt_u32_e64 s[26:27], s97, v1
	v_sub_u32_e32 v2, 0x79, v1
	v_cmp_eq_u32_e32 vcc, 0, v1
	v_cndmask_b32_e64 v2, 0, v2, s[26:27]
	v_mov_b32_e32 v5, 0x78
	v_cndmask_b32_e32 v2, v2, v5, vcc
	v_add_u32_e32 v5, 20, v2
	v_or_b32_e32 v4, 0x800000, v3
	v_lshlrev_b64 v[5:6], v5, -1
	v_add_u32_e32 v7, 19, v2
	v_cndmask_b32_e32 v3, v4, v3, vcc
	v_lshlrev_b64 v[14:15], v7, 1
	v_mov_b32_e32 v4, v51
	v_bfi_b32 v6, v6, 0, 0
	v_bfi_b32 v5, v5, 0, v3
	v_cmp_eq_u64_e64 s[26:27], v[5:6], v[14:15]
	v_lshrrev_b64 v[14:15], v2, v[3:4]
	v_mov_b32_e32 v16, v15
	v_mov_b32_e32 v15, v14
	s_and_saveexec_b64 s[36:37], s[26:27]
; %bb.1694:                             ;   in Loop: Header=BB6_136 Depth=3
	v_bfe_u32 v3, v14, 20, 1
	v_add_co_u32_e64 v3, s[26:27], v14, v3
	v_add_co_u32_e64 v15, s[26:27], -1, v3
; %bb.1695:                             ;   in Loop: Header=BB6_136 Depth=3
	s_or_b64 exec, exec, s[36:37]
	v_add_u32_e32 v1, 0xffffff81, v1
	v_mov_b32_e32 v3, 0xffffff82
	v_cndmask_b32_e32 v1, v1, v3, vcc
	v_lshrrev_b32_e32 v3, 23, v14
	v_add3_u32 v3, v2, v1, v3
	v_add_u32_e32 v2, 6, v3
	v_and_b32_e32 v1, 0xfffff, v15
	v_add_u32_e32 v14, v1, v14
	v_mov_b32_e32 v15, v51
	v_cmp_ne_u32_e32 vcc, 0, v2
                                        ; implicit-def: $vgpr1
	s_and_saveexec_b64 s[26:27], vcc
	s_xor_b64 s[26:27], exec, s[26:27]
; %bb.1696:                             ;   in Loop: Header=BB6_136 Depth=3
	v_cmp_lt_u64_e32 vcc, s[88:89], v[14:15]
	v_add_u32_e32 v1, 7, v3
	v_cndmask_b32_e32 v1, v2, v1, vcc
	v_cndmask_b32_e64 v2, 0, 1, vcc
	v_lshrrev_b64 v[14:15], v2, v[14:15]
; %bb.1697:                             ;   in Loop: Header=BB6_136 Depth=3
	s_andn2_saveexec_b64 s[26:27], s[26:27]
; %bb.1698:                             ;   in Loop: Header=BB6_136 Depth=3
	v_bfe_u32 v1, v14, 23, 1
; %bb.1699:                             ;   in Loop: Header=BB6_136 Depth=3
	s_or_b64 exec, exec, s[26:27]
	v_lshrrev_b64 v[2:3], 20, v[14:15]
	v_cmp_gt_i32_e32 vcc, 16, v1
	v_cndmask_b32_e32 v3, 0, v3, vcc
	v_cndmask_b32_e32 v2, 7, v2, vcc
	v_cmp_eq_u32_e32 vcc, 0, v1
	v_min_i32_e32 v1, 15, v1
	v_cmp_eq_u64_e64 s[26:27], 0, v[2:3]
	v_lshlrev_b32_e32 v1, 3, v1
	v_and_b32_e32 v1, 0xf8, v1
	v_and_or_b32 v1, v2, 7, v1
	s_and_b64 s[26:27], vcc, s[26:27]
	v_cndmask_b32_e64 v1, v1, 0, s[26:27]
	v_or_b32_e32 v0, v1, v0
	buffer_store_dword v0, off, s[0:3], s33 offset:500 ; 4-byte Folded Spill
.LBB6_1700:                             ;   in Loop: Header=BB6_136 Depth=3
	s_or_b64 exec, exec, s[34:35]
                                        ; implicit-def: $vgpr0
.LBB6_1701:                             ;   in Loop: Header=BB6_136 Depth=3
	s_andn2_saveexec_b64 s[26:27], s[30:31]
	s_cbranch_execz .LBB6_1703
; %bb.1702:                             ;   in Loop: Header=BB6_136 Depth=3
	v_or_b32_e32 v0, 0x7e, v0
	buffer_store_dword v0, off, s[0:3], s33 offset:500 ; 4-byte Folded Spill
.LBB6_1703:                             ;   in Loop: Header=BB6_136 Depth=3
	s_or_b64 exec, exec, s[26:27]
                                        ; implicit-def: $vgpr1
.LBB6_1704:                             ;   in Loop: Header=BB6_136 Depth=3
	s_andn2_saveexec_b64 s[26:27], s[94:95]
	s_cbranch_execz .LBB6_1706
; %bb.1705:                             ;   in Loop: Header=BB6_136 Depth=3
	v_or_b32_sdwa v0, v1, s86 dst_sel:DWORD dst_unused:UNUSED_PAD src0_sel:BYTE_3 src1_sel:DWORD
	buffer_store_dword v0, off, s[0:3], s33 offset:500 ; 4-byte Folded Spill
.LBB6_1706:                             ;   in Loop: Header=BB6_136 Depth=3
	s_or_b64 exec, exec, s[26:27]
	v_cmp_lt_u64_e32 vcc, s[56:57], v[8:9]
	v_mov_b32_e32 v0, 0
	s_and_saveexec_b64 s[26:27], vcc
	s_cbranch_execz .LBB6_1712
; %bb.1707:                             ;   in Loop: Header=BB6_136 Depth=3
	v_lshrrev_b32_e32 v8, 24, v9
	v_cmp_ne_u32_e32 vcc, s96, v8
	v_bfrev_b32_e32 v0, 1
	s_and_saveexec_b64 s[94:95], vcc
	s_cbranch_execz .LBB6_1711
; %bb.1708:                             ;   in Loop: Header=BB6_136 Depth=3
	v_bfe_u32 v1, v9, 24, 7
	v_cmp_ne_u32_e32 vcc, s86, v1
	v_mov_b32_e32 v0, 0x7f800001
	s_and_saveexec_b64 s[30:31], vcc
	s_cbranch_execz .LBB6_1710
; %bb.1709:                             ;   in Loop: Header=BB6_136 Depth=3
	v_and_b32_e32 v2, 7, v8
	v_ffbh_u32_e32 v0, v2
	v_min_u32_e32 v4, 32, v0
	v_subrev_u32_e32 v0, 28, v4
	v_lshrrev_b32_e32 v3, 3, v1
	v_cmp_gt_u32_e32 vcc, 8, v1
	v_lshlrev_b64 v[0:1], v0, v[8:9]
	v_sub_u32_e32 v1, 29, v4
	v_and_b32_e32 v0, 7, v0
	v_cndmask_b32_e32 v1, v3, v1, vcc
	v_cndmask_b32_e32 v0, v2, v0, vcc
	v_lshlrev_b32_e32 v2, 24, v8
	v_bfrev_b32_e32 v3, 60
	v_lshlrev_b32_e32 v0, 20, v0
	v_and_b32_e32 v2, 0x80000000, v2
	v_lshl_add_u32 v1, v1, 23, v3
	v_or3_b32 v0, v2, v1, v0
.LBB6_1710:                             ;   in Loop: Header=BB6_136 Depth=3
	s_or_b64 exec, exec, s[30:31]
.LBB6_1711:                             ;   in Loop: Header=BB6_136 Depth=3
	s_or_b64 exec, exec, s[94:95]
.LBB6_1712:                             ;   in Loop: Header=BB6_136 Depth=3
	s_or_b64 exec, exec, s[26:27]
	v_mul_f32_e32 v1, v18, v0
	v_and_b32_e32 v2, 0x7f800000, v1
	v_mov_b32_e32 v3, v51
	v_cmp_ne_u64_e32 vcc, s[76:77], v[2:3]
                                        ; implicit-def: $vgpr0
                                        ; kill: killed $vgpr0
	s_and_saveexec_b64 s[26:27], vcc
	s_xor_b64 s[94:95], exec, s[26:27]
	s_cbranch_execz .LBB6_1726
; %bb.1713:                             ;   in Loop: Header=BB6_136 Depth=3
	v_and_b32_e32 v2, 0x7fffffff, v1
	v_mov_b32_e32 v3, v51
	v_cmp_gt_u64_e32 vcc, s[78:79], v[2:3]
	v_and_b32_sdwa v0, v1, s96 dst_sel:DWORD dst_unused:UNUSED_PAD src0_sel:BYTE_3 src1_sel:DWORD
                                        ; implicit-def: $vgpr2
                                        ; kill: killed $vgpr2
	s_and_saveexec_b64 s[26:27], vcc
	s_xor_b64 s[30:31], exec, s[26:27]
	s_cbranch_execz .LBB6_1723
; %bb.1714:                             ;   in Loop: Header=BB6_136 Depth=3
	v_mov_b32_e32 v2, 0
	v_cmp_ne_u32_e32 vcc, 0, v1
	buffer_store_dword v2, off, s[0:3], s33 offset:504 ; 4-byte Folded Spill
	s_and_saveexec_b64 s[34:35], vcc
	s_cbranch_execz .LBB6_1722
; %bb.1715:                             ;   in Loop: Header=BB6_136 Depth=3
	v_and_b32_e32 v3, 0x7fffff, v1
	v_bfe_u32 v1, v1, 23, 8
	v_cmp_gt_u32_e64 s[26:27], s97, v1
	v_sub_u32_e32 v2, 0x79, v1
	v_cmp_eq_u32_e32 vcc, 0, v1
	v_cndmask_b32_e64 v2, 0, v2, s[26:27]
	v_mov_b32_e32 v5, 0x78
	v_cndmask_b32_e32 v2, v2, v5, vcc
	v_add_u32_e32 v5, 20, v2
	v_or_b32_e32 v4, 0x800000, v3
	v_lshlrev_b64 v[5:6], v5, -1
	v_add_u32_e32 v7, 19, v2
	v_cndmask_b32_e32 v3, v4, v3, vcc
	v_lshlrev_b64 v[7:8], v7, 1
	v_mov_b32_e32 v4, v51
	v_bfi_b32 v6, v6, 0, 0
	v_bfi_b32 v5, v5, 0, v3
	v_cmp_eq_u64_e64 s[26:27], v[5:6], v[7:8]
	v_lshrrev_b64 v[8:9], v2, v[3:4]
	v_mov_b32_e32 v15, v9
	v_mov_b32_e32 v14, v8
	s_and_saveexec_b64 s[36:37], s[26:27]
; %bb.1716:                             ;   in Loop: Header=BB6_136 Depth=3
	v_bfe_u32 v3, v8, 20, 1
	v_add_co_u32_e64 v3, s[26:27], v8, v3
	v_add_co_u32_e64 v14, s[26:27], -1, v3
; %bb.1717:                             ;   in Loop: Header=BB6_136 Depth=3
	s_or_b64 exec, exec, s[36:37]
	v_add_u32_e32 v1, 0xffffff81, v1
	v_mov_b32_e32 v3, 0xffffff82
	v_cndmask_b32_e32 v1, v1, v3, vcc
	v_lshrrev_b32_e32 v3, 23, v8
	v_add3_u32 v3, v2, v1, v3
	v_add_u32_e32 v2, 6, v3
	v_and_b32_e32 v1, 0xfffff, v14
	v_add_u32_e32 v8, v1, v8
	v_mov_b32_e32 v9, v51
	v_cmp_ne_u32_e32 vcc, 0, v2
                                        ; implicit-def: $vgpr1
	s_and_saveexec_b64 s[26:27], vcc
	s_xor_b64 s[26:27], exec, s[26:27]
; %bb.1718:                             ;   in Loop: Header=BB6_136 Depth=3
	v_cmp_lt_u64_e32 vcc, s[88:89], v[8:9]
	v_add_u32_e32 v1, 7, v3
	v_cndmask_b32_e32 v1, v2, v1, vcc
	v_cndmask_b32_e64 v2, 0, 1, vcc
	v_lshrrev_b64 v[8:9], v2, v[8:9]
; %bb.1719:                             ;   in Loop: Header=BB6_136 Depth=3
	s_andn2_saveexec_b64 s[26:27], s[26:27]
; %bb.1720:                             ;   in Loop: Header=BB6_136 Depth=3
	v_bfe_u32 v1, v8, 23, 1
; %bb.1721:                             ;   in Loop: Header=BB6_136 Depth=3
	s_or_b64 exec, exec, s[26:27]
	v_lshrrev_b64 v[2:3], 20, v[8:9]
	v_cmp_gt_i32_e32 vcc, 16, v1
	v_cndmask_b32_e32 v3, 0, v3, vcc
	v_cndmask_b32_e32 v2, 7, v2, vcc
	v_cmp_eq_u32_e32 vcc, 0, v1
	v_min_i32_e32 v1, 15, v1
	v_cmp_eq_u64_e64 s[26:27], 0, v[2:3]
	v_lshlrev_b32_e32 v1, 3, v1
	v_and_b32_e32 v1, 0xf8, v1
	v_and_or_b32 v1, v2, 7, v1
	s_and_b64 s[26:27], vcc, s[26:27]
	v_cndmask_b32_e64 v1, v1, 0, s[26:27]
	v_or_b32_e32 v0, v1, v0
	buffer_store_dword v0, off, s[0:3], s33 offset:504 ; 4-byte Folded Spill
.LBB6_1722:                             ;   in Loop: Header=BB6_136 Depth=3
	s_or_b64 exec, exec, s[34:35]
                                        ; implicit-def: $vgpr0
.LBB6_1723:                             ;   in Loop: Header=BB6_136 Depth=3
	s_andn2_saveexec_b64 s[26:27], s[30:31]
	s_cbranch_execz .LBB6_1725
; %bb.1724:                             ;   in Loop: Header=BB6_136 Depth=3
	v_or_b32_e32 v0, 0x7e, v0
	buffer_store_dword v0, off, s[0:3], s33 offset:504 ; 4-byte Folded Spill
.LBB6_1725:                             ;   in Loop: Header=BB6_136 Depth=3
	s_or_b64 exec, exec, s[26:27]
                                        ; implicit-def: $vgpr1
.LBB6_1726:                             ;   in Loop: Header=BB6_136 Depth=3
	s_andn2_saveexec_b64 s[26:27], s[94:95]
	s_cbranch_execz .LBB6_1728
; %bb.1727:                             ;   in Loop: Header=BB6_136 Depth=3
	v_or_b32_sdwa v0, v1, s86 dst_sel:DWORD dst_unused:UNUSED_PAD src0_sel:BYTE_3 src1_sel:DWORD
	buffer_store_dword v0, off, s[0:3], s33 offset:504 ; 4-byte Folded Spill
.LBB6_1728:                             ;   in Loop: Header=BB6_136 Depth=3
	s_or_b64 exec, exec, s[26:27]
	v_cmp_ne_u16_sdwa s[94:95], v10, v51 src0_sel:BYTE_0 src1_sel:DWORD
	v_mov_b32_e32 v0, 0
	s_and_saveexec_b64 s[26:27], s[94:95]
	s_cbranch_execz .LBB6_1734
; %bb.1729:                             ;   in Loop: Header=BB6_136 Depth=3
	v_cmp_ne_u16_sdwa vcc, v10, s96 src0_sel:BYTE_0 src1_sel:DWORD
	v_bfrev_b32_e32 v0, 1
	s_and_saveexec_b64 s[94:95], vcc
	s_cbranch_execz .LBB6_1733
; %bb.1730:                             ;   in Loop: Header=BB6_136 Depth=3
	v_and_b32_e32 v1, 0x7f, v10
	v_cmp_ne_u32_e32 vcc, s86, v1
	v_mov_b32_e32 v0, 0x7f800001
	s_and_saveexec_b64 s[30:31], vcc
	s_cbranch_execz .LBB6_1732
; %bb.1731:                             ;   in Loop: Header=BB6_136 Depth=3
	v_and_b32_e32 v0, 7, v10
	v_ffbh_u32_e32 v0, v0
	v_min_u32_e32 v0, 32, v0
	v_lshrrev_b32_e32 v2, 3, v1
	v_cmp_gt_u32_e32 vcc, 8, v1
	v_subrev_u32_e32 v1, 28, v0
	v_sub_u32_e32 v0, 29, v0
	v_cndmask_b32_e32 v2, v2, v0, vcc
	v_cndmask_b32_e32 v0, 0, v1, vcc
	v_lshlrev_b64 v[0:1], v0, v[10:11]
	v_lshlrev_b32_e32 v1, 24, v10
	v_lshlrev_b32_e32 v0, 20, v0
	v_bfrev_b32_e32 v3, 60
	v_and_b32_e32 v0, 0x700000, v0
	v_and_b32_e32 v1, 0x80000000, v1
	v_lshl_add_u32 v2, v2, 23, v3
	v_or3_b32 v0, v1, v2, v0
.LBB6_1732:                             ;   in Loop: Header=BB6_136 Depth=3
	s_or_b64 exec, exec, s[30:31]
.LBB6_1733:                             ;   in Loop: Header=BB6_136 Depth=3
	s_or_b64 exec, exec, s[94:95]
.LBB6_1734:                             ;   in Loop: Header=BB6_136 Depth=3
	s_or_b64 exec, exec, s[26:27]
	v_mul_f32_e32 v1, v18, v0
	v_and_b32_e32 v2, 0x7f800000, v1
	v_mov_b32_e32 v3, v51
	v_cmp_ne_u64_e32 vcc, s[76:77], v[2:3]
                                        ; implicit-def: $vgpr0
                                        ; kill: killed $vgpr0
	s_and_saveexec_b64 s[26:27], vcc
	s_xor_b64 s[94:95], exec, s[26:27]
	s_cbranch_execz .LBB6_1748
; %bb.1735:                             ;   in Loop: Header=BB6_136 Depth=3
	v_and_b32_e32 v2, 0x7fffffff, v1
	v_mov_b32_e32 v3, v51
	v_cmp_gt_u64_e32 vcc, s[78:79], v[2:3]
	v_and_b32_sdwa v0, v1, s96 dst_sel:DWORD dst_unused:UNUSED_PAD src0_sel:BYTE_3 src1_sel:DWORD
                                        ; implicit-def: $vgpr2
                                        ; kill: killed $vgpr2
	s_and_saveexec_b64 s[26:27], vcc
	s_xor_b64 s[30:31], exec, s[26:27]
	s_cbranch_execz .LBB6_1745
; %bb.1736:                             ;   in Loop: Header=BB6_136 Depth=3
	v_mov_b32_e32 v2, 0
	v_cmp_ne_u32_e32 vcc, 0, v1
	buffer_store_dword v2, off, s[0:3], s33 offset:508 ; 4-byte Folded Spill
	s_and_saveexec_b64 s[34:35], vcc
	s_cbranch_execz .LBB6_1744
; %bb.1737:                             ;   in Loop: Header=BB6_136 Depth=3
	v_and_b32_e32 v3, 0x7fffff, v1
	v_bfe_u32 v1, v1, 23, 8
	v_cmp_gt_u32_e64 s[26:27], s97, v1
	v_sub_u32_e32 v2, 0x79, v1
	v_cmp_eq_u32_e32 vcc, 0, v1
	v_cndmask_b32_e64 v2, 0, v2, s[26:27]
	v_mov_b32_e32 v5, 0x78
	v_cndmask_b32_e32 v2, v2, v5, vcc
	v_add_u32_e32 v5, 20, v2
	v_or_b32_e32 v4, 0x800000, v3
	v_lshlrev_b64 v[5:6], v5, -1
	v_add_u32_e32 v7, 19, v2
	v_cndmask_b32_e32 v3, v4, v3, vcc
	v_lshlrev_b64 v[7:8], v7, 1
	v_mov_b32_e32 v4, v51
	v_bfi_b32 v6, v6, 0, 0
	v_bfi_b32 v5, v5, 0, v3
	v_cmp_eq_u64_e64 s[26:27], v[5:6], v[7:8]
	v_lshrrev_b64 v[8:9], v2, v[3:4]
	v_mov_b32_e32 v15, v9
	v_mov_b32_e32 v14, v8
	s_and_saveexec_b64 s[36:37], s[26:27]
; %bb.1738:                             ;   in Loop: Header=BB6_136 Depth=3
	v_bfe_u32 v3, v8, 20, 1
	v_add_co_u32_e64 v3, s[26:27], v8, v3
	v_add_co_u32_e64 v14, s[26:27], -1, v3
; %bb.1739:                             ;   in Loop: Header=BB6_136 Depth=3
	s_or_b64 exec, exec, s[36:37]
	v_add_u32_e32 v1, 0xffffff81, v1
	v_mov_b32_e32 v3, 0xffffff82
	v_cndmask_b32_e32 v1, v1, v3, vcc
	v_lshrrev_b32_e32 v3, 23, v8
	v_add3_u32 v3, v2, v1, v3
	v_add_u32_e32 v2, 6, v3
	v_and_b32_e32 v1, 0xfffff, v14
	v_add_u32_e32 v8, v1, v8
	v_mov_b32_e32 v9, v51
	v_cmp_ne_u32_e32 vcc, 0, v2
                                        ; implicit-def: $vgpr1
	s_and_saveexec_b64 s[26:27], vcc
	s_xor_b64 s[26:27], exec, s[26:27]
; %bb.1740:                             ;   in Loop: Header=BB6_136 Depth=3
	v_cmp_lt_u64_e32 vcc, s[88:89], v[8:9]
	v_add_u32_e32 v1, 7, v3
	v_cndmask_b32_e32 v1, v2, v1, vcc
	v_cndmask_b32_e64 v2, 0, 1, vcc
	v_lshrrev_b64 v[8:9], v2, v[8:9]
; %bb.1741:                             ;   in Loop: Header=BB6_136 Depth=3
	s_andn2_saveexec_b64 s[26:27], s[26:27]
; %bb.1742:                             ;   in Loop: Header=BB6_136 Depth=3
	v_bfe_u32 v1, v8, 23, 1
; %bb.1743:                             ;   in Loop: Header=BB6_136 Depth=3
	s_or_b64 exec, exec, s[26:27]
	v_lshrrev_b64 v[2:3], 20, v[8:9]
	v_cmp_gt_i32_e32 vcc, 16, v1
	v_cndmask_b32_e32 v3, 0, v3, vcc
	v_cndmask_b32_e32 v2, 7, v2, vcc
	v_cmp_eq_u32_e32 vcc, 0, v1
	v_min_i32_e32 v1, 15, v1
	v_cmp_eq_u64_e64 s[26:27], 0, v[2:3]
	v_lshlrev_b32_e32 v1, 3, v1
	v_and_b32_e32 v1, 0xf8, v1
	v_and_or_b32 v1, v2, 7, v1
	s_and_b64 s[26:27], vcc, s[26:27]
	v_cndmask_b32_e64 v1, v1, 0, s[26:27]
	v_or_b32_e32 v0, v1, v0
	buffer_store_dword v0, off, s[0:3], s33 offset:508 ; 4-byte Folded Spill
.LBB6_1744:                             ;   in Loop: Header=BB6_136 Depth=3
	s_or_b64 exec, exec, s[34:35]
                                        ; implicit-def: $vgpr0
.LBB6_1745:                             ;   in Loop: Header=BB6_136 Depth=3
	s_andn2_saveexec_b64 s[26:27], s[30:31]
	s_cbranch_execz .LBB6_1747
; %bb.1746:                             ;   in Loop: Header=BB6_136 Depth=3
	v_or_b32_e32 v0, 0x7e, v0
	buffer_store_dword v0, off, s[0:3], s33 offset:508 ; 4-byte Folded Spill
.LBB6_1747:                             ;   in Loop: Header=BB6_136 Depth=3
	s_or_b64 exec, exec, s[26:27]
                                        ; implicit-def: $vgpr1
.LBB6_1748:                             ;   in Loop: Header=BB6_136 Depth=3
	s_andn2_saveexec_b64 s[26:27], s[94:95]
	s_cbranch_execz .LBB6_1750
; %bb.1749:                             ;   in Loop: Header=BB6_136 Depth=3
	v_or_b32_sdwa v0, v1, s86 dst_sel:DWORD dst_unused:UNUSED_PAD src0_sel:BYTE_3 src1_sel:DWORD
	buffer_store_dword v0, off, s[0:3], s33 offset:508 ; 4-byte Folded Spill
.LBB6_1750:                             ;   in Loop: Header=BB6_136 Depth=3
	s_or_b64 exec, exec, s[26:27]
	v_lshrrev_b16_e32 v8, 8, v10
	v_cmp_ne_u16_e32 vcc, 0, v8
	v_mov_b32_e32 v0, 0
	s_and_saveexec_b64 s[26:27], vcc
	s_cbranch_execz .LBB6_1756
; %bb.1751:                             ;   in Loop: Header=BB6_136 Depth=3
	v_cmp_ne_u16_e32 vcc, s96, v8
	v_bfrev_b32_e32 v0, 1
	s_and_saveexec_b64 s[94:95], vcc
	s_cbranch_execz .LBB6_1755
; %bb.1752:                             ;   in Loop: Header=BB6_136 Depth=3
	v_and_b32_e32 v1, 0x7f, v8
	v_cmp_ne_u32_e32 vcc, s86, v1
	v_mov_b32_e32 v0, 0x7f800001
	s_and_saveexec_b64 s[30:31], vcc
	s_cbranch_execz .LBB6_1754
; %bb.1753:                             ;   in Loop: Header=BB6_136 Depth=3
	v_and_b32_e32 v2, 7, v8
	v_ffbh_u32_e32 v0, v2
	v_min_u32_e32 v4, 32, v0
	v_subrev_u32_e32 v0, 28, v4
	v_lshrrev_b32_e32 v3, 3, v1
	v_cmp_gt_u32_e32 vcc, 8, v1
	v_lshlrev_b64 v[0:1], v0, v[8:9]
	v_sub_u32_e32 v1, 29, v4
	v_and_b32_e32 v0, 7, v0
	v_cndmask_b32_e32 v1, v3, v1, vcc
	v_cndmask_b32_e32 v0, v2, v0, vcc
	v_lshlrev_b32_e32 v2, 16, v10
	v_bfrev_b32_e32 v3, 60
	v_lshlrev_b32_e32 v0, 20, v0
	v_and_b32_e32 v2, 0x80000000, v2
	v_lshl_add_u32 v1, v1, 23, v3
	v_or3_b32 v0, v2, v1, v0
.LBB6_1754:                             ;   in Loop: Header=BB6_136 Depth=3
	s_or_b64 exec, exec, s[30:31]
.LBB6_1755:                             ;   in Loop: Header=BB6_136 Depth=3
	s_or_b64 exec, exec, s[94:95]
.LBB6_1756:                             ;   in Loop: Header=BB6_136 Depth=3
	s_or_b64 exec, exec, s[26:27]
	v_mul_f32_e32 v1, v18, v0
	v_and_b32_e32 v2, 0x7f800000, v1
	v_mov_b32_e32 v3, v51
	v_cmp_ne_u64_e32 vcc, s[76:77], v[2:3]
                                        ; implicit-def: $vgpr0
                                        ; kill: killed $vgpr0
	s_and_saveexec_b64 s[26:27], vcc
	s_xor_b64 s[94:95], exec, s[26:27]
	s_cbranch_execz .LBB6_1770
; %bb.1757:                             ;   in Loop: Header=BB6_136 Depth=3
	v_and_b32_e32 v2, 0x7fffffff, v1
	v_mov_b32_e32 v3, v51
	v_cmp_gt_u64_e32 vcc, s[78:79], v[2:3]
	v_and_b32_sdwa v0, v1, s96 dst_sel:DWORD dst_unused:UNUSED_PAD src0_sel:BYTE_3 src1_sel:DWORD
                                        ; implicit-def: $vgpr2
                                        ; kill: killed $vgpr2
	s_and_saveexec_b64 s[26:27], vcc
	s_xor_b64 s[30:31], exec, s[26:27]
	s_cbranch_execz .LBB6_1767
; %bb.1758:                             ;   in Loop: Header=BB6_136 Depth=3
	v_mov_b32_e32 v2, 0
	v_cmp_ne_u32_e32 vcc, 0, v1
	buffer_store_dword v2, off, s[0:3], s33 offset:512 ; 4-byte Folded Spill
	s_and_saveexec_b64 s[34:35], vcc
	s_cbranch_execz .LBB6_1766
; %bb.1759:                             ;   in Loop: Header=BB6_136 Depth=3
	v_and_b32_e32 v3, 0x7fffff, v1
	v_bfe_u32 v1, v1, 23, 8
	v_cmp_gt_u32_e64 s[26:27], s97, v1
	v_sub_u32_e32 v2, 0x79, v1
	v_cmp_eq_u32_e32 vcc, 0, v1
	v_cndmask_b32_e64 v2, 0, v2, s[26:27]
	v_mov_b32_e32 v5, 0x78
	v_cndmask_b32_e32 v2, v2, v5, vcc
	v_add_u32_e32 v5, 20, v2
	v_or_b32_e32 v4, 0x800000, v3
	v_lshlrev_b64 v[5:6], v5, -1
	v_add_u32_e32 v7, 19, v2
	v_cndmask_b32_e32 v3, v4, v3, vcc
	v_lshlrev_b64 v[7:8], v7, 1
	v_mov_b32_e32 v4, v51
	v_bfi_b32 v6, v6, 0, 0
	v_bfi_b32 v5, v5, 0, v3
	v_cmp_eq_u64_e64 s[26:27], v[5:6], v[7:8]
	v_lshrrev_b64 v[8:9], v2, v[3:4]
	v_mov_b32_e32 v15, v9
	v_mov_b32_e32 v14, v8
	s_and_saveexec_b64 s[36:37], s[26:27]
; %bb.1760:                             ;   in Loop: Header=BB6_136 Depth=3
	v_bfe_u32 v3, v8, 20, 1
	v_add_co_u32_e64 v3, s[26:27], v8, v3
	v_add_co_u32_e64 v14, s[26:27], -1, v3
; %bb.1761:                             ;   in Loop: Header=BB6_136 Depth=3
	s_or_b64 exec, exec, s[36:37]
	v_add_u32_e32 v1, 0xffffff81, v1
	v_mov_b32_e32 v3, 0xffffff82
	v_cndmask_b32_e32 v1, v1, v3, vcc
	v_lshrrev_b32_e32 v3, 23, v8
	v_add3_u32 v3, v2, v1, v3
	v_add_u32_e32 v2, 6, v3
	v_and_b32_e32 v1, 0xfffff, v14
	v_add_u32_e32 v8, v1, v8
	v_mov_b32_e32 v9, v51
	v_cmp_ne_u32_e32 vcc, 0, v2
                                        ; implicit-def: $vgpr1
	s_and_saveexec_b64 s[26:27], vcc
	s_xor_b64 s[26:27], exec, s[26:27]
; %bb.1762:                             ;   in Loop: Header=BB6_136 Depth=3
	v_cmp_lt_u64_e32 vcc, s[88:89], v[8:9]
	v_add_u32_e32 v1, 7, v3
	v_cndmask_b32_e32 v1, v2, v1, vcc
	v_cndmask_b32_e64 v2, 0, 1, vcc
	v_lshrrev_b64 v[8:9], v2, v[8:9]
; %bb.1763:                             ;   in Loop: Header=BB6_136 Depth=3
	s_andn2_saveexec_b64 s[26:27], s[26:27]
; %bb.1764:                             ;   in Loop: Header=BB6_136 Depth=3
	v_bfe_u32 v1, v8, 23, 1
; %bb.1765:                             ;   in Loop: Header=BB6_136 Depth=3
	s_or_b64 exec, exec, s[26:27]
	v_lshrrev_b64 v[2:3], 20, v[8:9]
	v_cmp_gt_i32_e32 vcc, 16, v1
	v_cndmask_b32_e32 v3, 0, v3, vcc
	v_cndmask_b32_e32 v2, 7, v2, vcc
	v_cmp_eq_u32_e32 vcc, 0, v1
	v_min_i32_e32 v1, 15, v1
	v_cmp_eq_u64_e64 s[26:27], 0, v[2:3]
	v_lshlrev_b32_e32 v1, 3, v1
	v_and_b32_e32 v1, 0xf8, v1
	v_and_or_b32 v1, v2, 7, v1
	s_and_b64 s[26:27], vcc, s[26:27]
	v_cndmask_b32_e64 v1, v1, 0, s[26:27]
	v_or_b32_e32 v0, v1, v0
	buffer_store_dword v0, off, s[0:3], s33 offset:512 ; 4-byte Folded Spill
.LBB6_1766:                             ;   in Loop: Header=BB6_136 Depth=3
	s_or_b64 exec, exec, s[34:35]
                                        ; implicit-def: $vgpr0
.LBB6_1767:                             ;   in Loop: Header=BB6_136 Depth=3
	s_andn2_saveexec_b64 s[26:27], s[30:31]
	s_cbranch_execz .LBB6_1769
; %bb.1768:                             ;   in Loop: Header=BB6_136 Depth=3
	v_or_b32_e32 v0, 0x7e, v0
	buffer_store_dword v0, off, s[0:3], s33 offset:512 ; 4-byte Folded Spill
.LBB6_1769:                             ;   in Loop: Header=BB6_136 Depth=3
	s_or_b64 exec, exec, s[26:27]
                                        ; implicit-def: $vgpr1
.LBB6_1770:                             ;   in Loop: Header=BB6_136 Depth=3
	s_andn2_saveexec_b64 s[26:27], s[94:95]
	s_cbranch_execz .LBB6_1772
; %bb.1771:                             ;   in Loop: Header=BB6_136 Depth=3
	v_or_b32_sdwa v0, v1, s86 dst_sel:DWORD dst_unused:UNUSED_PAD src0_sel:BYTE_3 src1_sel:DWORD
	buffer_store_dword v0, off, s[0:3], s33 offset:512 ; 4-byte Folded Spill
.LBB6_1772:                             ;   in Loop: Header=BB6_136 Depth=3
	s_or_b64 exec, exec, s[26:27]
	v_lshrrev_b32_e32 v8, 16, v10
	v_cmp_ne_u16_sdwa s[94:95], v8, v51 src0_sel:BYTE_0 src1_sel:DWORD
	v_mov_b32_e32 v0, 0
	s_and_saveexec_b64 s[26:27], s[94:95]
	s_cbranch_execz .LBB6_1778
; %bb.1773:                             ;   in Loop: Header=BB6_136 Depth=3
	v_cmp_ne_u16_sdwa vcc, v8, s96 src0_sel:BYTE_0 src1_sel:DWORD
	v_bfrev_b32_e32 v0, 1
	s_and_saveexec_b64 s[94:95], vcc
	s_cbranch_execz .LBB6_1777
; %bb.1774:                             ;   in Loop: Header=BB6_136 Depth=3
	v_bfe_u32 v1, v10, 16, 7
	v_cmp_ne_u32_e32 vcc, s86, v1
	v_mov_b32_e32 v0, 0x7f800001
	s_and_saveexec_b64 s[30:31], vcc
	s_cbranch_execz .LBB6_1776
; %bb.1775:                             ;   in Loop: Header=BB6_136 Depth=3
	v_and_b32_e32 v2, 7, v8
	v_ffbh_u32_e32 v0, v2
	v_min_u32_e32 v4, 32, v0
	v_subrev_u32_e32 v0, 28, v4
	v_lshrrev_b32_e32 v3, 3, v1
	v_cmp_gt_u32_e32 vcc, 8, v1
	v_lshlrev_b64 v[0:1], v0, v[8:9]
	v_sub_u32_e32 v1, 29, v4
	v_and_b32_e32 v0, 7, v0
	v_cndmask_b32_e32 v1, v3, v1, vcc
	v_cndmask_b32_e32 v0, v2, v0, vcc
	v_lshlrev_b32_e32 v2, 24, v8
	v_bfrev_b32_e32 v3, 60
	v_lshlrev_b32_e32 v0, 20, v0
	v_and_b32_e32 v2, 0x80000000, v2
	v_lshl_add_u32 v1, v1, 23, v3
	v_or3_b32 v0, v2, v1, v0
.LBB6_1776:                             ;   in Loop: Header=BB6_136 Depth=3
	s_or_b64 exec, exec, s[30:31]
.LBB6_1777:                             ;   in Loop: Header=BB6_136 Depth=3
	s_or_b64 exec, exec, s[94:95]
.LBB6_1778:                             ;   in Loop: Header=BB6_136 Depth=3
	s_or_b64 exec, exec, s[26:27]
	v_mul_f32_e32 v1, v18, v0
	v_and_b32_e32 v2, 0x7f800000, v1
	v_mov_b32_e32 v3, v51
	v_cmp_ne_u64_e32 vcc, s[76:77], v[2:3]
                                        ; implicit-def: $vgpr0
                                        ; kill: killed $vgpr0
	s_and_saveexec_b64 s[26:27], vcc
	s_xor_b64 s[94:95], exec, s[26:27]
	s_cbranch_execz .LBB6_1792
; %bb.1779:                             ;   in Loop: Header=BB6_136 Depth=3
	v_and_b32_e32 v2, 0x7fffffff, v1
	v_mov_b32_e32 v3, v51
	v_cmp_gt_u64_e32 vcc, s[78:79], v[2:3]
	v_and_b32_sdwa v0, v1, s96 dst_sel:DWORD dst_unused:UNUSED_PAD src0_sel:BYTE_3 src1_sel:DWORD
                                        ; implicit-def: $vgpr2
                                        ; kill: killed $vgpr2
	s_and_saveexec_b64 s[26:27], vcc
	s_xor_b64 s[30:31], exec, s[26:27]
	s_cbranch_execz .LBB6_1789
; %bb.1780:                             ;   in Loop: Header=BB6_136 Depth=3
	v_mov_b32_e32 v2, 0
	v_cmp_ne_u32_e32 vcc, 0, v1
	buffer_store_dword v2, off, s[0:3], s33 offset:516 ; 4-byte Folded Spill
	s_and_saveexec_b64 s[34:35], vcc
	s_cbranch_execz .LBB6_1788
; %bb.1781:                             ;   in Loop: Header=BB6_136 Depth=3
	v_and_b32_e32 v3, 0x7fffff, v1
	v_bfe_u32 v1, v1, 23, 8
	v_cmp_gt_u32_e64 s[26:27], s97, v1
	v_sub_u32_e32 v2, 0x79, v1
	v_cmp_eq_u32_e32 vcc, 0, v1
	v_cndmask_b32_e64 v2, 0, v2, s[26:27]
	v_mov_b32_e32 v5, 0x78
	v_cndmask_b32_e32 v2, v2, v5, vcc
	v_add_u32_e32 v5, 20, v2
	v_or_b32_e32 v4, 0x800000, v3
	v_lshlrev_b64 v[5:6], v5, -1
	v_add_u32_e32 v7, 19, v2
	v_cndmask_b32_e32 v3, v4, v3, vcc
	v_lshlrev_b64 v[7:8], v7, 1
	v_mov_b32_e32 v4, v51
	v_bfi_b32 v6, v6, 0, 0
	v_bfi_b32 v5, v5, 0, v3
	v_cmp_eq_u64_e64 s[26:27], v[5:6], v[7:8]
	v_lshrrev_b64 v[8:9], v2, v[3:4]
	v_mov_b32_e32 v15, v9
	v_mov_b32_e32 v14, v8
	s_and_saveexec_b64 s[36:37], s[26:27]
; %bb.1782:                             ;   in Loop: Header=BB6_136 Depth=3
	v_bfe_u32 v3, v8, 20, 1
	v_add_co_u32_e64 v3, s[26:27], v8, v3
	v_add_co_u32_e64 v14, s[26:27], -1, v3
; %bb.1783:                             ;   in Loop: Header=BB6_136 Depth=3
	s_or_b64 exec, exec, s[36:37]
	v_add_u32_e32 v1, 0xffffff81, v1
	v_mov_b32_e32 v3, 0xffffff82
	v_cndmask_b32_e32 v1, v1, v3, vcc
	v_lshrrev_b32_e32 v3, 23, v8
	v_add3_u32 v3, v2, v1, v3
	v_add_u32_e32 v2, 6, v3
	v_and_b32_e32 v1, 0xfffff, v14
	v_add_u32_e32 v8, v1, v8
	v_mov_b32_e32 v9, v51
	v_cmp_ne_u32_e32 vcc, 0, v2
                                        ; implicit-def: $vgpr1
	s_and_saveexec_b64 s[26:27], vcc
	s_xor_b64 s[26:27], exec, s[26:27]
; %bb.1784:                             ;   in Loop: Header=BB6_136 Depth=3
	v_cmp_lt_u64_e32 vcc, s[88:89], v[8:9]
	v_add_u32_e32 v1, 7, v3
	v_cndmask_b32_e32 v1, v2, v1, vcc
	v_cndmask_b32_e64 v2, 0, 1, vcc
	v_lshrrev_b64 v[8:9], v2, v[8:9]
; %bb.1785:                             ;   in Loop: Header=BB6_136 Depth=3
	s_andn2_saveexec_b64 s[26:27], s[26:27]
; %bb.1786:                             ;   in Loop: Header=BB6_136 Depth=3
	v_bfe_u32 v1, v8, 23, 1
; %bb.1787:                             ;   in Loop: Header=BB6_136 Depth=3
	s_or_b64 exec, exec, s[26:27]
	v_lshrrev_b64 v[2:3], 20, v[8:9]
	v_cmp_gt_i32_e32 vcc, 16, v1
	v_cndmask_b32_e32 v3, 0, v3, vcc
	v_cndmask_b32_e32 v2, 7, v2, vcc
	v_cmp_eq_u32_e32 vcc, 0, v1
	v_min_i32_e32 v1, 15, v1
	v_cmp_eq_u64_e64 s[26:27], 0, v[2:3]
	v_lshlrev_b32_e32 v1, 3, v1
	v_and_b32_e32 v1, 0xf8, v1
	v_and_or_b32 v1, v2, 7, v1
	s_and_b64 s[26:27], vcc, s[26:27]
	v_cndmask_b32_e64 v1, v1, 0, s[26:27]
	v_or_b32_e32 v0, v1, v0
	buffer_store_dword v0, off, s[0:3], s33 offset:516 ; 4-byte Folded Spill
.LBB6_1788:                             ;   in Loop: Header=BB6_136 Depth=3
	s_or_b64 exec, exec, s[34:35]
                                        ; implicit-def: $vgpr0
.LBB6_1789:                             ;   in Loop: Header=BB6_136 Depth=3
	s_andn2_saveexec_b64 s[26:27], s[30:31]
	s_cbranch_execz .LBB6_1791
; %bb.1790:                             ;   in Loop: Header=BB6_136 Depth=3
	v_or_b32_e32 v0, 0x7e, v0
	buffer_store_dword v0, off, s[0:3], s33 offset:516 ; 4-byte Folded Spill
.LBB6_1791:                             ;   in Loop: Header=BB6_136 Depth=3
	s_or_b64 exec, exec, s[26:27]
                                        ; implicit-def: $vgpr1
.LBB6_1792:                             ;   in Loop: Header=BB6_136 Depth=3
	s_andn2_saveexec_b64 s[26:27], s[94:95]
	s_cbranch_execz .LBB6_1794
; %bb.1793:                             ;   in Loop: Header=BB6_136 Depth=3
	v_or_b32_sdwa v0, v1, s86 dst_sel:DWORD dst_unused:UNUSED_PAD src0_sel:BYTE_3 src1_sel:DWORD
	buffer_store_dword v0, off, s[0:3], s33 offset:516 ; 4-byte Folded Spill
.LBB6_1794:                             ;   in Loop: Header=BB6_136 Depth=3
	s_or_b64 exec, exec, s[26:27]
	v_cmp_lt_u32_e32 vcc, s57, v10
	v_mov_b32_e32 v0, 0
	s_and_saveexec_b64 s[26:27], vcc
	s_cbranch_execz .LBB6_1800
; %bb.1795:                             ;   in Loop: Header=BB6_136 Depth=3
	v_lshrrev_b32_e32 v8, 24, v10
	v_cmp_ne_u32_e32 vcc, s96, v8
	v_bfrev_b32_e32 v0, 1
	s_and_saveexec_b64 s[94:95], vcc
	s_cbranch_execz .LBB6_1799
; %bb.1796:                             ;   in Loop: Header=BB6_136 Depth=3
	v_bfe_u32 v1, v10, 24, 7
	v_cmp_ne_u32_e32 vcc, s86, v1
	v_mov_b32_e32 v0, 0x7f800001
	s_and_saveexec_b64 s[30:31], vcc
	s_cbranch_execz .LBB6_1798
; %bb.1797:                             ;   in Loop: Header=BB6_136 Depth=3
	v_and_b32_e32 v2, 7, v8
	v_ffbh_u32_e32 v0, v2
	v_min_u32_e32 v4, 32, v0
	v_subrev_u32_e32 v0, 28, v4
	v_lshrrev_b32_e32 v3, 3, v1
	v_cmp_gt_u32_e32 vcc, 8, v1
	v_lshlrev_b64 v[0:1], v0, v[8:9]
	v_sub_u32_e32 v1, 29, v4
	v_and_b32_e32 v0, 7, v0
	v_cndmask_b32_e32 v1, v3, v1, vcc
	v_cndmask_b32_e32 v0, v2, v0, vcc
	v_lshlrev_b32_e32 v2, 24, v8
	v_bfrev_b32_e32 v3, 60
	v_lshlrev_b32_e32 v0, 20, v0
	v_and_b32_e32 v2, 0x80000000, v2
	v_lshl_add_u32 v1, v1, 23, v3
	v_or3_b32 v0, v2, v1, v0
.LBB6_1798:                             ;   in Loop: Header=BB6_136 Depth=3
	s_or_b64 exec, exec, s[30:31]
.LBB6_1799:                             ;   in Loop: Header=BB6_136 Depth=3
	s_or_b64 exec, exec, s[94:95]
.LBB6_1800:                             ;   in Loop: Header=BB6_136 Depth=3
	s_or_b64 exec, exec, s[26:27]
	v_mul_f32_e32 v1, v18, v0
	v_and_b32_e32 v2, 0x7f800000, v1
	v_mov_b32_e32 v3, v51
	v_cmp_ne_u64_e32 vcc, s[76:77], v[2:3]
                                        ; implicit-def: $vgpr0
                                        ; kill: killed $vgpr0
	s_and_saveexec_b64 s[26:27], vcc
	s_xor_b64 s[94:95], exec, s[26:27]
	s_cbranch_execz .LBB6_1814
; %bb.1801:                             ;   in Loop: Header=BB6_136 Depth=3
	v_and_b32_e32 v2, 0x7fffffff, v1
	v_mov_b32_e32 v3, v51
	v_cmp_gt_u64_e32 vcc, s[78:79], v[2:3]
	v_and_b32_sdwa v0, v1, s96 dst_sel:DWORD dst_unused:UNUSED_PAD src0_sel:BYTE_3 src1_sel:DWORD
                                        ; implicit-def: $vgpr2
                                        ; kill: killed $vgpr2
	s_and_saveexec_b64 s[26:27], vcc
	s_xor_b64 s[30:31], exec, s[26:27]
	s_cbranch_execz .LBB6_1811
; %bb.1802:                             ;   in Loop: Header=BB6_136 Depth=3
	v_mov_b32_e32 v2, 0
	v_cmp_ne_u32_e32 vcc, 0, v1
	buffer_store_dword v2, off, s[0:3], s33 offset:520 ; 4-byte Folded Spill
	s_and_saveexec_b64 s[34:35], vcc
	s_cbranch_execz .LBB6_1810
; %bb.1803:                             ;   in Loop: Header=BB6_136 Depth=3
	v_and_b32_e32 v3, 0x7fffff, v1
	v_bfe_u32 v1, v1, 23, 8
	v_cmp_gt_u32_e64 s[26:27], s97, v1
	v_sub_u32_e32 v2, 0x79, v1
	v_cmp_eq_u32_e32 vcc, 0, v1
	v_cndmask_b32_e64 v2, 0, v2, s[26:27]
	v_mov_b32_e32 v5, 0x78
	v_cndmask_b32_e32 v2, v2, v5, vcc
	v_add_u32_e32 v5, 20, v2
	v_or_b32_e32 v4, 0x800000, v3
	v_lshlrev_b64 v[5:6], v5, -1
	v_add_u32_e32 v7, 19, v2
	v_cndmask_b32_e32 v3, v4, v3, vcc
	v_lshlrev_b64 v[7:8], v7, 1
	v_mov_b32_e32 v4, v51
	v_bfi_b32 v6, v6, 0, 0
	v_bfi_b32 v5, v5, 0, v3
	v_cmp_eq_u64_e64 s[26:27], v[5:6], v[7:8]
	v_lshrrev_b64 v[8:9], v2, v[3:4]
	v_mov_b32_e32 v15, v9
	v_mov_b32_e32 v14, v8
	s_and_saveexec_b64 s[36:37], s[26:27]
; %bb.1804:                             ;   in Loop: Header=BB6_136 Depth=3
	v_bfe_u32 v3, v8, 20, 1
	v_add_co_u32_e64 v3, s[26:27], v8, v3
	v_add_co_u32_e64 v14, s[26:27], -1, v3
; %bb.1805:                             ;   in Loop: Header=BB6_136 Depth=3
	s_or_b64 exec, exec, s[36:37]
	v_add_u32_e32 v1, 0xffffff81, v1
	v_mov_b32_e32 v3, 0xffffff82
	v_cndmask_b32_e32 v1, v1, v3, vcc
	v_lshrrev_b32_e32 v3, 23, v8
	v_add3_u32 v3, v2, v1, v3
	v_add_u32_e32 v2, 6, v3
	v_and_b32_e32 v1, 0xfffff, v14
	v_add_u32_e32 v8, v1, v8
	v_mov_b32_e32 v9, v51
	v_cmp_ne_u32_e32 vcc, 0, v2
                                        ; implicit-def: $vgpr1
	s_and_saveexec_b64 s[26:27], vcc
	s_xor_b64 s[26:27], exec, s[26:27]
; %bb.1806:                             ;   in Loop: Header=BB6_136 Depth=3
	v_cmp_lt_u64_e32 vcc, s[88:89], v[8:9]
	v_add_u32_e32 v1, 7, v3
	v_cndmask_b32_e32 v1, v2, v1, vcc
	v_cndmask_b32_e64 v2, 0, 1, vcc
	v_lshrrev_b64 v[8:9], v2, v[8:9]
; %bb.1807:                             ;   in Loop: Header=BB6_136 Depth=3
	s_andn2_saveexec_b64 s[26:27], s[26:27]
; %bb.1808:                             ;   in Loop: Header=BB6_136 Depth=3
	v_bfe_u32 v1, v8, 23, 1
; %bb.1809:                             ;   in Loop: Header=BB6_136 Depth=3
	s_or_b64 exec, exec, s[26:27]
	v_lshrrev_b64 v[2:3], 20, v[8:9]
	v_cmp_gt_i32_e32 vcc, 16, v1
	v_cndmask_b32_e32 v3, 0, v3, vcc
	v_cndmask_b32_e32 v2, 7, v2, vcc
	v_cmp_eq_u32_e32 vcc, 0, v1
	v_min_i32_e32 v1, 15, v1
	v_cmp_eq_u64_e64 s[26:27], 0, v[2:3]
	v_lshlrev_b32_e32 v1, 3, v1
	v_and_b32_e32 v1, 0xf8, v1
	v_and_or_b32 v1, v2, 7, v1
	s_and_b64 s[26:27], vcc, s[26:27]
	v_cndmask_b32_e64 v1, v1, 0, s[26:27]
	v_or_b32_e32 v0, v1, v0
	buffer_store_dword v0, off, s[0:3], s33 offset:520 ; 4-byte Folded Spill
.LBB6_1810:                             ;   in Loop: Header=BB6_136 Depth=3
	s_or_b64 exec, exec, s[34:35]
                                        ; implicit-def: $vgpr0
.LBB6_1811:                             ;   in Loop: Header=BB6_136 Depth=3
	s_andn2_saveexec_b64 s[26:27], s[30:31]
	s_cbranch_execz .LBB6_1813
; %bb.1812:                             ;   in Loop: Header=BB6_136 Depth=3
	v_or_b32_e32 v0, 0x7e, v0
	buffer_store_dword v0, off, s[0:3], s33 offset:520 ; 4-byte Folded Spill
.LBB6_1813:                             ;   in Loop: Header=BB6_136 Depth=3
	s_or_b64 exec, exec, s[26:27]
                                        ; implicit-def: $vgpr1
.LBB6_1814:                             ;   in Loop: Header=BB6_136 Depth=3
	s_andn2_saveexec_b64 s[26:27], s[94:95]
	s_cbranch_execz .LBB6_1816
; %bb.1815:                             ;   in Loop: Header=BB6_136 Depth=3
	v_or_b32_sdwa v0, v1, s86 dst_sel:DWORD dst_unused:UNUSED_PAD src0_sel:BYTE_3 src1_sel:DWORD
	buffer_store_dword v0, off, s[0:3], s33 offset:520 ; 4-byte Folded Spill
.LBB6_1816:                             ;   in Loop: Header=BB6_136 Depth=3
	s_or_b64 exec, exec, s[26:27]
	v_mov_b32_e32 v8, v11
	v_mov_b32_e32 v9, v51
	v_cmp_ne_u16_sdwa s[94:95], v11, v51 src0_sel:BYTE_0 src1_sel:DWORD
	v_mov_b32_e32 v0, 0
	s_and_saveexec_b64 s[26:27], s[94:95]
	s_cbranch_execz .LBB6_1822
; %bb.1817:                             ;   in Loop: Header=BB6_136 Depth=3
	v_cmp_ne_u16_sdwa vcc, v11, s96 src0_sel:BYTE_0 src1_sel:DWORD
	v_bfrev_b32_e32 v0, 1
	s_and_saveexec_b64 s[94:95], vcc
	s_cbranch_execz .LBB6_1821
; %bb.1818:                             ;   in Loop: Header=BB6_136 Depth=3
	v_and_b32_e32 v1, 0x7f, v11
	v_cmp_ne_u32_e32 vcc, s86, v1
	v_mov_b32_e32 v0, 0x7f800001
	s_and_saveexec_b64 s[30:31], vcc
	s_cbranch_execz .LBB6_1820
; %bb.1819:                             ;   in Loop: Header=BB6_136 Depth=3
	v_and_b32_e32 v0, 7, v11
	v_ffbh_u32_e32 v0, v0
	v_min_u32_e32 v0, 32, v0
	v_lshrrev_b32_e32 v2, 3, v1
	v_cmp_gt_u32_e32 vcc, 8, v1
	v_subrev_u32_e32 v1, 28, v0
	v_sub_u32_e32 v0, 29, v0
	v_cndmask_b32_e32 v2, v2, v0, vcc
	v_cndmask_b32_e32 v0, 0, v1, vcc
	v_lshlrev_b64 v[0:1], v0, v[8:9]
	v_lshlrev_b32_e32 v1, 24, v8
	v_lshlrev_b32_e32 v0, 20, v0
	v_bfrev_b32_e32 v3, 60
	v_and_b32_e32 v0, 0x700000, v0
	v_and_b32_e32 v1, 0x80000000, v1
	v_lshl_add_u32 v2, v2, 23, v3
	v_or3_b32 v0, v1, v2, v0
.LBB6_1820:                             ;   in Loop: Header=BB6_136 Depth=3
	s_or_b64 exec, exec, s[30:31]
.LBB6_1821:                             ;   in Loop: Header=BB6_136 Depth=3
	s_or_b64 exec, exec, s[94:95]
.LBB6_1822:                             ;   in Loop: Header=BB6_136 Depth=3
	s_or_b64 exec, exec, s[26:27]
	v_mul_f32_e32 v1, v18, v0
	v_and_b32_e32 v2, 0x7f800000, v1
	v_mov_b32_e32 v3, v51
	v_cmp_ne_u64_e32 vcc, s[76:77], v[2:3]
                                        ; implicit-def: $vgpr0
                                        ; kill: killed $vgpr0
	s_and_saveexec_b64 s[26:27], vcc
	s_xor_b64 s[94:95], exec, s[26:27]
	s_cbranch_execz .LBB6_1836
; %bb.1823:                             ;   in Loop: Header=BB6_136 Depth=3
	v_and_b32_e32 v2, 0x7fffffff, v1
	v_mov_b32_e32 v3, v51
	v_cmp_gt_u64_e32 vcc, s[78:79], v[2:3]
	v_and_b32_sdwa v0, v1, s96 dst_sel:DWORD dst_unused:UNUSED_PAD src0_sel:BYTE_3 src1_sel:DWORD
                                        ; implicit-def: $vgpr2
                                        ; kill: killed $vgpr2
	s_and_saveexec_b64 s[26:27], vcc
	s_xor_b64 s[30:31], exec, s[26:27]
	s_cbranch_execz .LBB6_1833
; %bb.1824:                             ;   in Loop: Header=BB6_136 Depth=3
	v_mov_b32_e32 v2, 0
	v_cmp_ne_u32_e32 vcc, 0, v1
	buffer_store_dword v2, off, s[0:3], s33 offset:524 ; 4-byte Folded Spill
	s_and_saveexec_b64 s[34:35], vcc
	s_cbranch_execz .LBB6_1832
; %bb.1825:                             ;   in Loop: Header=BB6_136 Depth=3
	v_and_b32_e32 v3, 0x7fffff, v1
	v_bfe_u32 v1, v1, 23, 8
	v_cmp_gt_u32_e64 s[26:27], s97, v1
	v_sub_u32_e32 v2, 0x79, v1
	v_cmp_eq_u32_e32 vcc, 0, v1
	v_cndmask_b32_e64 v2, 0, v2, s[26:27]
	v_mov_b32_e32 v5, 0x78
	v_cndmask_b32_e32 v2, v2, v5, vcc
	v_add_u32_e32 v5, 20, v2
	v_or_b32_e32 v4, 0x800000, v3
	v_lshlrev_b64 v[5:6], v5, -1
	v_add_u32_e32 v7, 19, v2
	v_cndmask_b32_e32 v3, v4, v3, vcc
	v_lshlrev_b64 v[14:15], v7, 1
	v_mov_b32_e32 v4, v51
	v_bfi_b32 v6, v6, 0, 0
	v_bfi_b32 v5, v5, 0, v3
	v_cmp_eq_u64_e64 s[26:27], v[5:6], v[14:15]
	v_lshrrev_b64 v[14:15], v2, v[3:4]
	v_mov_b32_e32 v16, v15
	v_mov_b32_e32 v15, v14
	s_and_saveexec_b64 s[36:37], s[26:27]
; %bb.1826:                             ;   in Loop: Header=BB6_136 Depth=3
	v_bfe_u32 v3, v14, 20, 1
	v_add_co_u32_e64 v3, s[26:27], v14, v3
	v_add_co_u32_e64 v15, s[26:27], -1, v3
; %bb.1827:                             ;   in Loop: Header=BB6_136 Depth=3
	s_or_b64 exec, exec, s[36:37]
	v_add_u32_e32 v1, 0xffffff81, v1
	v_mov_b32_e32 v3, 0xffffff82
	v_cndmask_b32_e32 v1, v1, v3, vcc
	v_lshrrev_b32_e32 v3, 23, v14
	v_add3_u32 v3, v2, v1, v3
	v_add_u32_e32 v2, 6, v3
	v_and_b32_e32 v1, 0xfffff, v15
	v_add_u32_e32 v14, v1, v14
	v_mov_b32_e32 v15, v51
	v_cmp_ne_u32_e32 vcc, 0, v2
                                        ; implicit-def: $vgpr1
	s_and_saveexec_b64 s[26:27], vcc
	s_xor_b64 s[26:27], exec, s[26:27]
; %bb.1828:                             ;   in Loop: Header=BB6_136 Depth=3
	v_cmp_lt_u64_e32 vcc, s[88:89], v[14:15]
	v_add_u32_e32 v1, 7, v3
	v_cndmask_b32_e32 v1, v2, v1, vcc
	v_cndmask_b32_e64 v2, 0, 1, vcc
	v_lshrrev_b64 v[14:15], v2, v[14:15]
; %bb.1829:                             ;   in Loop: Header=BB6_136 Depth=3
	s_andn2_saveexec_b64 s[26:27], s[26:27]
; %bb.1830:                             ;   in Loop: Header=BB6_136 Depth=3
	v_bfe_u32 v1, v14, 23, 1
; %bb.1831:                             ;   in Loop: Header=BB6_136 Depth=3
	s_or_b64 exec, exec, s[26:27]
	v_lshrrev_b64 v[2:3], 20, v[14:15]
	v_cmp_gt_i32_e32 vcc, 16, v1
	v_cndmask_b32_e32 v3, 0, v3, vcc
	v_cndmask_b32_e32 v2, 7, v2, vcc
	v_cmp_eq_u32_e32 vcc, 0, v1
	v_min_i32_e32 v1, 15, v1
	v_cmp_eq_u64_e64 s[26:27], 0, v[2:3]
	v_lshlrev_b32_e32 v1, 3, v1
	v_and_b32_e32 v1, 0xf8, v1
	v_and_or_b32 v1, v2, 7, v1
	s_and_b64 s[26:27], vcc, s[26:27]
	v_cndmask_b32_e64 v1, v1, 0, s[26:27]
	v_or_b32_e32 v0, v1, v0
	buffer_store_dword v0, off, s[0:3], s33 offset:524 ; 4-byte Folded Spill
.LBB6_1832:                             ;   in Loop: Header=BB6_136 Depth=3
	s_or_b64 exec, exec, s[34:35]
                                        ; implicit-def: $vgpr0
.LBB6_1833:                             ;   in Loop: Header=BB6_136 Depth=3
	s_andn2_saveexec_b64 s[26:27], s[30:31]
	s_cbranch_execz .LBB6_1835
; %bb.1834:                             ;   in Loop: Header=BB6_136 Depth=3
	v_or_b32_e32 v0, 0x7e, v0
	buffer_store_dword v0, off, s[0:3], s33 offset:524 ; 4-byte Folded Spill
.LBB6_1835:                             ;   in Loop: Header=BB6_136 Depth=3
	s_or_b64 exec, exec, s[26:27]
                                        ; implicit-def: $vgpr1
.LBB6_1836:                             ;   in Loop: Header=BB6_136 Depth=3
	s_andn2_saveexec_b64 s[26:27], s[94:95]
	s_cbranch_execz .LBB6_1838
; %bb.1837:                             ;   in Loop: Header=BB6_136 Depth=3
	v_or_b32_sdwa v0, v1, s86 dst_sel:DWORD dst_unused:UNUSED_PAD src0_sel:BYTE_3 src1_sel:DWORD
	buffer_store_dword v0, off, s[0:3], s33 offset:524 ; 4-byte Folded Spill
.LBB6_1838:                             ;   in Loop: Header=BB6_136 Depth=3
	s_or_b64 exec, exec, s[26:27]
	v_lshrrev_b16_e32 v9, 8, v8
	v_cmp_ne_u16_e32 vcc, 0, v9
	v_mov_b32_e32 v0, 0
	s_and_saveexec_b64 s[26:27], vcc
	s_cbranch_execz .LBB6_1844
; %bb.1839:                             ;   in Loop: Header=BB6_136 Depth=3
	v_cmp_ne_u16_e32 vcc, s96, v9
	v_bfrev_b32_e32 v0, 1
	s_and_saveexec_b64 s[94:95], vcc
	s_cbranch_execz .LBB6_1843
; %bb.1840:                             ;   in Loop: Header=BB6_136 Depth=3
	v_and_b32_e32 v1, 0x7f, v9
	v_cmp_ne_u32_e32 vcc, s86, v1
	v_mov_b32_e32 v0, 0x7f800001
	s_and_saveexec_b64 s[30:31], vcc
	s_cbranch_execz .LBB6_1842
; %bb.1841:                             ;   in Loop: Header=BB6_136 Depth=3
	v_and_b32_e32 v2, 7, v9
	v_ffbh_u32_e32 v0, v2
	v_min_u32_e32 v4, 32, v0
	v_subrev_u32_e32 v0, 28, v4
	v_lshrrev_b32_e32 v3, 3, v1
	v_cmp_gt_u32_e32 vcc, 8, v1
	v_lshlrev_b64 v[0:1], v0, v[9:10]
	v_sub_u32_e32 v1, 29, v4
	v_and_b32_e32 v0, 7, v0
	v_cndmask_b32_e32 v1, v3, v1, vcc
	v_cndmask_b32_e32 v0, v2, v0, vcc
	v_lshlrev_b32_e32 v2, 16, v8
	v_bfrev_b32_e32 v3, 60
	v_lshlrev_b32_e32 v0, 20, v0
	v_and_b32_e32 v2, 0x80000000, v2
	v_lshl_add_u32 v1, v1, 23, v3
	v_or3_b32 v0, v2, v1, v0
.LBB6_1842:                             ;   in Loop: Header=BB6_136 Depth=3
	s_or_b64 exec, exec, s[30:31]
.LBB6_1843:                             ;   in Loop: Header=BB6_136 Depth=3
	s_or_b64 exec, exec, s[94:95]
.LBB6_1844:                             ;   in Loop: Header=BB6_136 Depth=3
	s_or_b64 exec, exec, s[26:27]
	v_mul_f32_e32 v1, v18, v0
	v_and_b32_e32 v2, 0x7f800000, v1
	v_mov_b32_e32 v3, v51
	v_cmp_ne_u64_e32 vcc, s[76:77], v[2:3]
                                        ; implicit-def: $vgpr0
                                        ; kill: killed $vgpr0
	s_and_saveexec_b64 s[26:27], vcc
	s_xor_b64 s[94:95], exec, s[26:27]
	s_cbranch_execz .LBB6_1858
; %bb.1845:                             ;   in Loop: Header=BB6_136 Depth=3
	v_and_b32_e32 v2, 0x7fffffff, v1
	v_mov_b32_e32 v3, v51
	v_cmp_gt_u64_e32 vcc, s[78:79], v[2:3]
	v_and_b32_sdwa v0, v1, s96 dst_sel:DWORD dst_unused:UNUSED_PAD src0_sel:BYTE_3 src1_sel:DWORD
                                        ; implicit-def: $vgpr2
                                        ; kill: killed $vgpr2
	s_and_saveexec_b64 s[26:27], vcc
	s_xor_b64 s[30:31], exec, s[26:27]
	s_cbranch_execz .LBB6_1855
; %bb.1846:                             ;   in Loop: Header=BB6_136 Depth=3
	v_mov_b32_e32 v2, 0
	v_cmp_ne_u32_e32 vcc, 0, v1
	buffer_store_dword v2, off, s[0:3], s33 offset:528 ; 4-byte Folded Spill
	s_and_saveexec_b64 s[34:35], vcc
	s_cbranch_execz .LBB6_1854
; %bb.1847:                             ;   in Loop: Header=BB6_136 Depth=3
	v_and_b32_e32 v3, 0x7fffff, v1
	v_bfe_u32 v1, v1, 23, 8
	v_cmp_gt_u32_e64 s[26:27], s97, v1
	v_sub_u32_e32 v2, 0x79, v1
	v_cmp_eq_u32_e32 vcc, 0, v1
	v_cndmask_b32_e64 v2, 0, v2, s[26:27]
	v_mov_b32_e32 v5, 0x78
	v_cndmask_b32_e32 v2, v2, v5, vcc
	v_add_u32_e32 v5, 20, v2
	v_or_b32_e32 v4, 0x800000, v3
	v_lshlrev_b64 v[5:6], v5, -1
	v_add_u32_e32 v7, 19, v2
	v_cndmask_b32_e32 v3, v4, v3, vcc
	v_lshlrev_b64 v[7:8], v7, 1
	v_mov_b32_e32 v4, v51
	v_bfi_b32 v6, v6, 0, 0
	v_bfi_b32 v5, v5, 0, v3
	v_cmp_eq_u64_e64 s[26:27], v[5:6], v[7:8]
	v_lshrrev_b64 v[8:9], v2, v[3:4]
	v_mov_b32_e32 v15, v9
	v_mov_b32_e32 v14, v8
	s_and_saveexec_b64 s[36:37], s[26:27]
; %bb.1848:                             ;   in Loop: Header=BB6_136 Depth=3
	v_bfe_u32 v3, v8, 20, 1
	v_add_co_u32_e64 v3, s[26:27], v8, v3
	v_add_co_u32_e64 v14, s[26:27], -1, v3
; %bb.1849:                             ;   in Loop: Header=BB6_136 Depth=3
	s_or_b64 exec, exec, s[36:37]
	v_add_u32_e32 v1, 0xffffff81, v1
	v_mov_b32_e32 v3, 0xffffff82
	v_cndmask_b32_e32 v1, v1, v3, vcc
	v_lshrrev_b32_e32 v3, 23, v8
	v_add3_u32 v3, v2, v1, v3
	v_add_u32_e32 v2, 6, v3
	v_and_b32_e32 v1, 0xfffff, v14
	v_add_u32_e32 v8, v1, v8
	v_mov_b32_e32 v9, v51
	v_cmp_ne_u32_e32 vcc, 0, v2
                                        ; implicit-def: $vgpr1
	s_and_saveexec_b64 s[26:27], vcc
	s_xor_b64 s[26:27], exec, s[26:27]
; %bb.1850:                             ;   in Loop: Header=BB6_136 Depth=3
	v_cmp_lt_u64_e32 vcc, s[88:89], v[8:9]
	v_add_u32_e32 v1, 7, v3
	v_cndmask_b32_e32 v1, v2, v1, vcc
	v_cndmask_b32_e64 v2, 0, 1, vcc
	v_lshrrev_b64 v[8:9], v2, v[8:9]
; %bb.1851:                             ;   in Loop: Header=BB6_136 Depth=3
	s_andn2_saveexec_b64 s[26:27], s[26:27]
; %bb.1852:                             ;   in Loop: Header=BB6_136 Depth=3
	v_bfe_u32 v1, v8, 23, 1
; %bb.1853:                             ;   in Loop: Header=BB6_136 Depth=3
	s_or_b64 exec, exec, s[26:27]
	v_lshrrev_b64 v[2:3], 20, v[8:9]
	v_cmp_gt_i32_e32 vcc, 16, v1
	v_cndmask_b32_e32 v3, 0, v3, vcc
	v_cndmask_b32_e32 v2, 7, v2, vcc
	v_cmp_eq_u32_e32 vcc, 0, v1
	v_min_i32_e32 v1, 15, v1
	v_cmp_eq_u64_e64 s[26:27], 0, v[2:3]
	v_lshlrev_b32_e32 v1, 3, v1
	v_and_b32_e32 v1, 0xf8, v1
	v_and_or_b32 v1, v2, 7, v1
	s_and_b64 s[26:27], vcc, s[26:27]
	v_cndmask_b32_e64 v1, v1, 0, s[26:27]
	v_or_b32_e32 v0, v1, v0
	buffer_store_dword v0, off, s[0:3], s33 offset:528 ; 4-byte Folded Spill
.LBB6_1854:                             ;   in Loop: Header=BB6_136 Depth=3
	s_or_b64 exec, exec, s[34:35]
                                        ; implicit-def: $vgpr0
.LBB6_1855:                             ;   in Loop: Header=BB6_136 Depth=3
	s_andn2_saveexec_b64 s[26:27], s[30:31]
	s_cbranch_execz .LBB6_1857
; %bb.1856:                             ;   in Loop: Header=BB6_136 Depth=3
	v_or_b32_e32 v0, 0x7e, v0
	buffer_store_dword v0, off, s[0:3], s33 offset:528 ; 4-byte Folded Spill
.LBB6_1857:                             ;   in Loop: Header=BB6_136 Depth=3
	s_or_b64 exec, exec, s[26:27]
                                        ; implicit-def: $vgpr1
.LBB6_1858:                             ;   in Loop: Header=BB6_136 Depth=3
	s_andn2_saveexec_b64 s[26:27], s[94:95]
	s_cbranch_execz .LBB6_1860
; %bb.1859:                             ;   in Loop: Header=BB6_136 Depth=3
	v_or_b32_sdwa v0, v1, s86 dst_sel:DWORD dst_unused:UNUSED_PAD src0_sel:BYTE_3 src1_sel:DWORD
	buffer_store_dword v0, off, s[0:3], s33 offset:528 ; 4-byte Folded Spill
.LBB6_1860:                             ;   in Loop: Header=BB6_136 Depth=3
	s_or_b64 exec, exec, s[26:27]
	v_lshrrev_b32_e32 v8, 16, v11
	v_cmp_ne_u16_sdwa s[94:95], v8, v51 src0_sel:BYTE_0 src1_sel:DWORD
	v_mov_b32_e32 v0, 0
	s_and_saveexec_b64 s[26:27], s[94:95]
	s_cbranch_execz .LBB6_1866
; %bb.1861:                             ;   in Loop: Header=BB6_136 Depth=3
	v_cmp_ne_u16_sdwa vcc, v8, s96 src0_sel:BYTE_0 src1_sel:DWORD
	v_bfrev_b32_e32 v0, 1
	s_and_saveexec_b64 s[94:95], vcc
	s_cbranch_execz .LBB6_1865
; %bb.1862:                             ;   in Loop: Header=BB6_136 Depth=3
	v_bfe_u32 v1, v11, 16, 7
	v_cmp_ne_u32_e32 vcc, s86, v1
	v_mov_b32_e32 v0, 0x7f800001
	s_and_saveexec_b64 s[30:31], vcc
	s_cbranch_execz .LBB6_1864
; %bb.1863:                             ;   in Loop: Header=BB6_136 Depth=3
	v_and_b32_e32 v2, 7, v8
	v_ffbh_u32_e32 v0, v2
	v_min_u32_e32 v4, 32, v0
	v_subrev_u32_e32 v0, 28, v4
	v_lshrrev_b32_e32 v3, 3, v1
	v_cmp_gt_u32_e32 vcc, 8, v1
	v_lshlrev_b64 v[0:1], v0, v[8:9]
	v_sub_u32_e32 v1, 29, v4
	v_and_b32_e32 v0, 7, v0
	v_cndmask_b32_e32 v1, v3, v1, vcc
	v_cndmask_b32_e32 v0, v2, v0, vcc
	v_lshlrev_b32_e32 v2, 24, v8
	v_bfrev_b32_e32 v3, 60
	v_lshlrev_b32_e32 v0, 20, v0
	v_and_b32_e32 v2, 0x80000000, v2
	v_lshl_add_u32 v1, v1, 23, v3
	v_or3_b32 v0, v2, v1, v0
.LBB6_1864:                             ;   in Loop: Header=BB6_136 Depth=3
	s_or_b64 exec, exec, s[30:31]
.LBB6_1865:                             ;   in Loop: Header=BB6_136 Depth=3
	s_or_b64 exec, exec, s[94:95]
.LBB6_1866:                             ;   in Loop: Header=BB6_136 Depth=3
	s_or_b64 exec, exec, s[26:27]
	v_mul_f32_e32 v1, v18, v0
	v_and_b32_e32 v2, 0x7f800000, v1
	v_mov_b32_e32 v3, v51
	v_cmp_ne_u64_e32 vcc, s[76:77], v[2:3]
                                        ; implicit-def: $vgpr0
                                        ; kill: killed $vgpr0
	s_and_saveexec_b64 s[26:27], vcc
	s_xor_b64 s[94:95], exec, s[26:27]
	s_cbranch_execz .LBB6_1880
; %bb.1867:                             ;   in Loop: Header=BB6_136 Depth=3
	v_and_b32_e32 v2, 0x7fffffff, v1
	v_mov_b32_e32 v3, v51
	v_cmp_gt_u64_e32 vcc, s[78:79], v[2:3]
	v_and_b32_sdwa v0, v1, s96 dst_sel:DWORD dst_unused:UNUSED_PAD src0_sel:BYTE_3 src1_sel:DWORD
                                        ; implicit-def: $vgpr2
                                        ; kill: killed $vgpr2
	s_and_saveexec_b64 s[26:27], vcc
	s_xor_b64 s[30:31], exec, s[26:27]
	s_cbranch_execz .LBB6_1877
; %bb.1868:                             ;   in Loop: Header=BB6_136 Depth=3
	v_mov_b32_e32 v2, 0
	v_cmp_ne_u32_e32 vcc, 0, v1
	buffer_store_dword v2, off, s[0:3], s33 offset:532 ; 4-byte Folded Spill
	s_and_saveexec_b64 s[34:35], vcc
	s_cbranch_execz .LBB6_1876
; %bb.1869:                             ;   in Loop: Header=BB6_136 Depth=3
	v_and_b32_e32 v3, 0x7fffff, v1
	v_bfe_u32 v1, v1, 23, 8
	v_cmp_gt_u32_e64 s[26:27], s97, v1
	v_sub_u32_e32 v2, 0x79, v1
	v_cmp_eq_u32_e32 vcc, 0, v1
	v_cndmask_b32_e64 v2, 0, v2, s[26:27]
	v_mov_b32_e32 v5, 0x78
	v_cndmask_b32_e32 v2, v2, v5, vcc
	v_add_u32_e32 v5, 20, v2
	v_or_b32_e32 v4, 0x800000, v3
	v_lshlrev_b64 v[5:6], v5, -1
	v_add_u32_e32 v7, 19, v2
	v_cndmask_b32_e32 v3, v4, v3, vcc
	v_lshlrev_b64 v[7:8], v7, 1
	v_mov_b32_e32 v4, v51
	v_bfi_b32 v6, v6, 0, 0
	v_bfi_b32 v5, v5, 0, v3
	v_cmp_eq_u64_e64 s[26:27], v[5:6], v[7:8]
	v_lshrrev_b64 v[8:9], v2, v[3:4]
	v_mov_b32_e32 v15, v9
	v_mov_b32_e32 v14, v8
	s_and_saveexec_b64 s[36:37], s[26:27]
; %bb.1870:                             ;   in Loop: Header=BB6_136 Depth=3
	v_bfe_u32 v3, v8, 20, 1
	v_add_co_u32_e64 v3, s[26:27], v8, v3
	v_add_co_u32_e64 v14, s[26:27], -1, v3
; %bb.1871:                             ;   in Loop: Header=BB6_136 Depth=3
	s_or_b64 exec, exec, s[36:37]
	v_add_u32_e32 v1, 0xffffff81, v1
	v_mov_b32_e32 v3, 0xffffff82
	v_cndmask_b32_e32 v1, v1, v3, vcc
	v_lshrrev_b32_e32 v3, 23, v8
	v_add3_u32 v3, v2, v1, v3
	v_add_u32_e32 v2, 6, v3
	v_and_b32_e32 v1, 0xfffff, v14
	v_add_u32_e32 v8, v1, v8
	v_mov_b32_e32 v9, v51
	v_cmp_ne_u32_e32 vcc, 0, v2
                                        ; implicit-def: $vgpr1
	s_and_saveexec_b64 s[26:27], vcc
	s_xor_b64 s[26:27], exec, s[26:27]
; %bb.1872:                             ;   in Loop: Header=BB6_136 Depth=3
	v_cmp_lt_u64_e32 vcc, s[88:89], v[8:9]
	v_add_u32_e32 v1, 7, v3
	v_cndmask_b32_e32 v1, v2, v1, vcc
	v_cndmask_b32_e64 v2, 0, 1, vcc
	v_lshrrev_b64 v[8:9], v2, v[8:9]
; %bb.1873:                             ;   in Loop: Header=BB6_136 Depth=3
	s_andn2_saveexec_b64 s[26:27], s[26:27]
; %bb.1874:                             ;   in Loop: Header=BB6_136 Depth=3
	v_bfe_u32 v1, v8, 23, 1
; %bb.1875:                             ;   in Loop: Header=BB6_136 Depth=3
	s_or_b64 exec, exec, s[26:27]
	v_lshrrev_b64 v[2:3], 20, v[8:9]
	v_cmp_gt_i32_e32 vcc, 16, v1
	v_cndmask_b32_e32 v3, 0, v3, vcc
	v_cndmask_b32_e32 v2, 7, v2, vcc
	v_cmp_eq_u32_e32 vcc, 0, v1
	v_min_i32_e32 v1, 15, v1
	v_cmp_eq_u64_e64 s[26:27], 0, v[2:3]
	v_lshlrev_b32_e32 v1, 3, v1
	v_and_b32_e32 v1, 0xf8, v1
	v_and_or_b32 v1, v2, 7, v1
	s_and_b64 s[26:27], vcc, s[26:27]
	v_cndmask_b32_e64 v1, v1, 0, s[26:27]
	v_or_b32_e32 v0, v1, v0
	buffer_store_dword v0, off, s[0:3], s33 offset:532 ; 4-byte Folded Spill
.LBB6_1876:                             ;   in Loop: Header=BB6_136 Depth=3
	s_or_b64 exec, exec, s[34:35]
                                        ; implicit-def: $vgpr0
.LBB6_1877:                             ;   in Loop: Header=BB6_136 Depth=3
	s_andn2_saveexec_b64 s[26:27], s[30:31]
	s_cbranch_execz .LBB6_1879
; %bb.1878:                             ;   in Loop: Header=BB6_136 Depth=3
	v_or_b32_e32 v0, 0x7e, v0
	buffer_store_dword v0, off, s[0:3], s33 offset:532 ; 4-byte Folded Spill
.LBB6_1879:                             ;   in Loop: Header=BB6_136 Depth=3
	s_or_b64 exec, exec, s[26:27]
                                        ; implicit-def: $vgpr1
.LBB6_1880:                             ;   in Loop: Header=BB6_136 Depth=3
	s_andn2_saveexec_b64 s[26:27], s[94:95]
	s_cbranch_execz .LBB6_1882
; %bb.1881:                             ;   in Loop: Header=BB6_136 Depth=3
	v_or_b32_sdwa v0, v1, s86 dst_sel:DWORD dst_unused:UNUSED_PAD src0_sel:BYTE_3 src1_sel:DWORD
	buffer_store_dword v0, off, s[0:3], s33 offset:532 ; 4-byte Folded Spill
.LBB6_1882:                             ;   in Loop: Header=BB6_136 Depth=3
	s_or_b64 exec, exec, s[26:27]
	v_cmp_lt_u64_e32 vcc, s[56:57], v[10:11]
	v_mov_b32_e32 v0, 0
	s_and_saveexec_b64 s[26:27], vcc
	s_cbranch_execz .LBB6_1888
; %bb.1883:                             ;   in Loop: Header=BB6_136 Depth=3
	v_lshrrev_b32_e32 v8, 24, v11
	v_cmp_ne_u32_e32 vcc, s96, v8
	v_bfrev_b32_e32 v0, 1
	s_and_saveexec_b64 s[94:95], vcc
	s_cbranch_execz .LBB6_1887
; %bb.1884:                             ;   in Loop: Header=BB6_136 Depth=3
	v_bfe_u32 v1, v11, 24, 7
	v_cmp_ne_u32_e32 vcc, s86, v1
	v_mov_b32_e32 v0, 0x7f800001
	s_and_saveexec_b64 s[30:31], vcc
	s_cbranch_execz .LBB6_1886
; %bb.1885:                             ;   in Loop: Header=BB6_136 Depth=3
	v_and_b32_e32 v2, 7, v8
	v_ffbh_u32_e32 v0, v2
	v_min_u32_e32 v4, 32, v0
	v_subrev_u32_e32 v0, 28, v4
	v_lshrrev_b32_e32 v3, 3, v1
	v_cmp_gt_u32_e32 vcc, 8, v1
	v_lshlrev_b64 v[0:1], v0, v[8:9]
	v_sub_u32_e32 v1, 29, v4
	v_and_b32_e32 v0, 7, v0
	v_cndmask_b32_e32 v1, v3, v1, vcc
	v_cndmask_b32_e32 v0, v2, v0, vcc
	v_lshlrev_b32_e32 v2, 24, v8
	v_bfrev_b32_e32 v3, 60
	v_lshlrev_b32_e32 v0, 20, v0
	v_and_b32_e32 v2, 0x80000000, v2
	v_lshl_add_u32 v1, v1, 23, v3
	v_or3_b32 v0, v2, v1, v0
.LBB6_1886:                             ;   in Loop: Header=BB6_136 Depth=3
	s_or_b64 exec, exec, s[30:31]
.LBB6_1887:                             ;   in Loop: Header=BB6_136 Depth=3
	s_or_b64 exec, exec, s[94:95]
.LBB6_1888:                             ;   in Loop: Header=BB6_136 Depth=3
	s_or_b64 exec, exec, s[26:27]
	v_mul_f32_e32 v1, v18, v0
	v_and_b32_e32 v2, 0x7f800000, v1
	v_mov_b32_e32 v3, v51
	v_cmp_ne_u64_e32 vcc, s[76:77], v[2:3]
                                        ; implicit-def: $vgpr0
                                        ; kill: killed $vgpr0
	s_and_saveexec_b64 s[26:27], vcc
	s_xor_b64 s[94:95], exec, s[26:27]
	s_cbranch_execz .LBB6_1902
; %bb.1889:                             ;   in Loop: Header=BB6_136 Depth=3
	v_and_b32_e32 v2, 0x7fffffff, v1
	v_mov_b32_e32 v3, v51
	v_cmp_gt_u64_e32 vcc, s[78:79], v[2:3]
	v_and_b32_sdwa v0, v1, s96 dst_sel:DWORD dst_unused:UNUSED_PAD src0_sel:BYTE_3 src1_sel:DWORD
                                        ; implicit-def: $vgpr2
                                        ; kill: killed $vgpr2
	s_and_saveexec_b64 s[26:27], vcc
	s_xor_b64 s[30:31], exec, s[26:27]
	s_cbranch_execz .LBB6_1899
; %bb.1890:                             ;   in Loop: Header=BB6_136 Depth=3
	v_mov_b32_e32 v2, 0
	v_cmp_ne_u32_e32 vcc, 0, v1
	buffer_store_dword v2, off, s[0:3], s33 offset:536 ; 4-byte Folded Spill
	s_and_saveexec_b64 s[34:35], vcc
	s_cbranch_execz .LBB6_1898
; %bb.1891:                             ;   in Loop: Header=BB6_136 Depth=3
	v_and_b32_e32 v3, 0x7fffff, v1
	v_bfe_u32 v1, v1, 23, 8
	v_cmp_gt_u32_e64 s[26:27], s97, v1
	v_sub_u32_e32 v2, 0x79, v1
	v_cmp_eq_u32_e32 vcc, 0, v1
	v_cndmask_b32_e64 v2, 0, v2, s[26:27]
	v_mov_b32_e32 v5, 0x78
	v_cndmask_b32_e32 v2, v2, v5, vcc
	v_add_u32_e32 v5, 20, v2
	v_or_b32_e32 v4, 0x800000, v3
	v_lshlrev_b64 v[5:6], v5, -1
	v_add_u32_e32 v7, 19, v2
	v_cndmask_b32_e32 v3, v4, v3, vcc
	v_lshlrev_b64 v[7:8], v7, 1
	v_mov_b32_e32 v4, v51
	v_bfi_b32 v6, v6, 0, 0
	v_bfi_b32 v5, v5, 0, v3
	v_cmp_eq_u64_e64 s[26:27], v[5:6], v[7:8]
	v_lshrrev_b64 v[8:9], v2, v[3:4]
	v_mov_b32_e32 v10, v9
	v_mov_b32_e32 v9, v8
	s_and_saveexec_b64 s[36:37], s[26:27]
; %bb.1892:                             ;   in Loop: Header=BB6_136 Depth=3
	v_bfe_u32 v3, v8, 20, 1
	v_add_co_u32_e64 v3, s[26:27], v8, v3
	v_add_co_u32_e64 v9, s[26:27], -1, v3
; %bb.1893:                             ;   in Loop: Header=BB6_136 Depth=3
	s_or_b64 exec, exec, s[36:37]
	v_add_u32_e32 v1, 0xffffff81, v1
	v_mov_b32_e32 v3, 0xffffff82
	v_cndmask_b32_e32 v1, v1, v3, vcc
	v_lshrrev_b32_e32 v3, 23, v8
	v_add3_u32 v3, v2, v1, v3
	v_add_u32_e32 v2, 6, v3
	v_and_b32_e32 v1, 0xfffff, v9
	v_add_u32_e32 v8, v1, v8
	v_mov_b32_e32 v9, v51
	v_cmp_ne_u32_e32 vcc, 0, v2
                                        ; implicit-def: $vgpr1
	s_and_saveexec_b64 s[26:27], vcc
	s_xor_b64 s[26:27], exec, s[26:27]
; %bb.1894:                             ;   in Loop: Header=BB6_136 Depth=3
	v_cmp_lt_u64_e32 vcc, s[88:89], v[8:9]
	v_add_u32_e32 v1, 7, v3
	v_cndmask_b32_e32 v1, v2, v1, vcc
	v_cndmask_b32_e64 v2, 0, 1, vcc
	v_lshrrev_b64 v[8:9], v2, v[8:9]
; %bb.1895:                             ;   in Loop: Header=BB6_136 Depth=3
	s_andn2_saveexec_b64 s[26:27], s[26:27]
; %bb.1896:                             ;   in Loop: Header=BB6_136 Depth=3
	v_bfe_u32 v1, v8, 23, 1
; %bb.1897:                             ;   in Loop: Header=BB6_136 Depth=3
	s_or_b64 exec, exec, s[26:27]
	v_lshrrev_b64 v[2:3], 20, v[8:9]
	v_cmp_gt_i32_e32 vcc, 16, v1
	v_cndmask_b32_e32 v3, 0, v3, vcc
	v_cndmask_b32_e32 v2, 7, v2, vcc
	v_cmp_eq_u32_e32 vcc, 0, v1
	v_min_i32_e32 v1, 15, v1
	v_cmp_eq_u64_e64 s[26:27], 0, v[2:3]
	v_lshlrev_b32_e32 v1, 3, v1
	v_and_b32_e32 v1, 0xf8, v1
	v_and_or_b32 v1, v2, 7, v1
	s_and_b64 s[26:27], vcc, s[26:27]
	v_cndmask_b32_e64 v1, v1, 0, s[26:27]
	v_or_b32_e32 v0, v1, v0
	buffer_store_dword v0, off, s[0:3], s33 offset:536 ; 4-byte Folded Spill
.LBB6_1898:                             ;   in Loop: Header=BB6_136 Depth=3
	s_or_b64 exec, exec, s[34:35]
                                        ; implicit-def: $vgpr0
.LBB6_1899:                             ;   in Loop: Header=BB6_136 Depth=3
	s_andn2_saveexec_b64 s[26:27], s[30:31]
	s_cbranch_execz .LBB6_1901
; %bb.1900:                             ;   in Loop: Header=BB6_136 Depth=3
	v_or_b32_e32 v0, 0x7e, v0
	buffer_store_dword v0, off, s[0:3], s33 offset:536 ; 4-byte Folded Spill
.LBB6_1901:                             ;   in Loop: Header=BB6_136 Depth=3
	s_or_b64 exec, exec, s[26:27]
                                        ; implicit-def: $vgpr1
.LBB6_1902:                             ;   in Loop: Header=BB6_136 Depth=3
	s_andn2_saveexec_b64 s[26:27], s[94:95]
	s_cbranch_execz .LBB6_1904
; %bb.1903:                             ;   in Loop: Header=BB6_136 Depth=3
	v_or_b32_sdwa v0, v1, s86 dst_sel:DWORD dst_unused:UNUSED_PAD src0_sel:BYTE_3 src1_sel:DWORD
	buffer_store_dword v0, off, s[0:3], s33 offset:536 ; 4-byte Folded Spill
.LBB6_1904:                             ;   in Loop: Header=BB6_136 Depth=3
	s_or_b64 exec, exec, s[26:27]
	v_add_co_u32_e32 v0, vcc, 0x1000, v12
	v_addc_co_u32_e32 v1, vcc, 0, v13, vcc
	global_load_dwordx4 v[8:11], v[0:1], off offset:1024 glc slc
	v_mov_b32_e32 v0, 0
	s_waitcnt vmcnt(0)
	v_cmp_ne_u16_sdwa s[94:95], v8, v51 src0_sel:BYTE_0 src1_sel:DWORD
	s_and_saveexec_b64 s[26:27], s[94:95]
	s_cbranch_execz .LBB6_1910
; %bb.1905:                             ;   in Loop: Header=BB6_136 Depth=3
	v_cmp_ne_u16_sdwa vcc, v8, s96 src0_sel:BYTE_0 src1_sel:DWORD
	v_bfrev_b32_e32 v0, 1
	s_and_saveexec_b64 s[94:95], vcc
	s_cbranch_execz .LBB6_1909
; %bb.1906:                             ;   in Loop: Header=BB6_136 Depth=3
	v_and_b32_e32 v1, 0x7f, v8
	v_cmp_ne_u32_e32 vcc, s86, v1
	v_mov_b32_e32 v0, 0x7f800001
	s_and_saveexec_b64 s[30:31], vcc
	s_cbranch_execz .LBB6_1908
; %bb.1907:                             ;   in Loop: Header=BB6_136 Depth=3
	v_and_b32_e32 v0, 7, v8
	v_ffbh_u32_e32 v0, v0
	v_min_u32_e32 v0, 32, v0
	v_lshrrev_b32_e32 v2, 3, v1
	v_cmp_gt_u32_e32 vcc, 8, v1
	v_subrev_u32_e32 v1, 28, v0
	v_sub_u32_e32 v0, 29, v0
	v_cndmask_b32_e32 v2, v2, v0, vcc
	v_cndmask_b32_e32 v0, 0, v1, vcc
	v_lshlrev_b64 v[0:1], v0, v[8:9]
	v_lshlrev_b32_e32 v1, 24, v8
	v_lshlrev_b32_e32 v0, 20, v0
	v_bfrev_b32_e32 v3, 60
	v_and_b32_e32 v0, 0x700000, v0
	v_and_b32_e32 v1, 0x80000000, v1
	v_lshl_add_u32 v2, v2, 23, v3
	v_or3_b32 v0, v1, v2, v0
.LBB6_1908:                             ;   in Loop: Header=BB6_136 Depth=3
	s_or_b64 exec, exec, s[30:31]
.LBB6_1909:                             ;   in Loop: Header=BB6_136 Depth=3
	s_or_b64 exec, exec, s[94:95]
.LBB6_1910:                             ;   in Loop: Header=BB6_136 Depth=3
	s_or_b64 exec, exec, s[26:27]
	v_mul_f32_e32 v1, v18, v0
	v_and_b32_e32 v2, 0x7f800000, v1
	v_mov_b32_e32 v3, v51
	v_cmp_ne_u64_e32 vcc, s[76:77], v[2:3]
                                        ; implicit-def: $vgpr0
                                        ; kill: killed $vgpr0
	s_and_saveexec_b64 s[26:27], vcc
	s_xor_b64 s[94:95], exec, s[26:27]
	s_cbranch_execz .LBB6_1924
; %bb.1911:                             ;   in Loop: Header=BB6_136 Depth=3
	v_and_b32_e32 v2, 0x7fffffff, v1
	v_mov_b32_e32 v3, v51
	v_cmp_gt_u64_e32 vcc, s[78:79], v[2:3]
	v_and_b32_sdwa v0, v1, s96 dst_sel:DWORD dst_unused:UNUSED_PAD src0_sel:BYTE_3 src1_sel:DWORD
                                        ; implicit-def: $vgpr2
                                        ; kill: killed $vgpr2
	s_and_saveexec_b64 s[26:27], vcc
	s_xor_b64 s[30:31], exec, s[26:27]
	s_cbranch_execz .LBB6_1921
; %bb.1912:                             ;   in Loop: Header=BB6_136 Depth=3
	v_mov_b32_e32 v2, 0
	v_cmp_ne_u32_e32 vcc, 0, v1
	buffer_store_dword v2, off, s[0:3], s33 offset:540 ; 4-byte Folded Spill
	s_and_saveexec_b64 s[34:35], vcc
	s_cbranch_execz .LBB6_1920
; %bb.1913:                             ;   in Loop: Header=BB6_136 Depth=3
	v_and_b32_e32 v3, 0x7fffff, v1
	v_bfe_u32 v1, v1, 23, 8
	v_cmp_gt_u32_e64 s[26:27], s97, v1
	v_sub_u32_e32 v2, 0x79, v1
	v_cmp_eq_u32_e32 vcc, 0, v1
	v_cndmask_b32_e64 v2, 0, v2, s[26:27]
	v_mov_b32_e32 v5, 0x78
	v_cndmask_b32_e32 v2, v2, v5, vcc
	v_add_u32_e32 v5, 20, v2
	v_or_b32_e32 v4, 0x800000, v3
	v_lshlrev_b64 v[5:6], v5, -1
	v_add_u32_e32 v7, 19, v2
	v_cndmask_b32_e32 v3, v4, v3, vcc
	v_lshlrev_b64 v[14:15], v7, 1
	v_mov_b32_e32 v4, v51
	v_bfi_b32 v6, v6, 0, 0
	v_bfi_b32 v5, v5, 0, v3
	v_cmp_eq_u64_e64 s[26:27], v[5:6], v[14:15]
	v_lshrrev_b64 v[14:15], v2, v[3:4]
	v_mov_b32_e32 v16, v15
	v_mov_b32_e32 v15, v14
	s_and_saveexec_b64 s[36:37], s[26:27]
; %bb.1914:                             ;   in Loop: Header=BB6_136 Depth=3
	v_bfe_u32 v3, v14, 20, 1
	v_add_co_u32_e64 v3, s[26:27], v14, v3
	v_add_co_u32_e64 v15, s[26:27], -1, v3
; %bb.1915:                             ;   in Loop: Header=BB6_136 Depth=3
	s_or_b64 exec, exec, s[36:37]
	v_add_u32_e32 v1, 0xffffff81, v1
	v_mov_b32_e32 v3, 0xffffff82
	v_cndmask_b32_e32 v1, v1, v3, vcc
	v_lshrrev_b32_e32 v3, 23, v14
	v_add3_u32 v3, v2, v1, v3
	v_add_u32_e32 v2, 6, v3
	v_and_b32_e32 v1, 0xfffff, v15
	v_add_u32_e32 v14, v1, v14
	v_mov_b32_e32 v15, v51
	v_cmp_ne_u32_e32 vcc, 0, v2
                                        ; implicit-def: $vgpr1
	s_and_saveexec_b64 s[26:27], vcc
	s_xor_b64 s[26:27], exec, s[26:27]
; %bb.1916:                             ;   in Loop: Header=BB6_136 Depth=3
	v_cmp_lt_u64_e32 vcc, s[88:89], v[14:15]
	v_add_u32_e32 v1, 7, v3
	v_cndmask_b32_e32 v1, v2, v1, vcc
	v_cndmask_b32_e64 v2, 0, 1, vcc
	v_lshrrev_b64 v[14:15], v2, v[14:15]
; %bb.1917:                             ;   in Loop: Header=BB6_136 Depth=3
	s_andn2_saveexec_b64 s[26:27], s[26:27]
; %bb.1918:                             ;   in Loop: Header=BB6_136 Depth=3
	v_bfe_u32 v1, v14, 23, 1
; %bb.1919:                             ;   in Loop: Header=BB6_136 Depth=3
	s_or_b64 exec, exec, s[26:27]
	v_lshrrev_b64 v[2:3], 20, v[14:15]
	v_cmp_gt_i32_e32 vcc, 16, v1
	v_cndmask_b32_e32 v3, 0, v3, vcc
	v_cndmask_b32_e32 v2, 7, v2, vcc
	v_cmp_eq_u32_e32 vcc, 0, v1
	v_min_i32_e32 v1, 15, v1
	v_cmp_eq_u64_e64 s[26:27], 0, v[2:3]
	v_lshlrev_b32_e32 v1, 3, v1
	v_and_b32_e32 v1, 0xf8, v1
	v_and_or_b32 v1, v2, 7, v1
	s_and_b64 s[26:27], vcc, s[26:27]
	v_cndmask_b32_e64 v1, v1, 0, s[26:27]
	v_or_b32_e32 v0, v1, v0
	buffer_store_dword v0, off, s[0:3], s33 offset:540 ; 4-byte Folded Spill
.LBB6_1920:                             ;   in Loop: Header=BB6_136 Depth=3
	s_or_b64 exec, exec, s[34:35]
                                        ; implicit-def: $vgpr0
.LBB6_1921:                             ;   in Loop: Header=BB6_136 Depth=3
	s_andn2_saveexec_b64 s[26:27], s[30:31]
	s_cbranch_execz .LBB6_1923
; %bb.1922:                             ;   in Loop: Header=BB6_136 Depth=3
	v_or_b32_e32 v0, 0x7e, v0
	buffer_store_dword v0, off, s[0:3], s33 offset:540 ; 4-byte Folded Spill
.LBB6_1923:                             ;   in Loop: Header=BB6_136 Depth=3
	s_or_b64 exec, exec, s[26:27]
                                        ; implicit-def: $vgpr1
.LBB6_1924:                             ;   in Loop: Header=BB6_136 Depth=3
	s_andn2_saveexec_b64 s[26:27], s[94:95]
	s_cbranch_execz .LBB6_1926
; %bb.1925:                             ;   in Loop: Header=BB6_136 Depth=3
	v_or_b32_sdwa v0, v1, s86 dst_sel:DWORD dst_unused:UNUSED_PAD src0_sel:BYTE_3 src1_sel:DWORD
	buffer_store_dword v0, off, s[0:3], s33 offset:540 ; 4-byte Folded Spill
.LBB6_1926:                             ;   in Loop: Header=BB6_136 Depth=3
	s_or_b64 exec, exec, s[26:27]
	v_lshrrev_b16_e32 v14, 8, v8
	v_cmp_ne_u16_e32 vcc, 0, v14
	v_mov_b32_e32 v0, 0
	s_and_saveexec_b64 s[26:27], vcc
	s_cbranch_execz .LBB6_1932
; %bb.1927:                             ;   in Loop: Header=BB6_136 Depth=3
	v_cmp_ne_u16_e32 vcc, s96, v14
	v_bfrev_b32_e32 v0, 1
	s_and_saveexec_b64 s[94:95], vcc
	s_cbranch_execz .LBB6_1931
; %bb.1928:                             ;   in Loop: Header=BB6_136 Depth=3
	v_and_b32_e32 v1, 0x7f, v14
	v_cmp_ne_u32_e32 vcc, s86, v1
	v_mov_b32_e32 v0, 0x7f800001
	s_and_saveexec_b64 s[30:31], vcc
	s_cbranch_execz .LBB6_1930
; %bb.1929:                             ;   in Loop: Header=BB6_136 Depth=3
	v_and_b32_e32 v2, 7, v14
	v_ffbh_u32_e32 v0, v2
	v_min_u32_e32 v4, 32, v0
	v_subrev_u32_e32 v0, 28, v4
	v_lshrrev_b32_e32 v3, 3, v1
	v_cmp_gt_u32_e32 vcc, 8, v1
	v_lshlrev_b64 v[0:1], v0, v[14:15]
	v_sub_u32_e32 v1, 29, v4
	v_and_b32_e32 v0, 7, v0
	v_cndmask_b32_e32 v1, v3, v1, vcc
	v_cndmask_b32_e32 v0, v2, v0, vcc
	v_lshlrev_b32_e32 v2, 16, v8
	v_bfrev_b32_e32 v3, 60
	v_lshlrev_b32_e32 v0, 20, v0
	v_and_b32_e32 v2, 0x80000000, v2
	v_lshl_add_u32 v1, v1, 23, v3
	v_or3_b32 v0, v2, v1, v0
.LBB6_1930:                             ;   in Loop: Header=BB6_136 Depth=3
	s_or_b64 exec, exec, s[30:31]
.LBB6_1931:                             ;   in Loop: Header=BB6_136 Depth=3
	s_or_b64 exec, exec, s[94:95]
.LBB6_1932:                             ;   in Loop: Header=BB6_136 Depth=3
	s_or_b64 exec, exec, s[26:27]
	v_mul_f32_e32 v1, v18, v0
	v_and_b32_e32 v2, 0x7f800000, v1
	v_mov_b32_e32 v3, v51
	v_cmp_ne_u64_e32 vcc, s[76:77], v[2:3]
                                        ; implicit-def: $vgpr0
                                        ; kill: killed $vgpr0
	s_and_saveexec_b64 s[26:27], vcc
	s_xor_b64 s[94:95], exec, s[26:27]
	s_cbranch_execz .LBB6_1946
; %bb.1933:                             ;   in Loop: Header=BB6_136 Depth=3
	v_and_b32_e32 v2, 0x7fffffff, v1
	v_mov_b32_e32 v3, v51
	v_cmp_gt_u64_e32 vcc, s[78:79], v[2:3]
	v_and_b32_sdwa v0, v1, s96 dst_sel:DWORD dst_unused:UNUSED_PAD src0_sel:BYTE_3 src1_sel:DWORD
                                        ; implicit-def: $vgpr2
                                        ; kill: killed $vgpr2
	s_and_saveexec_b64 s[26:27], vcc
	s_xor_b64 s[30:31], exec, s[26:27]
	s_cbranch_execz .LBB6_1943
; %bb.1934:                             ;   in Loop: Header=BB6_136 Depth=3
	v_mov_b32_e32 v2, 0
	v_cmp_ne_u32_e32 vcc, 0, v1
	buffer_store_dword v2, off, s[0:3], s33 offset:544 ; 4-byte Folded Spill
	s_and_saveexec_b64 s[34:35], vcc
	s_cbranch_execz .LBB6_1942
; %bb.1935:                             ;   in Loop: Header=BB6_136 Depth=3
	v_and_b32_e32 v3, 0x7fffff, v1
	v_bfe_u32 v1, v1, 23, 8
	v_cmp_gt_u32_e64 s[26:27], s97, v1
	v_sub_u32_e32 v2, 0x79, v1
	v_cmp_eq_u32_e32 vcc, 0, v1
	v_cndmask_b32_e64 v2, 0, v2, s[26:27]
	v_mov_b32_e32 v5, 0x78
	v_cndmask_b32_e32 v2, v2, v5, vcc
	v_add_u32_e32 v5, 20, v2
	v_or_b32_e32 v4, 0x800000, v3
	v_lshlrev_b64 v[5:6], v5, -1
	v_add_u32_e32 v7, 19, v2
	v_cndmask_b32_e32 v3, v4, v3, vcc
	v_lshlrev_b64 v[14:15], v7, 1
	v_mov_b32_e32 v4, v51
	v_bfi_b32 v6, v6, 0, 0
	v_bfi_b32 v5, v5, 0, v3
	v_cmp_eq_u64_e64 s[26:27], v[5:6], v[14:15]
	v_lshrrev_b64 v[14:15], v2, v[3:4]
	v_mov_b32_e32 v16, v15
	v_mov_b32_e32 v15, v14
	s_and_saveexec_b64 s[36:37], s[26:27]
; %bb.1936:                             ;   in Loop: Header=BB6_136 Depth=3
	v_bfe_u32 v3, v14, 20, 1
	v_add_co_u32_e64 v3, s[26:27], v14, v3
	v_add_co_u32_e64 v15, s[26:27], -1, v3
; %bb.1937:                             ;   in Loop: Header=BB6_136 Depth=3
	s_or_b64 exec, exec, s[36:37]
	v_add_u32_e32 v1, 0xffffff81, v1
	v_mov_b32_e32 v3, 0xffffff82
	v_cndmask_b32_e32 v1, v1, v3, vcc
	v_lshrrev_b32_e32 v3, 23, v14
	v_add3_u32 v3, v2, v1, v3
	v_add_u32_e32 v2, 6, v3
	v_and_b32_e32 v1, 0xfffff, v15
	v_add_u32_e32 v14, v1, v14
	v_mov_b32_e32 v15, v51
	v_cmp_ne_u32_e32 vcc, 0, v2
                                        ; implicit-def: $vgpr1
	s_and_saveexec_b64 s[26:27], vcc
	s_xor_b64 s[26:27], exec, s[26:27]
; %bb.1938:                             ;   in Loop: Header=BB6_136 Depth=3
	v_cmp_lt_u64_e32 vcc, s[88:89], v[14:15]
	v_add_u32_e32 v1, 7, v3
	v_cndmask_b32_e32 v1, v2, v1, vcc
	v_cndmask_b32_e64 v2, 0, 1, vcc
	v_lshrrev_b64 v[14:15], v2, v[14:15]
; %bb.1939:                             ;   in Loop: Header=BB6_136 Depth=3
	s_andn2_saveexec_b64 s[26:27], s[26:27]
; %bb.1940:                             ;   in Loop: Header=BB6_136 Depth=3
	v_bfe_u32 v1, v14, 23, 1
; %bb.1941:                             ;   in Loop: Header=BB6_136 Depth=3
	s_or_b64 exec, exec, s[26:27]
	v_lshrrev_b64 v[2:3], 20, v[14:15]
	v_cmp_gt_i32_e32 vcc, 16, v1
	v_cndmask_b32_e32 v3, 0, v3, vcc
	v_cndmask_b32_e32 v2, 7, v2, vcc
	v_cmp_eq_u32_e32 vcc, 0, v1
	v_min_i32_e32 v1, 15, v1
	v_cmp_eq_u64_e64 s[26:27], 0, v[2:3]
	v_lshlrev_b32_e32 v1, 3, v1
	v_and_b32_e32 v1, 0xf8, v1
	v_and_or_b32 v1, v2, 7, v1
	s_and_b64 s[26:27], vcc, s[26:27]
	v_cndmask_b32_e64 v1, v1, 0, s[26:27]
	v_or_b32_e32 v0, v1, v0
	buffer_store_dword v0, off, s[0:3], s33 offset:544 ; 4-byte Folded Spill
.LBB6_1942:                             ;   in Loop: Header=BB6_136 Depth=3
	s_or_b64 exec, exec, s[34:35]
                                        ; implicit-def: $vgpr0
.LBB6_1943:                             ;   in Loop: Header=BB6_136 Depth=3
	s_andn2_saveexec_b64 s[26:27], s[30:31]
	s_cbranch_execz .LBB6_1945
; %bb.1944:                             ;   in Loop: Header=BB6_136 Depth=3
	v_or_b32_e32 v0, 0x7e, v0
	buffer_store_dword v0, off, s[0:3], s33 offset:544 ; 4-byte Folded Spill
.LBB6_1945:                             ;   in Loop: Header=BB6_136 Depth=3
	s_or_b64 exec, exec, s[26:27]
                                        ; implicit-def: $vgpr1
.LBB6_1946:                             ;   in Loop: Header=BB6_136 Depth=3
	s_andn2_saveexec_b64 s[26:27], s[94:95]
	s_cbranch_execz .LBB6_1948
; %bb.1947:                             ;   in Loop: Header=BB6_136 Depth=3
	v_or_b32_sdwa v0, v1, s86 dst_sel:DWORD dst_unused:UNUSED_PAD src0_sel:BYTE_3 src1_sel:DWORD
	buffer_store_dword v0, off, s[0:3], s33 offset:544 ; 4-byte Folded Spill
.LBB6_1948:                             ;   in Loop: Header=BB6_136 Depth=3
	s_or_b64 exec, exec, s[26:27]
	v_lshrrev_b32_e32 v14, 16, v8
	v_cmp_ne_u16_sdwa s[94:95], v14, v51 src0_sel:BYTE_0 src1_sel:DWORD
	v_mov_b32_e32 v0, 0
	s_and_saveexec_b64 s[26:27], s[94:95]
	s_cbranch_execz .LBB6_1954
; %bb.1949:                             ;   in Loop: Header=BB6_136 Depth=3
	v_cmp_ne_u16_sdwa vcc, v14, s96 src0_sel:BYTE_0 src1_sel:DWORD
	v_bfrev_b32_e32 v0, 1
	s_and_saveexec_b64 s[94:95], vcc
	s_cbranch_execz .LBB6_1953
; %bb.1950:                             ;   in Loop: Header=BB6_136 Depth=3
	v_bfe_u32 v1, v8, 16, 7
	v_cmp_ne_u32_e32 vcc, s86, v1
	v_mov_b32_e32 v0, 0x7f800001
	s_and_saveexec_b64 s[30:31], vcc
	s_cbranch_execz .LBB6_1952
; %bb.1951:                             ;   in Loop: Header=BB6_136 Depth=3
	v_and_b32_e32 v2, 7, v14
	v_ffbh_u32_e32 v0, v2
	v_min_u32_e32 v4, 32, v0
	v_subrev_u32_e32 v0, 28, v4
	v_lshrrev_b32_e32 v3, 3, v1
	v_cmp_gt_u32_e32 vcc, 8, v1
	v_lshlrev_b64 v[0:1], v0, v[14:15]
	v_sub_u32_e32 v1, 29, v4
	v_and_b32_e32 v0, 7, v0
	v_cndmask_b32_e32 v1, v3, v1, vcc
	v_cndmask_b32_e32 v0, v2, v0, vcc
	v_lshlrev_b32_e32 v2, 24, v14
	v_bfrev_b32_e32 v3, 60
	v_lshlrev_b32_e32 v0, 20, v0
	v_and_b32_e32 v2, 0x80000000, v2
	v_lshl_add_u32 v1, v1, 23, v3
	v_or3_b32 v0, v2, v1, v0
.LBB6_1952:                             ;   in Loop: Header=BB6_136 Depth=3
	s_or_b64 exec, exec, s[30:31]
.LBB6_1953:                             ;   in Loop: Header=BB6_136 Depth=3
	s_or_b64 exec, exec, s[94:95]
.LBB6_1954:                             ;   in Loop: Header=BB6_136 Depth=3
	s_or_b64 exec, exec, s[26:27]
	v_mul_f32_e32 v1, v18, v0
	v_and_b32_e32 v2, 0x7f800000, v1
	v_mov_b32_e32 v3, v51
	v_cmp_ne_u64_e32 vcc, s[76:77], v[2:3]
                                        ; implicit-def: $vgpr0
                                        ; kill: killed $vgpr0
	s_and_saveexec_b64 s[26:27], vcc
	s_xor_b64 s[94:95], exec, s[26:27]
	s_cbranch_execz .LBB6_1968
; %bb.1955:                             ;   in Loop: Header=BB6_136 Depth=3
	v_and_b32_e32 v2, 0x7fffffff, v1
	v_mov_b32_e32 v3, v51
	v_cmp_gt_u64_e32 vcc, s[78:79], v[2:3]
	v_and_b32_sdwa v0, v1, s96 dst_sel:DWORD dst_unused:UNUSED_PAD src0_sel:BYTE_3 src1_sel:DWORD
                                        ; implicit-def: $vgpr2
                                        ; kill: killed $vgpr2
	s_and_saveexec_b64 s[26:27], vcc
	s_xor_b64 s[30:31], exec, s[26:27]
	s_cbranch_execz .LBB6_1965
; %bb.1956:                             ;   in Loop: Header=BB6_136 Depth=3
	v_mov_b32_e32 v2, 0
	v_cmp_ne_u32_e32 vcc, 0, v1
	buffer_store_dword v2, off, s[0:3], s33 offset:548 ; 4-byte Folded Spill
	s_and_saveexec_b64 s[34:35], vcc
	s_cbranch_execz .LBB6_1964
; %bb.1957:                             ;   in Loop: Header=BB6_136 Depth=3
	v_and_b32_e32 v3, 0x7fffff, v1
	v_bfe_u32 v1, v1, 23, 8
	v_cmp_gt_u32_e64 s[26:27], s97, v1
	v_sub_u32_e32 v2, 0x79, v1
	v_cmp_eq_u32_e32 vcc, 0, v1
	v_cndmask_b32_e64 v2, 0, v2, s[26:27]
	v_mov_b32_e32 v5, 0x78
	v_cndmask_b32_e32 v2, v2, v5, vcc
	v_add_u32_e32 v5, 20, v2
	v_or_b32_e32 v4, 0x800000, v3
	v_lshlrev_b64 v[5:6], v5, -1
	v_add_u32_e32 v7, 19, v2
	v_cndmask_b32_e32 v3, v4, v3, vcc
	v_lshlrev_b64 v[14:15], v7, 1
	v_mov_b32_e32 v4, v51
	v_bfi_b32 v6, v6, 0, 0
	v_bfi_b32 v5, v5, 0, v3
	v_cmp_eq_u64_e64 s[26:27], v[5:6], v[14:15]
	v_lshrrev_b64 v[14:15], v2, v[3:4]
	v_mov_b32_e32 v16, v15
	v_mov_b32_e32 v15, v14
	s_and_saveexec_b64 s[36:37], s[26:27]
; %bb.1958:                             ;   in Loop: Header=BB6_136 Depth=3
	v_bfe_u32 v3, v14, 20, 1
	v_add_co_u32_e64 v3, s[26:27], v14, v3
	v_add_co_u32_e64 v15, s[26:27], -1, v3
; %bb.1959:                             ;   in Loop: Header=BB6_136 Depth=3
	s_or_b64 exec, exec, s[36:37]
	v_add_u32_e32 v1, 0xffffff81, v1
	v_mov_b32_e32 v3, 0xffffff82
	v_cndmask_b32_e32 v1, v1, v3, vcc
	v_lshrrev_b32_e32 v3, 23, v14
	v_add3_u32 v3, v2, v1, v3
	v_add_u32_e32 v2, 6, v3
	v_and_b32_e32 v1, 0xfffff, v15
	v_add_u32_e32 v14, v1, v14
	v_mov_b32_e32 v15, v51
	v_cmp_ne_u32_e32 vcc, 0, v2
                                        ; implicit-def: $vgpr1
	s_and_saveexec_b64 s[26:27], vcc
	s_xor_b64 s[26:27], exec, s[26:27]
; %bb.1960:                             ;   in Loop: Header=BB6_136 Depth=3
	v_cmp_lt_u64_e32 vcc, s[88:89], v[14:15]
	v_add_u32_e32 v1, 7, v3
	v_cndmask_b32_e32 v1, v2, v1, vcc
	v_cndmask_b32_e64 v2, 0, 1, vcc
	v_lshrrev_b64 v[14:15], v2, v[14:15]
; %bb.1961:                             ;   in Loop: Header=BB6_136 Depth=3
	s_andn2_saveexec_b64 s[26:27], s[26:27]
; %bb.1962:                             ;   in Loop: Header=BB6_136 Depth=3
	v_bfe_u32 v1, v14, 23, 1
; %bb.1963:                             ;   in Loop: Header=BB6_136 Depth=3
	s_or_b64 exec, exec, s[26:27]
	v_lshrrev_b64 v[2:3], 20, v[14:15]
	v_cmp_gt_i32_e32 vcc, 16, v1
	v_cndmask_b32_e32 v3, 0, v3, vcc
	v_cndmask_b32_e32 v2, 7, v2, vcc
	v_cmp_eq_u32_e32 vcc, 0, v1
	v_min_i32_e32 v1, 15, v1
	v_cmp_eq_u64_e64 s[26:27], 0, v[2:3]
	v_lshlrev_b32_e32 v1, 3, v1
	v_and_b32_e32 v1, 0xf8, v1
	v_and_or_b32 v1, v2, 7, v1
	s_and_b64 s[26:27], vcc, s[26:27]
	v_cndmask_b32_e64 v1, v1, 0, s[26:27]
	v_or_b32_e32 v0, v1, v0
	buffer_store_dword v0, off, s[0:3], s33 offset:548 ; 4-byte Folded Spill
.LBB6_1964:                             ;   in Loop: Header=BB6_136 Depth=3
	s_or_b64 exec, exec, s[34:35]
                                        ; implicit-def: $vgpr0
.LBB6_1965:                             ;   in Loop: Header=BB6_136 Depth=3
	s_andn2_saveexec_b64 s[26:27], s[30:31]
	s_cbranch_execz .LBB6_1967
; %bb.1966:                             ;   in Loop: Header=BB6_136 Depth=3
	v_or_b32_e32 v0, 0x7e, v0
	buffer_store_dword v0, off, s[0:3], s33 offset:548 ; 4-byte Folded Spill
.LBB6_1967:                             ;   in Loop: Header=BB6_136 Depth=3
	s_or_b64 exec, exec, s[26:27]
                                        ; implicit-def: $vgpr1
.LBB6_1968:                             ;   in Loop: Header=BB6_136 Depth=3
	s_andn2_saveexec_b64 s[26:27], s[94:95]
	s_cbranch_execz .LBB6_1970
; %bb.1969:                             ;   in Loop: Header=BB6_136 Depth=3
	v_or_b32_sdwa v0, v1, s86 dst_sel:DWORD dst_unused:UNUSED_PAD src0_sel:BYTE_3 src1_sel:DWORD
	buffer_store_dword v0, off, s[0:3], s33 offset:548 ; 4-byte Folded Spill
.LBB6_1970:                             ;   in Loop: Header=BB6_136 Depth=3
	s_or_b64 exec, exec, s[26:27]
	v_cmp_lt_u32_e32 vcc, s57, v8
	v_mov_b32_e32 v0, 0
	s_and_saveexec_b64 s[26:27], vcc
	s_cbranch_execz .LBB6_1976
; %bb.1971:                             ;   in Loop: Header=BB6_136 Depth=3
	v_lshrrev_b32_e32 v14, 24, v8
	v_cmp_ne_u32_e32 vcc, s96, v14
	v_bfrev_b32_e32 v0, 1
	s_and_saveexec_b64 s[94:95], vcc
	s_cbranch_execz .LBB6_1975
; %bb.1972:                             ;   in Loop: Header=BB6_136 Depth=3
	v_bfe_u32 v1, v8, 24, 7
	v_cmp_ne_u32_e32 vcc, s86, v1
	v_mov_b32_e32 v0, 0x7f800001
	s_and_saveexec_b64 s[30:31], vcc
	s_cbranch_execz .LBB6_1974
; %bb.1973:                             ;   in Loop: Header=BB6_136 Depth=3
	v_and_b32_e32 v2, 7, v14
	v_ffbh_u32_e32 v0, v2
	v_min_u32_e32 v4, 32, v0
	v_subrev_u32_e32 v0, 28, v4
	v_lshrrev_b32_e32 v3, 3, v1
	v_cmp_gt_u32_e32 vcc, 8, v1
	v_lshlrev_b64 v[0:1], v0, v[14:15]
	v_sub_u32_e32 v1, 29, v4
	v_and_b32_e32 v0, 7, v0
	v_cndmask_b32_e32 v1, v3, v1, vcc
	v_cndmask_b32_e32 v0, v2, v0, vcc
	v_lshlrev_b32_e32 v2, 24, v14
	v_bfrev_b32_e32 v3, 60
	v_lshlrev_b32_e32 v0, 20, v0
	v_and_b32_e32 v2, 0x80000000, v2
	v_lshl_add_u32 v1, v1, 23, v3
	v_or3_b32 v0, v2, v1, v0
.LBB6_1974:                             ;   in Loop: Header=BB6_136 Depth=3
	s_or_b64 exec, exec, s[30:31]
.LBB6_1975:                             ;   in Loop: Header=BB6_136 Depth=3
	s_or_b64 exec, exec, s[94:95]
.LBB6_1976:                             ;   in Loop: Header=BB6_136 Depth=3
	s_or_b64 exec, exec, s[26:27]
	v_mul_f32_e32 v1, v18, v0
	v_and_b32_e32 v2, 0x7f800000, v1
	v_mov_b32_e32 v3, v51
	v_cmp_ne_u64_e32 vcc, s[76:77], v[2:3]
                                        ; implicit-def: $vgpr0
                                        ; kill: killed $vgpr0
	s_and_saveexec_b64 s[26:27], vcc
	s_xor_b64 s[94:95], exec, s[26:27]
	s_cbranch_execz .LBB6_1990
; %bb.1977:                             ;   in Loop: Header=BB6_136 Depth=3
	v_and_b32_e32 v2, 0x7fffffff, v1
	v_mov_b32_e32 v3, v51
	v_cmp_gt_u64_e32 vcc, s[78:79], v[2:3]
	v_and_b32_sdwa v0, v1, s96 dst_sel:DWORD dst_unused:UNUSED_PAD src0_sel:BYTE_3 src1_sel:DWORD
                                        ; implicit-def: $vgpr2
                                        ; kill: killed $vgpr2
	s_and_saveexec_b64 s[26:27], vcc
	s_xor_b64 s[30:31], exec, s[26:27]
	s_cbranch_execz .LBB6_1987
; %bb.1978:                             ;   in Loop: Header=BB6_136 Depth=3
	v_mov_b32_e32 v2, 0
	v_cmp_ne_u32_e32 vcc, 0, v1
	buffer_store_dword v2, off, s[0:3], s33 offset:552 ; 4-byte Folded Spill
	s_and_saveexec_b64 s[34:35], vcc
	s_cbranch_execz .LBB6_1986
; %bb.1979:                             ;   in Loop: Header=BB6_136 Depth=3
	v_and_b32_e32 v3, 0x7fffff, v1
	v_bfe_u32 v1, v1, 23, 8
	v_cmp_gt_u32_e64 s[26:27], s97, v1
	v_sub_u32_e32 v2, 0x79, v1
	v_cmp_eq_u32_e32 vcc, 0, v1
	v_cndmask_b32_e64 v2, 0, v2, s[26:27]
	v_mov_b32_e32 v5, 0x78
	v_cndmask_b32_e32 v2, v2, v5, vcc
	v_add_u32_e32 v5, 20, v2
	v_or_b32_e32 v4, 0x800000, v3
	v_lshlrev_b64 v[5:6], v5, -1
	v_add_u32_e32 v7, 19, v2
	v_cndmask_b32_e32 v3, v4, v3, vcc
	v_lshlrev_b64 v[14:15], v7, 1
	v_mov_b32_e32 v4, v51
	v_bfi_b32 v6, v6, 0, 0
	v_bfi_b32 v5, v5, 0, v3
	v_cmp_eq_u64_e64 s[26:27], v[5:6], v[14:15]
	v_lshrrev_b64 v[14:15], v2, v[3:4]
	v_mov_b32_e32 v16, v15
	v_mov_b32_e32 v15, v14
	s_and_saveexec_b64 s[36:37], s[26:27]
; %bb.1980:                             ;   in Loop: Header=BB6_136 Depth=3
	v_bfe_u32 v3, v14, 20, 1
	v_add_co_u32_e64 v3, s[26:27], v14, v3
	v_add_co_u32_e64 v15, s[26:27], -1, v3
; %bb.1981:                             ;   in Loop: Header=BB6_136 Depth=3
	s_or_b64 exec, exec, s[36:37]
	v_add_u32_e32 v1, 0xffffff81, v1
	v_mov_b32_e32 v3, 0xffffff82
	v_cndmask_b32_e32 v1, v1, v3, vcc
	v_lshrrev_b32_e32 v3, 23, v14
	v_add3_u32 v3, v2, v1, v3
	v_add_u32_e32 v2, 6, v3
	v_and_b32_e32 v1, 0xfffff, v15
	v_add_u32_e32 v14, v1, v14
	v_mov_b32_e32 v15, v51
	v_cmp_ne_u32_e32 vcc, 0, v2
                                        ; implicit-def: $vgpr1
	s_and_saveexec_b64 s[26:27], vcc
	s_xor_b64 s[26:27], exec, s[26:27]
; %bb.1982:                             ;   in Loop: Header=BB6_136 Depth=3
	v_cmp_lt_u64_e32 vcc, s[88:89], v[14:15]
	v_add_u32_e32 v1, 7, v3
	v_cndmask_b32_e32 v1, v2, v1, vcc
	v_cndmask_b32_e64 v2, 0, 1, vcc
	v_lshrrev_b64 v[14:15], v2, v[14:15]
; %bb.1983:                             ;   in Loop: Header=BB6_136 Depth=3
	s_andn2_saveexec_b64 s[26:27], s[26:27]
; %bb.1984:                             ;   in Loop: Header=BB6_136 Depth=3
	v_bfe_u32 v1, v14, 23, 1
; %bb.1985:                             ;   in Loop: Header=BB6_136 Depth=3
	s_or_b64 exec, exec, s[26:27]
	v_lshrrev_b64 v[2:3], 20, v[14:15]
	v_cmp_gt_i32_e32 vcc, 16, v1
	v_cndmask_b32_e32 v3, 0, v3, vcc
	v_cndmask_b32_e32 v2, 7, v2, vcc
	v_cmp_eq_u32_e32 vcc, 0, v1
	v_min_i32_e32 v1, 15, v1
	v_cmp_eq_u64_e64 s[26:27], 0, v[2:3]
	v_lshlrev_b32_e32 v1, 3, v1
	v_and_b32_e32 v1, 0xf8, v1
	v_and_or_b32 v1, v2, 7, v1
	s_and_b64 s[26:27], vcc, s[26:27]
	v_cndmask_b32_e64 v1, v1, 0, s[26:27]
	v_or_b32_e32 v0, v1, v0
	buffer_store_dword v0, off, s[0:3], s33 offset:552 ; 4-byte Folded Spill
.LBB6_1986:                             ;   in Loop: Header=BB6_136 Depth=3
	s_or_b64 exec, exec, s[34:35]
                                        ; implicit-def: $vgpr0
.LBB6_1987:                             ;   in Loop: Header=BB6_136 Depth=3
	s_andn2_saveexec_b64 s[26:27], s[30:31]
	s_cbranch_execz .LBB6_1989
; %bb.1988:                             ;   in Loop: Header=BB6_136 Depth=3
	v_or_b32_e32 v0, 0x7e, v0
	buffer_store_dword v0, off, s[0:3], s33 offset:552 ; 4-byte Folded Spill
.LBB6_1989:                             ;   in Loop: Header=BB6_136 Depth=3
	s_or_b64 exec, exec, s[26:27]
                                        ; implicit-def: $vgpr1
.LBB6_1990:                             ;   in Loop: Header=BB6_136 Depth=3
	s_andn2_saveexec_b64 s[26:27], s[94:95]
	s_cbranch_execz .LBB6_1992
; %bb.1991:                             ;   in Loop: Header=BB6_136 Depth=3
	v_or_b32_sdwa v0, v1, s86 dst_sel:DWORD dst_unused:UNUSED_PAD src0_sel:BYTE_3 src1_sel:DWORD
	buffer_store_dword v0, off, s[0:3], s33 offset:552 ; 4-byte Folded Spill
.LBB6_1992:                             ;   in Loop: Header=BB6_136 Depth=3
	s_or_b64 exec, exec, s[26:27]
	v_mov_b32_e32 v14, v9
	v_mov_b32_e32 v15, v51
	v_cmp_ne_u16_sdwa s[94:95], v9, v51 src0_sel:BYTE_0 src1_sel:DWORD
	v_mov_b32_e32 v0, 0
	s_and_saveexec_b64 s[26:27], s[94:95]
	s_cbranch_execz .LBB6_1998
; %bb.1993:                             ;   in Loop: Header=BB6_136 Depth=3
	v_cmp_ne_u16_sdwa vcc, v9, s96 src0_sel:BYTE_0 src1_sel:DWORD
	v_bfrev_b32_e32 v0, 1
	s_and_saveexec_b64 s[94:95], vcc
	s_cbranch_execz .LBB6_1997
; %bb.1994:                             ;   in Loop: Header=BB6_136 Depth=3
	v_and_b32_e32 v1, 0x7f, v9
	v_cmp_ne_u32_e32 vcc, s86, v1
	v_mov_b32_e32 v0, 0x7f800001
	s_and_saveexec_b64 s[30:31], vcc
	s_cbranch_execz .LBB6_1996
; %bb.1995:                             ;   in Loop: Header=BB6_136 Depth=3
	v_and_b32_e32 v0, 7, v9
	v_ffbh_u32_e32 v0, v0
	v_min_u32_e32 v0, 32, v0
	v_lshrrev_b32_e32 v2, 3, v1
	v_cmp_gt_u32_e32 vcc, 8, v1
	v_subrev_u32_e32 v1, 28, v0
	v_sub_u32_e32 v0, 29, v0
	v_cndmask_b32_e32 v2, v2, v0, vcc
	v_cndmask_b32_e32 v0, 0, v1, vcc
	v_lshlrev_b64 v[0:1], v0, v[14:15]
	v_lshlrev_b32_e32 v1, 24, v14
	v_lshlrev_b32_e32 v0, 20, v0
	v_bfrev_b32_e32 v3, 60
	v_and_b32_e32 v0, 0x700000, v0
	v_and_b32_e32 v1, 0x80000000, v1
	v_lshl_add_u32 v2, v2, 23, v3
	v_or3_b32 v0, v1, v2, v0
.LBB6_1996:                             ;   in Loop: Header=BB6_136 Depth=3
	s_or_b64 exec, exec, s[30:31]
.LBB6_1997:                             ;   in Loop: Header=BB6_136 Depth=3
	s_or_b64 exec, exec, s[94:95]
.LBB6_1998:                             ;   in Loop: Header=BB6_136 Depth=3
	s_or_b64 exec, exec, s[26:27]
	v_mul_f32_e32 v1, v18, v0
	v_and_b32_e32 v2, 0x7f800000, v1
	v_mov_b32_e32 v3, v51
	v_cmp_ne_u64_e32 vcc, s[76:77], v[2:3]
                                        ; implicit-def: $vgpr0
                                        ; kill: killed $vgpr0
	s_and_saveexec_b64 s[26:27], vcc
	s_xor_b64 s[94:95], exec, s[26:27]
	s_cbranch_execz .LBB6_2012
; %bb.1999:                             ;   in Loop: Header=BB6_136 Depth=3
	v_and_b32_e32 v2, 0x7fffffff, v1
	v_mov_b32_e32 v3, v51
	v_cmp_gt_u64_e32 vcc, s[78:79], v[2:3]
	v_and_b32_sdwa v0, v1, s96 dst_sel:DWORD dst_unused:UNUSED_PAD src0_sel:BYTE_3 src1_sel:DWORD
                                        ; implicit-def: $vgpr2
                                        ; kill: killed $vgpr2
	s_and_saveexec_b64 s[26:27], vcc
	s_xor_b64 s[30:31], exec, s[26:27]
	s_cbranch_execz .LBB6_2009
; %bb.2000:                             ;   in Loop: Header=BB6_136 Depth=3
	v_mov_b32_e32 v2, 0
	v_cmp_ne_u32_e32 vcc, 0, v1
	buffer_store_dword v2, off, s[0:3], s33 offset:556 ; 4-byte Folded Spill
	s_and_saveexec_b64 s[34:35], vcc
	s_cbranch_execz .LBB6_2008
; %bb.2001:                             ;   in Loop: Header=BB6_136 Depth=3
	v_and_b32_e32 v3, 0x7fffff, v1
	v_bfe_u32 v1, v1, 23, 8
	v_cmp_gt_u32_e64 s[26:27], s97, v1
	v_sub_u32_e32 v2, 0x79, v1
	v_cmp_eq_u32_e32 vcc, 0, v1
	v_cndmask_b32_e64 v2, 0, v2, s[26:27]
	v_mov_b32_e32 v5, 0x78
	v_cndmask_b32_e32 v2, v2, v5, vcc
	v_add_u32_e32 v5, 20, v2
	v_or_b32_e32 v4, 0x800000, v3
	v_lshlrev_b64 v[5:6], v5, -1
	v_add_u32_e32 v7, 19, v2
	v_cndmask_b32_e32 v3, v4, v3, vcc
	v_lshlrev_b64 v[15:16], v7, 1
	v_mov_b32_e32 v4, v51
	v_bfi_b32 v6, v6, 0, 0
	v_bfi_b32 v5, v5, 0, v3
	v_cmp_eq_u64_e64 s[26:27], v[5:6], v[15:16]
	v_lshrrev_b64 v[15:16], v2, v[3:4]
	v_mov_b32_e32 v17, v16
	v_mov_b32_e32 v16, v15
	s_and_saveexec_b64 s[36:37], s[26:27]
; %bb.2002:                             ;   in Loop: Header=BB6_136 Depth=3
	v_bfe_u32 v3, v15, 20, 1
	v_add_co_u32_e64 v3, s[26:27], v15, v3
	v_add_co_u32_e64 v16, s[26:27], -1, v3
; %bb.2003:                             ;   in Loop: Header=BB6_136 Depth=3
	s_or_b64 exec, exec, s[36:37]
	v_add_u32_e32 v1, 0xffffff81, v1
	v_mov_b32_e32 v3, 0xffffff82
	v_cndmask_b32_e32 v1, v1, v3, vcc
	v_lshrrev_b32_e32 v3, 23, v15
	v_add3_u32 v3, v2, v1, v3
	v_add_u32_e32 v2, 6, v3
	v_and_b32_e32 v1, 0xfffff, v16
	v_add_u32_e32 v15, v1, v15
	v_mov_b32_e32 v16, v51
	v_cmp_ne_u32_e32 vcc, 0, v2
                                        ; implicit-def: $vgpr1
	s_and_saveexec_b64 s[26:27], vcc
	s_xor_b64 s[26:27], exec, s[26:27]
; %bb.2004:                             ;   in Loop: Header=BB6_136 Depth=3
	v_cmp_lt_u64_e32 vcc, s[88:89], v[15:16]
	v_add_u32_e32 v1, 7, v3
	v_cndmask_b32_e32 v1, v2, v1, vcc
	v_cndmask_b32_e64 v2, 0, 1, vcc
	v_lshrrev_b64 v[15:16], v2, v[15:16]
; %bb.2005:                             ;   in Loop: Header=BB6_136 Depth=3
	s_andn2_saveexec_b64 s[26:27], s[26:27]
; %bb.2006:                             ;   in Loop: Header=BB6_136 Depth=3
	v_bfe_u32 v1, v15, 23, 1
; %bb.2007:                             ;   in Loop: Header=BB6_136 Depth=3
	s_or_b64 exec, exec, s[26:27]
	v_lshrrev_b64 v[2:3], 20, v[15:16]
	v_cmp_gt_i32_e32 vcc, 16, v1
	v_cndmask_b32_e32 v3, 0, v3, vcc
	v_cndmask_b32_e32 v2, 7, v2, vcc
	v_cmp_eq_u32_e32 vcc, 0, v1
	v_min_i32_e32 v1, 15, v1
	v_cmp_eq_u64_e64 s[26:27], 0, v[2:3]
	v_lshlrev_b32_e32 v1, 3, v1
	v_and_b32_e32 v1, 0xf8, v1
	v_and_or_b32 v1, v2, 7, v1
	s_and_b64 s[26:27], vcc, s[26:27]
	v_cndmask_b32_e64 v1, v1, 0, s[26:27]
	v_or_b32_e32 v0, v1, v0
	buffer_store_dword v0, off, s[0:3], s33 offset:556 ; 4-byte Folded Spill
.LBB6_2008:                             ;   in Loop: Header=BB6_136 Depth=3
	s_or_b64 exec, exec, s[34:35]
                                        ; implicit-def: $vgpr0
.LBB6_2009:                             ;   in Loop: Header=BB6_136 Depth=3
	s_andn2_saveexec_b64 s[26:27], s[30:31]
	s_cbranch_execz .LBB6_2011
; %bb.2010:                             ;   in Loop: Header=BB6_136 Depth=3
	v_or_b32_e32 v0, 0x7e, v0
	buffer_store_dword v0, off, s[0:3], s33 offset:556 ; 4-byte Folded Spill
.LBB6_2011:                             ;   in Loop: Header=BB6_136 Depth=3
	s_or_b64 exec, exec, s[26:27]
                                        ; implicit-def: $vgpr1
.LBB6_2012:                             ;   in Loop: Header=BB6_136 Depth=3
	s_andn2_saveexec_b64 s[26:27], s[94:95]
	s_cbranch_execz .LBB6_2014
; %bb.2013:                             ;   in Loop: Header=BB6_136 Depth=3
	v_or_b32_sdwa v0, v1, s86 dst_sel:DWORD dst_unused:UNUSED_PAD src0_sel:BYTE_3 src1_sel:DWORD
	buffer_store_dword v0, off, s[0:3], s33 offset:556 ; 4-byte Folded Spill
.LBB6_2014:                             ;   in Loop: Header=BB6_136 Depth=3
	s_or_b64 exec, exec, s[26:27]
	v_lshrrev_b16_e32 v15, 8, v14
	v_cmp_ne_u16_e32 vcc, 0, v15
	v_mov_b32_e32 v0, 0
	s_and_saveexec_b64 s[26:27], vcc
	s_cbranch_execz .LBB6_2020
; %bb.2015:                             ;   in Loop: Header=BB6_136 Depth=3
	v_cmp_ne_u16_e32 vcc, s96, v15
	v_bfrev_b32_e32 v0, 1
	s_and_saveexec_b64 s[94:95], vcc
	s_cbranch_execz .LBB6_2019
; %bb.2016:                             ;   in Loop: Header=BB6_136 Depth=3
	v_and_b32_e32 v1, 0x7f, v15
	v_cmp_ne_u32_e32 vcc, s86, v1
	v_mov_b32_e32 v0, 0x7f800001
	s_and_saveexec_b64 s[30:31], vcc
	s_cbranch_execz .LBB6_2018
; %bb.2017:                             ;   in Loop: Header=BB6_136 Depth=3
	v_and_b32_e32 v2, 7, v15
	v_ffbh_u32_e32 v0, v2
	v_min_u32_e32 v4, 32, v0
	v_subrev_u32_e32 v0, 28, v4
	v_lshrrev_b32_e32 v3, 3, v1
	v_cmp_gt_u32_e32 vcc, 8, v1
	v_lshlrev_b64 v[0:1], v0, v[15:16]
	v_sub_u32_e32 v1, 29, v4
	v_and_b32_e32 v0, 7, v0
	v_cndmask_b32_e32 v1, v3, v1, vcc
	v_cndmask_b32_e32 v0, v2, v0, vcc
	v_lshlrev_b32_e32 v2, 16, v14
	v_bfrev_b32_e32 v3, 60
	v_lshlrev_b32_e32 v0, 20, v0
	v_and_b32_e32 v2, 0x80000000, v2
	v_lshl_add_u32 v1, v1, 23, v3
	v_or3_b32 v0, v2, v1, v0
.LBB6_2018:                             ;   in Loop: Header=BB6_136 Depth=3
	s_or_b64 exec, exec, s[30:31]
.LBB6_2019:                             ;   in Loop: Header=BB6_136 Depth=3
	s_or_b64 exec, exec, s[94:95]
.LBB6_2020:                             ;   in Loop: Header=BB6_136 Depth=3
	s_or_b64 exec, exec, s[26:27]
	v_mul_f32_e32 v1, v18, v0
	v_and_b32_e32 v2, 0x7f800000, v1
	v_mov_b32_e32 v3, v51
	v_cmp_ne_u64_e32 vcc, s[76:77], v[2:3]
                                        ; implicit-def: $vgpr0
                                        ; kill: killed $vgpr0
	s_and_saveexec_b64 s[26:27], vcc
	s_xor_b64 s[94:95], exec, s[26:27]
	s_cbranch_execz .LBB6_2034
; %bb.2021:                             ;   in Loop: Header=BB6_136 Depth=3
	v_and_b32_e32 v2, 0x7fffffff, v1
	v_mov_b32_e32 v3, v51
	v_cmp_gt_u64_e32 vcc, s[78:79], v[2:3]
	v_and_b32_sdwa v0, v1, s96 dst_sel:DWORD dst_unused:UNUSED_PAD src0_sel:BYTE_3 src1_sel:DWORD
                                        ; implicit-def: $vgpr2
                                        ; kill: killed $vgpr2
	s_and_saveexec_b64 s[26:27], vcc
	s_xor_b64 s[30:31], exec, s[26:27]
	s_cbranch_execz .LBB6_2031
; %bb.2022:                             ;   in Loop: Header=BB6_136 Depth=3
	v_mov_b32_e32 v2, 0
	v_cmp_ne_u32_e32 vcc, 0, v1
	buffer_store_dword v2, off, s[0:3], s33 offset:560 ; 4-byte Folded Spill
	s_and_saveexec_b64 s[34:35], vcc
	s_cbranch_execz .LBB6_2030
; %bb.2023:                             ;   in Loop: Header=BB6_136 Depth=3
	v_and_b32_e32 v3, 0x7fffff, v1
	v_bfe_u32 v1, v1, 23, 8
	v_cmp_gt_u32_e64 s[26:27], s97, v1
	v_sub_u32_e32 v2, 0x79, v1
	v_cmp_eq_u32_e32 vcc, 0, v1
	v_cndmask_b32_e64 v2, 0, v2, s[26:27]
	v_mov_b32_e32 v5, 0x78
	v_cndmask_b32_e32 v2, v2, v5, vcc
	v_add_u32_e32 v5, 20, v2
	v_or_b32_e32 v4, 0x800000, v3
	v_lshlrev_b64 v[5:6], v5, -1
	v_add_u32_e32 v7, 19, v2
	v_cndmask_b32_e32 v3, v4, v3, vcc
	v_lshlrev_b64 v[14:15], v7, 1
	v_mov_b32_e32 v4, v51
	v_bfi_b32 v6, v6, 0, 0
	v_bfi_b32 v5, v5, 0, v3
	v_cmp_eq_u64_e64 s[26:27], v[5:6], v[14:15]
	v_lshrrev_b64 v[14:15], v2, v[3:4]
	v_mov_b32_e32 v16, v15
	v_mov_b32_e32 v15, v14
	s_and_saveexec_b64 s[36:37], s[26:27]
; %bb.2024:                             ;   in Loop: Header=BB6_136 Depth=3
	v_bfe_u32 v3, v14, 20, 1
	v_add_co_u32_e64 v3, s[26:27], v14, v3
	v_add_co_u32_e64 v15, s[26:27], -1, v3
; %bb.2025:                             ;   in Loop: Header=BB6_136 Depth=3
	s_or_b64 exec, exec, s[36:37]
	v_add_u32_e32 v1, 0xffffff81, v1
	v_mov_b32_e32 v3, 0xffffff82
	v_cndmask_b32_e32 v1, v1, v3, vcc
	v_lshrrev_b32_e32 v3, 23, v14
	v_add3_u32 v3, v2, v1, v3
	v_add_u32_e32 v2, 6, v3
	v_and_b32_e32 v1, 0xfffff, v15
	v_add_u32_e32 v14, v1, v14
	v_mov_b32_e32 v15, v51
	v_cmp_ne_u32_e32 vcc, 0, v2
                                        ; implicit-def: $vgpr1
	s_and_saveexec_b64 s[26:27], vcc
	s_xor_b64 s[26:27], exec, s[26:27]
; %bb.2026:                             ;   in Loop: Header=BB6_136 Depth=3
	v_cmp_lt_u64_e32 vcc, s[88:89], v[14:15]
	v_add_u32_e32 v1, 7, v3
	v_cndmask_b32_e32 v1, v2, v1, vcc
	v_cndmask_b32_e64 v2, 0, 1, vcc
	v_lshrrev_b64 v[14:15], v2, v[14:15]
; %bb.2027:                             ;   in Loop: Header=BB6_136 Depth=3
	s_andn2_saveexec_b64 s[26:27], s[26:27]
; %bb.2028:                             ;   in Loop: Header=BB6_136 Depth=3
	v_bfe_u32 v1, v14, 23, 1
; %bb.2029:                             ;   in Loop: Header=BB6_136 Depth=3
	s_or_b64 exec, exec, s[26:27]
	v_lshrrev_b64 v[2:3], 20, v[14:15]
	v_cmp_gt_i32_e32 vcc, 16, v1
	v_cndmask_b32_e32 v3, 0, v3, vcc
	v_cndmask_b32_e32 v2, 7, v2, vcc
	v_cmp_eq_u32_e32 vcc, 0, v1
	v_min_i32_e32 v1, 15, v1
	v_cmp_eq_u64_e64 s[26:27], 0, v[2:3]
	v_lshlrev_b32_e32 v1, 3, v1
	v_and_b32_e32 v1, 0xf8, v1
	v_and_or_b32 v1, v2, 7, v1
	s_and_b64 s[26:27], vcc, s[26:27]
	v_cndmask_b32_e64 v1, v1, 0, s[26:27]
	v_or_b32_e32 v0, v1, v0
	buffer_store_dword v0, off, s[0:3], s33 offset:560 ; 4-byte Folded Spill
.LBB6_2030:                             ;   in Loop: Header=BB6_136 Depth=3
	s_or_b64 exec, exec, s[34:35]
                                        ; implicit-def: $vgpr0
.LBB6_2031:                             ;   in Loop: Header=BB6_136 Depth=3
	s_andn2_saveexec_b64 s[26:27], s[30:31]
	s_cbranch_execz .LBB6_2033
; %bb.2032:                             ;   in Loop: Header=BB6_136 Depth=3
	v_or_b32_e32 v0, 0x7e, v0
	buffer_store_dword v0, off, s[0:3], s33 offset:560 ; 4-byte Folded Spill
.LBB6_2033:                             ;   in Loop: Header=BB6_136 Depth=3
	s_or_b64 exec, exec, s[26:27]
                                        ; implicit-def: $vgpr1
.LBB6_2034:                             ;   in Loop: Header=BB6_136 Depth=3
	s_andn2_saveexec_b64 s[26:27], s[94:95]
	s_cbranch_execz .LBB6_2036
; %bb.2035:                             ;   in Loop: Header=BB6_136 Depth=3
	v_or_b32_sdwa v0, v1, s86 dst_sel:DWORD dst_unused:UNUSED_PAD src0_sel:BYTE_3 src1_sel:DWORD
	buffer_store_dword v0, off, s[0:3], s33 offset:560 ; 4-byte Folded Spill
.LBB6_2036:                             ;   in Loop: Header=BB6_136 Depth=3
	s_or_b64 exec, exec, s[26:27]
	v_lshrrev_b32_e32 v14, 16, v9
	v_cmp_ne_u16_sdwa s[94:95], v14, v51 src0_sel:BYTE_0 src1_sel:DWORD
	v_mov_b32_e32 v0, 0
	s_and_saveexec_b64 s[26:27], s[94:95]
	s_cbranch_execz .LBB6_2042
; %bb.2037:                             ;   in Loop: Header=BB6_136 Depth=3
	v_cmp_ne_u16_sdwa vcc, v14, s96 src0_sel:BYTE_0 src1_sel:DWORD
	v_bfrev_b32_e32 v0, 1
	s_and_saveexec_b64 s[94:95], vcc
	s_cbranch_execz .LBB6_2041
; %bb.2038:                             ;   in Loop: Header=BB6_136 Depth=3
	v_bfe_u32 v1, v9, 16, 7
	v_cmp_ne_u32_e32 vcc, s86, v1
	v_mov_b32_e32 v0, 0x7f800001
	s_and_saveexec_b64 s[30:31], vcc
	s_cbranch_execz .LBB6_2040
; %bb.2039:                             ;   in Loop: Header=BB6_136 Depth=3
	v_and_b32_e32 v2, 7, v14
	v_ffbh_u32_e32 v0, v2
	v_min_u32_e32 v4, 32, v0
	v_subrev_u32_e32 v0, 28, v4
	v_lshrrev_b32_e32 v3, 3, v1
	v_cmp_gt_u32_e32 vcc, 8, v1
	v_lshlrev_b64 v[0:1], v0, v[14:15]
	v_sub_u32_e32 v1, 29, v4
	v_and_b32_e32 v0, 7, v0
	v_cndmask_b32_e32 v1, v3, v1, vcc
	v_cndmask_b32_e32 v0, v2, v0, vcc
	v_lshlrev_b32_e32 v2, 24, v14
	v_bfrev_b32_e32 v3, 60
	v_lshlrev_b32_e32 v0, 20, v0
	v_and_b32_e32 v2, 0x80000000, v2
	v_lshl_add_u32 v1, v1, 23, v3
	v_or3_b32 v0, v2, v1, v0
.LBB6_2040:                             ;   in Loop: Header=BB6_136 Depth=3
	s_or_b64 exec, exec, s[30:31]
.LBB6_2041:                             ;   in Loop: Header=BB6_136 Depth=3
	s_or_b64 exec, exec, s[94:95]
.LBB6_2042:                             ;   in Loop: Header=BB6_136 Depth=3
	s_or_b64 exec, exec, s[26:27]
	v_mul_f32_e32 v1, v18, v0
	v_and_b32_e32 v2, 0x7f800000, v1
	v_mov_b32_e32 v3, v51
	v_cmp_ne_u64_e32 vcc, s[76:77], v[2:3]
                                        ; implicit-def: $vgpr0
                                        ; kill: killed $vgpr0
	s_and_saveexec_b64 s[26:27], vcc
	s_xor_b64 s[94:95], exec, s[26:27]
	s_cbranch_execz .LBB6_2056
; %bb.2043:                             ;   in Loop: Header=BB6_136 Depth=3
	v_and_b32_e32 v2, 0x7fffffff, v1
	v_mov_b32_e32 v3, v51
	v_cmp_gt_u64_e32 vcc, s[78:79], v[2:3]
	v_and_b32_sdwa v0, v1, s96 dst_sel:DWORD dst_unused:UNUSED_PAD src0_sel:BYTE_3 src1_sel:DWORD
                                        ; implicit-def: $vgpr2
                                        ; kill: killed $vgpr2
	s_and_saveexec_b64 s[26:27], vcc
	s_xor_b64 s[30:31], exec, s[26:27]
	s_cbranch_execz .LBB6_2053
; %bb.2044:                             ;   in Loop: Header=BB6_136 Depth=3
	v_mov_b32_e32 v2, 0
	v_cmp_ne_u32_e32 vcc, 0, v1
	buffer_store_dword v2, off, s[0:3], s33 offset:564 ; 4-byte Folded Spill
	s_and_saveexec_b64 s[34:35], vcc
	s_cbranch_execz .LBB6_2052
; %bb.2045:                             ;   in Loop: Header=BB6_136 Depth=3
	v_and_b32_e32 v3, 0x7fffff, v1
	v_bfe_u32 v1, v1, 23, 8
	v_cmp_gt_u32_e64 s[26:27], s97, v1
	v_sub_u32_e32 v2, 0x79, v1
	v_cmp_eq_u32_e32 vcc, 0, v1
	v_cndmask_b32_e64 v2, 0, v2, s[26:27]
	v_mov_b32_e32 v5, 0x78
	v_or_b32_e32 v4, 0x800000, v3
	v_cndmask_b32_e32 v2, v2, v5, vcc
	v_cndmask_b32_e32 v5, v4, v3, vcc
	v_add_u32_e32 v3, 20, v2
	v_lshlrev_b64 v[14:15], v3, -1
	v_add_u32_e32 v3, 19, v2
	v_lshlrev_b64 v[16:17], v3, 1
	v_mov_b32_e32 v6, v51
	v_bfi_b32 v15, v15, 0, 0
	v_bfi_b32 v14, v14, 0, v5
	v_cmp_eq_u64_e64 s[26:27], v[14:15], v[16:17]
	v_lshrrev_b64 v[14:15], v2, v[5:6]
	v_mov_b32_e32 v16, v15
	v_mov_b32_e32 v15, v14
	s_and_saveexec_b64 s[36:37], s[26:27]
; %bb.2046:                             ;   in Loop: Header=BB6_136 Depth=3
	v_bfe_u32 v3, v14, 20, 1
	v_add_co_u32_e64 v3, s[26:27], v14, v3
	v_add_co_u32_e64 v15, s[26:27], -1, v3
; %bb.2047:                             ;   in Loop: Header=BB6_136 Depth=3
	s_or_b64 exec, exec, s[36:37]
	v_add_u32_e32 v1, 0xffffff81, v1
	v_mov_b32_e32 v3, 0xffffff82
	v_cndmask_b32_e32 v1, v1, v3, vcc
	v_lshrrev_b32_e32 v3, 23, v14
	v_add3_u32 v3, v2, v1, v3
	v_add_u32_e32 v2, 6, v3
	v_and_b32_e32 v1, 0xfffff, v15
	v_add_u32_e32 v14, v1, v14
	v_mov_b32_e32 v15, v51
	v_cmp_ne_u32_e32 vcc, 0, v2
                                        ; implicit-def: $vgpr1
	s_and_saveexec_b64 s[26:27], vcc
	s_xor_b64 s[26:27], exec, s[26:27]
; %bb.2048:                             ;   in Loop: Header=BB6_136 Depth=3
	v_cmp_lt_u64_e32 vcc, s[88:89], v[14:15]
	v_add_u32_e32 v1, 7, v3
	v_cndmask_b32_e32 v1, v2, v1, vcc
	v_cndmask_b32_e64 v2, 0, 1, vcc
	v_lshrrev_b64 v[14:15], v2, v[14:15]
; %bb.2049:                             ;   in Loop: Header=BB6_136 Depth=3
	s_andn2_saveexec_b64 s[26:27], s[26:27]
; %bb.2050:                             ;   in Loop: Header=BB6_136 Depth=3
	v_bfe_u32 v1, v14, 23, 1
; %bb.2051:                             ;   in Loop: Header=BB6_136 Depth=3
	s_or_b64 exec, exec, s[26:27]
	v_lshrrev_b64 v[2:3], 20, v[14:15]
	v_cmp_gt_i32_e32 vcc, 16, v1
	v_cndmask_b32_e32 v3, 0, v3, vcc
	v_cndmask_b32_e32 v2, 7, v2, vcc
	v_cmp_eq_u32_e32 vcc, 0, v1
	v_min_i32_e32 v1, 15, v1
	v_cmp_eq_u64_e64 s[26:27], 0, v[2:3]
	v_lshlrev_b32_e32 v1, 3, v1
	v_and_b32_e32 v1, 0xf8, v1
	v_and_or_b32 v1, v2, 7, v1
	s_and_b64 s[26:27], vcc, s[26:27]
	v_cndmask_b32_e64 v1, v1, 0, s[26:27]
	v_or_b32_e32 v0, v1, v0
	buffer_store_dword v0, off, s[0:3], s33 offset:564 ; 4-byte Folded Spill
.LBB6_2052:                             ;   in Loop: Header=BB6_136 Depth=3
	s_or_b64 exec, exec, s[34:35]
                                        ; implicit-def: $vgpr0
.LBB6_2053:                             ;   in Loop: Header=BB6_136 Depth=3
	s_andn2_saveexec_b64 s[26:27], s[30:31]
	s_cbranch_execz .LBB6_2055
; %bb.2054:                             ;   in Loop: Header=BB6_136 Depth=3
	v_or_b32_e32 v0, 0x7e, v0
	buffer_store_dword v0, off, s[0:3], s33 offset:564 ; 4-byte Folded Spill
.LBB6_2055:                             ;   in Loop: Header=BB6_136 Depth=3
	s_or_b64 exec, exec, s[26:27]
                                        ; implicit-def: $vgpr1
.LBB6_2056:                             ;   in Loop: Header=BB6_136 Depth=3
	s_andn2_saveexec_b64 s[26:27], s[94:95]
	s_cbranch_execz .LBB6_2058
; %bb.2057:                             ;   in Loop: Header=BB6_136 Depth=3
	v_or_b32_sdwa v0, v1, s86 dst_sel:DWORD dst_unused:UNUSED_PAD src0_sel:BYTE_3 src1_sel:DWORD
	buffer_store_dword v0, off, s[0:3], s33 offset:564 ; 4-byte Folded Spill
.LBB6_2058:                             ;   in Loop: Header=BB6_136 Depth=3
	s_or_b64 exec, exec, s[26:27]
	v_cmp_lt_u64_e32 vcc, s[56:57], v[8:9]
	v_mov_b32_e32 v0, 0
	s_and_saveexec_b64 s[26:27], vcc
	s_cbranch_execz .LBB6_2064
; %bb.2059:                             ;   in Loop: Header=BB6_136 Depth=3
	v_lshrrev_b32_e32 v8, 24, v9
	v_cmp_ne_u32_e32 vcc, s96, v8
	v_bfrev_b32_e32 v0, 1
	s_and_saveexec_b64 s[94:95], vcc
	s_cbranch_execz .LBB6_2063
; %bb.2060:                             ;   in Loop: Header=BB6_136 Depth=3
	v_bfe_u32 v1, v9, 24, 7
	v_cmp_ne_u32_e32 vcc, s86, v1
	v_mov_b32_e32 v0, 0x7f800001
	s_and_saveexec_b64 s[30:31], vcc
	s_cbranch_execz .LBB6_2062
; %bb.2061:                             ;   in Loop: Header=BB6_136 Depth=3
	v_and_b32_e32 v2, 7, v8
	v_ffbh_u32_e32 v0, v2
	v_min_u32_e32 v4, 32, v0
	v_subrev_u32_e32 v0, 28, v4
	v_lshrrev_b32_e32 v3, 3, v1
	v_cmp_gt_u32_e32 vcc, 8, v1
	v_lshlrev_b64 v[0:1], v0, v[8:9]
	v_sub_u32_e32 v1, 29, v4
	v_and_b32_e32 v0, 7, v0
	v_cndmask_b32_e32 v1, v3, v1, vcc
	v_cndmask_b32_e32 v0, v2, v0, vcc
	v_lshlrev_b32_e32 v2, 24, v8
	v_bfrev_b32_e32 v3, 60
	v_lshlrev_b32_e32 v0, 20, v0
	v_and_b32_e32 v2, 0x80000000, v2
	v_lshl_add_u32 v1, v1, 23, v3
	v_or3_b32 v0, v2, v1, v0
.LBB6_2062:                             ;   in Loop: Header=BB6_136 Depth=3
	s_or_b64 exec, exec, s[30:31]
.LBB6_2063:                             ;   in Loop: Header=BB6_136 Depth=3
	s_or_b64 exec, exec, s[94:95]
.LBB6_2064:                             ;   in Loop: Header=BB6_136 Depth=3
	s_or_b64 exec, exec, s[26:27]
	v_mul_f32_e32 v1, v18, v0
	v_and_b32_e32 v2, 0x7f800000, v1
	v_mov_b32_e32 v3, v51
	v_cmp_ne_u64_e32 vcc, s[76:77], v[2:3]
                                        ; implicit-def: $vgpr0
                                        ; kill: killed $vgpr0
	s_and_saveexec_b64 s[26:27], vcc
	s_xor_b64 s[94:95], exec, s[26:27]
	s_cbranch_execz .LBB6_2078
; %bb.2065:                             ;   in Loop: Header=BB6_136 Depth=3
	v_and_b32_e32 v2, 0x7fffffff, v1
	v_mov_b32_e32 v3, v51
	v_cmp_gt_u64_e32 vcc, s[78:79], v[2:3]
	v_and_b32_sdwa v0, v1, s96 dst_sel:DWORD dst_unused:UNUSED_PAD src0_sel:BYTE_3 src1_sel:DWORD
                                        ; implicit-def: $vgpr2
                                        ; kill: killed $vgpr2
	s_and_saveexec_b64 s[26:27], vcc
	s_xor_b64 s[30:31], exec, s[26:27]
	s_cbranch_execz .LBB6_2075
; %bb.2066:                             ;   in Loop: Header=BB6_136 Depth=3
	v_mov_b32_e32 v2, 0
	v_cmp_ne_u32_e32 vcc, 0, v1
	buffer_store_dword v2, off, s[0:3], s33 offset:568 ; 4-byte Folded Spill
	s_and_saveexec_b64 s[34:35], vcc
	s_cbranch_execz .LBB6_2074
; %bb.2067:                             ;   in Loop: Header=BB6_136 Depth=3
	v_and_b32_e32 v3, 0x7fffff, v1
	v_bfe_u32 v1, v1, 23, 8
	v_cmp_gt_u32_e64 s[26:27], s97, v1
	v_sub_u32_e32 v2, 0x79, v1
	v_cmp_eq_u32_e32 vcc, 0, v1
	v_cndmask_b32_e64 v2, 0, v2, s[26:27]
	v_mov_b32_e32 v5, 0x78
	v_or_b32_e32 v4, 0x800000, v3
	v_cndmask_b32_e32 v2, v2, v5, vcc
	v_cndmask_b32_e32 v5, v4, v3, vcc
	v_add_u32_e32 v3, 20, v2
	v_lshlrev_b64 v[7:8], v3, -1
	v_add_u32_e32 v3, 19, v2
	v_lshlrev_b64 v[14:15], v3, 1
	v_mov_b32_e32 v6, v51
	v_bfi_b32 v8, v8, 0, 0
	v_bfi_b32 v7, v7, 0, v5
	v_cmp_eq_u64_e64 s[26:27], v[7:8], v[14:15]
	v_lshrrev_b64 v[8:9], v2, v[5:6]
	v_mov_b32_e32 v15, v9
	v_mov_b32_e32 v14, v8
	s_and_saveexec_b64 s[36:37], s[26:27]
; %bb.2068:                             ;   in Loop: Header=BB6_136 Depth=3
	v_bfe_u32 v3, v8, 20, 1
	v_add_co_u32_e64 v3, s[26:27], v8, v3
	v_add_co_u32_e64 v14, s[26:27], -1, v3
; %bb.2069:                             ;   in Loop: Header=BB6_136 Depth=3
	s_or_b64 exec, exec, s[36:37]
	v_add_u32_e32 v1, 0xffffff81, v1
	v_mov_b32_e32 v3, 0xffffff82
	v_cndmask_b32_e32 v1, v1, v3, vcc
	v_lshrrev_b32_e32 v3, 23, v8
	v_add3_u32 v3, v2, v1, v3
	v_add_u32_e32 v2, 6, v3
	v_and_b32_e32 v1, 0xfffff, v14
	v_add_u32_e32 v8, v1, v8
	v_mov_b32_e32 v9, v51
	v_cmp_ne_u32_e32 vcc, 0, v2
                                        ; implicit-def: $vgpr1
	s_and_saveexec_b64 s[26:27], vcc
	s_xor_b64 s[26:27], exec, s[26:27]
; %bb.2070:                             ;   in Loop: Header=BB6_136 Depth=3
	v_cmp_lt_u64_e32 vcc, s[88:89], v[8:9]
	v_add_u32_e32 v1, 7, v3
	v_cndmask_b32_e32 v1, v2, v1, vcc
	v_cndmask_b32_e64 v2, 0, 1, vcc
	v_lshrrev_b64 v[8:9], v2, v[8:9]
; %bb.2071:                             ;   in Loop: Header=BB6_136 Depth=3
	s_andn2_saveexec_b64 s[26:27], s[26:27]
; %bb.2072:                             ;   in Loop: Header=BB6_136 Depth=3
	v_bfe_u32 v1, v8, 23, 1
; %bb.2073:                             ;   in Loop: Header=BB6_136 Depth=3
	s_or_b64 exec, exec, s[26:27]
	v_lshrrev_b64 v[2:3], 20, v[8:9]
	v_cmp_gt_i32_e32 vcc, 16, v1
	v_cndmask_b32_e32 v3, 0, v3, vcc
	v_cndmask_b32_e32 v2, 7, v2, vcc
	v_cmp_eq_u32_e32 vcc, 0, v1
	v_min_i32_e32 v1, 15, v1
	v_cmp_eq_u64_e64 s[26:27], 0, v[2:3]
	v_lshlrev_b32_e32 v1, 3, v1
	v_and_b32_e32 v1, 0xf8, v1
	v_and_or_b32 v1, v2, 7, v1
	s_and_b64 s[26:27], vcc, s[26:27]
	v_cndmask_b32_e64 v1, v1, 0, s[26:27]
	v_or_b32_e32 v0, v1, v0
	buffer_store_dword v0, off, s[0:3], s33 offset:568 ; 4-byte Folded Spill
.LBB6_2074:                             ;   in Loop: Header=BB6_136 Depth=3
	s_or_b64 exec, exec, s[34:35]
                                        ; implicit-def: $vgpr0
.LBB6_2075:                             ;   in Loop: Header=BB6_136 Depth=3
	s_andn2_saveexec_b64 s[26:27], s[30:31]
	s_cbranch_execz .LBB6_2077
; %bb.2076:                             ;   in Loop: Header=BB6_136 Depth=3
	v_or_b32_e32 v0, 0x7e, v0
	buffer_store_dword v0, off, s[0:3], s33 offset:568 ; 4-byte Folded Spill
.LBB6_2077:                             ;   in Loop: Header=BB6_136 Depth=3
	s_or_b64 exec, exec, s[26:27]
                                        ; implicit-def: $vgpr1
.LBB6_2078:                             ;   in Loop: Header=BB6_136 Depth=3
	s_andn2_saveexec_b64 s[26:27], s[94:95]
	s_cbranch_execz .LBB6_2080
; %bb.2079:                             ;   in Loop: Header=BB6_136 Depth=3
	v_or_b32_sdwa v0, v1, s86 dst_sel:DWORD dst_unused:UNUSED_PAD src0_sel:BYTE_3 src1_sel:DWORD
	buffer_store_dword v0, off, s[0:3], s33 offset:568 ; 4-byte Folded Spill
.LBB6_2080:                             ;   in Loop: Header=BB6_136 Depth=3
	s_or_b64 exec, exec, s[26:27]
	v_cmp_ne_u16_sdwa s[94:95], v10, v51 src0_sel:BYTE_0 src1_sel:DWORD
	v_mov_b32_e32 v0, 0
	s_and_saveexec_b64 s[26:27], s[94:95]
	s_cbranch_execz .LBB6_2086
; %bb.2081:                             ;   in Loop: Header=BB6_136 Depth=3
	v_cmp_ne_u16_sdwa vcc, v10, s96 src0_sel:BYTE_0 src1_sel:DWORD
	v_bfrev_b32_e32 v0, 1
	s_and_saveexec_b64 s[94:95], vcc
	s_cbranch_execz .LBB6_2085
; %bb.2082:                             ;   in Loop: Header=BB6_136 Depth=3
	v_and_b32_e32 v1, 0x7f, v10
	v_cmp_ne_u32_e32 vcc, s86, v1
	v_mov_b32_e32 v0, 0x7f800001
	s_and_saveexec_b64 s[30:31], vcc
	s_cbranch_execz .LBB6_2084
; %bb.2083:                             ;   in Loop: Header=BB6_136 Depth=3
	v_and_b32_e32 v0, 7, v10
	v_ffbh_u32_e32 v0, v0
	v_min_u32_e32 v0, 32, v0
	v_lshrrev_b32_e32 v2, 3, v1
	v_cmp_gt_u32_e32 vcc, 8, v1
	v_subrev_u32_e32 v1, 28, v0
	v_sub_u32_e32 v0, 29, v0
	v_cndmask_b32_e32 v2, v2, v0, vcc
	v_cndmask_b32_e32 v0, 0, v1, vcc
	v_lshlrev_b64 v[0:1], v0, v[10:11]
	v_lshlrev_b32_e32 v1, 24, v10
	v_lshlrev_b32_e32 v0, 20, v0
	v_bfrev_b32_e32 v3, 60
	v_and_b32_e32 v0, 0x700000, v0
	v_and_b32_e32 v1, 0x80000000, v1
	v_lshl_add_u32 v2, v2, 23, v3
	v_or3_b32 v0, v1, v2, v0
.LBB6_2084:                             ;   in Loop: Header=BB6_136 Depth=3
	s_or_b64 exec, exec, s[30:31]
.LBB6_2085:                             ;   in Loop: Header=BB6_136 Depth=3
	s_or_b64 exec, exec, s[94:95]
.LBB6_2086:                             ;   in Loop: Header=BB6_136 Depth=3
	s_or_b64 exec, exec, s[26:27]
	v_mul_f32_e32 v1, v18, v0
	v_and_b32_e32 v2, 0x7f800000, v1
	v_mov_b32_e32 v3, v51
	v_cmp_ne_u64_e32 vcc, s[76:77], v[2:3]
                                        ; implicit-def: $vgpr20
	s_and_saveexec_b64 s[26:27], vcc
	s_xor_b64 s[94:95], exec, s[26:27]
	s_cbranch_execz .LBB6_2100
; %bb.2087:                             ;   in Loop: Header=BB6_136 Depth=3
	v_and_b32_e32 v2, 0x7fffffff, v1
	v_mov_b32_e32 v3, v51
	v_cmp_gt_u64_e32 vcc, s[78:79], v[2:3]
	v_and_b32_sdwa v0, v1, s96 dst_sel:DWORD dst_unused:UNUSED_PAD src0_sel:BYTE_3 src1_sel:DWORD
                                        ; implicit-def: $vgpr20
	s_and_saveexec_b64 s[26:27], vcc
	s_xor_b64 s[30:31], exec, s[26:27]
	s_cbranch_execz .LBB6_2097
; %bb.2088:                             ;   in Loop: Header=BB6_136 Depth=3
	v_mov_b32_e32 v20, 0
	v_cmp_ne_u32_e32 vcc, 0, v1
	s_and_saveexec_b64 s[34:35], vcc
	s_cbranch_execz .LBB6_2096
; %bb.2089:                             ;   in Loop: Header=BB6_136 Depth=3
	v_and_b32_e32 v3, 0x7fffff, v1
	v_bfe_u32 v1, v1, 23, 8
	v_cmp_gt_u32_e64 s[26:27], s97, v1
	v_sub_u32_e32 v2, 0x79, v1
	v_cmp_eq_u32_e32 vcc, 0, v1
	v_cndmask_b32_e64 v2, 0, v2, s[26:27]
	v_mov_b32_e32 v6, 0x78
	v_or_b32_e32 v5, 0x800000, v3
	v_cndmask_b32_e32 v2, v2, v6, vcc
	v_cndmask_b32_e32 v5, v5, v3, vcc
	v_add_u32_e32 v3, 20, v2
	v_lshlrev_b64 v[7:8], v3, -1
	v_add_u32_e32 v3, 19, v2
	v_lshlrev_b64 v[14:15], v3, 1
	v_mov_b32_e32 v6, v51
	v_bfi_b32 v8, v8, 0, 0
	v_bfi_b32 v7, v7, 0, v5
	v_cmp_eq_u64_e64 s[26:27], v[7:8], v[14:15]
	v_lshrrev_b64 v[8:9], v2, v[5:6]
	v_mov_b32_e32 v15, v9
	v_mov_b32_e32 v14, v8
	s_and_saveexec_b64 s[36:37], s[26:27]
; %bb.2090:                             ;   in Loop: Header=BB6_136 Depth=3
	v_bfe_u32 v3, v8, 20, 1
	v_add_co_u32_e64 v3, s[26:27], v8, v3
	v_add_co_u32_e64 v14, s[26:27], -1, v3
; %bb.2091:                             ;   in Loop: Header=BB6_136 Depth=3
	s_or_b64 exec, exec, s[36:37]
	v_add_u32_e32 v1, 0xffffff81, v1
	v_mov_b32_e32 v3, 0xffffff82
	v_cndmask_b32_e32 v1, v1, v3, vcc
	v_lshrrev_b32_e32 v3, 23, v8
	v_add3_u32 v3, v2, v1, v3
	v_add_u32_e32 v2, 6, v3
	v_and_b32_e32 v1, 0xfffff, v14
	v_add_u32_e32 v8, v1, v8
	v_mov_b32_e32 v9, v51
	v_cmp_ne_u32_e32 vcc, 0, v2
                                        ; implicit-def: $vgpr1
	s_and_saveexec_b64 s[26:27], vcc
	s_xor_b64 s[26:27], exec, s[26:27]
; %bb.2092:                             ;   in Loop: Header=BB6_136 Depth=3
	v_cmp_lt_u64_e32 vcc, s[88:89], v[8:9]
	v_add_u32_e32 v1, 7, v3
	v_cndmask_b32_e32 v1, v2, v1, vcc
	v_cndmask_b32_e64 v2, 0, 1, vcc
	v_lshrrev_b64 v[8:9], v2, v[8:9]
; %bb.2093:                             ;   in Loop: Header=BB6_136 Depth=3
	s_andn2_saveexec_b64 s[26:27], s[26:27]
; %bb.2094:                             ;   in Loop: Header=BB6_136 Depth=3
	v_bfe_u32 v1, v8, 23, 1
; %bb.2095:                             ;   in Loop: Header=BB6_136 Depth=3
	s_or_b64 exec, exec, s[26:27]
	v_lshrrev_b64 v[2:3], 20, v[8:9]
	v_cmp_gt_i32_e32 vcc, 16, v1
	v_cndmask_b32_e32 v3, 0, v3, vcc
	v_cndmask_b32_e32 v2, 7, v2, vcc
	v_cmp_eq_u32_e32 vcc, 0, v1
	v_min_i32_e32 v1, 15, v1
	v_cmp_eq_u64_e64 s[26:27], 0, v[2:3]
	v_lshlrev_b32_e32 v1, 3, v1
	v_and_b32_e32 v1, 0xf8, v1
	v_and_or_b32 v1, v2, 7, v1
	s_and_b64 s[26:27], vcc, s[26:27]
	v_cndmask_b32_e64 v1, v1, 0, s[26:27]
	v_or_b32_e32 v20, v1, v0
.LBB6_2096:                             ;   in Loop: Header=BB6_136 Depth=3
	s_or_b64 exec, exec, s[34:35]
                                        ; implicit-def: $vgpr0
.LBB6_2097:                             ;   in Loop: Header=BB6_136 Depth=3
	s_andn2_saveexec_b64 s[26:27], s[30:31]
; %bb.2098:                             ;   in Loop: Header=BB6_136 Depth=3
	v_or_b32_e32 v20, 0x7e, v0
; %bb.2099:                             ;   in Loop: Header=BB6_136 Depth=3
	s_or_b64 exec, exec, s[26:27]
                                        ; implicit-def: $vgpr1
.LBB6_2100:                             ;   in Loop: Header=BB6_136 Depth=3
	s_andn2_saveexec_b64 s[26:27], s[94:95]
; %bb.2101:                             ;   in Loop: Header=BB6_136 Depth=3
	v_or_b32_sdwa v20, v1, s86 dst_sel:DWORD dst_unused:UNUSED_PAD src0_sel:BYTE_3 src1_sel:DWORD
; %bb.2102:                             ;   in Loop: Header=BB6_136 Depth=3
	s_or_b64 exec, exec, s[26:27]
	v_lshrrev_b16_e32 v8, 8, v10
	v_cmp_ne_u16_e32 vcc, 0, v8
	v_mov_b32_e32 v0, 0
	s_and_saveexec_b64 s[26:27], vcc
	s_cbranch_execz .LBB6_2108
; %bb.2103:                             ;   in Loop: Header=BB6_136 Depth=3
	v_cmp_ne_u16_e32 vcc, s96, v8
	v_bfrev_b32_e32 v0, 1
	s_and_saveexec_b64 s[94:95], vcc
	s_cbranch_execz .LBB6_2107
; %bb.2104:                             ;   in Loop: Header=BB6_136 Depth=3
	v_and_b32_e32 v1, 0x7f, v8
	v_cmp_ne_u32_e32 vcc, s86, v1
	v_mov_b32_e32 v0, 0x7f800001
	s_and_saveexec_b64 s[30:31], vcc
	s_cbranch_execz .LBB6_2106
; %bb.2105:                             ;   in Loop: Header=BB6_136 Depth=3
	v_and_b32_e32 v2, 7, v8
	v_ffbh_u32_e32 v0, v2
	v_min_u32_e32 v5, 32, v0
	v_subrev_u32_e32 v0, 28, v5
	v_lshrrev_b32_e32 v3, 3, v1
	v_cmp_gt_u32_e32 vcc, 8, v1
	v_lshlrev_b64 v[0:1], v0, v[8:9]
	v_sub_u32_e32 v1, 29, v5
	v_and_b32_e32 v0, 7, v0
	v_cndmask_b32_e32 v1, v3, v1, vcc
	v_cndmask_b32_e32 v0, v2, v0, vcc
	v_lshlrev_b32_e32 v2, 16, v10
	v_bfrev_b32_e32 v3, 60
	v_lshlrev_b32_e32 v0, 20, v0
	v_and_b32_e32 v2, 0x80000000, v2
	v_lshl_add_u32 v1, v1, 23, v3
	v_or3_b32 v0, v2, v1, v0
.LBB6_2106:                             ;   in Loop: Header=BB6_136 Depth=3
	s_or_b64 exec, exec, s[30:31]
.LBB6_2107:                             ;   in Loop: Header=BB6_136 Depth=3
	s_or_b64 exec, exec, s[94:95]
.LBB6_2108:                             ;   in Loop: Header=BB6_136 Depth=3
	s_or_b64 exec, exec, s[26:27]
	v_mul_f32_e32 v1, v18, v0
	v_and_b32_e32 v2, 0x7f800000, v1
	v_mov_b32_e32 v3, v51
	v_cmp_ne_u64_e32 vcc, s[76:77], v[2:3]
                                        ; implicit-def: $vgpr21
	s_and_saveexec_b64 s[26:27], vcc
	s_xor_b64 s[94:95], exec, s[26:27]
	s_cbranch_execz .LBB6_2122
; %bb.2109:                             ;   in Loop: Header=BB6_136 Depth=3
	v_and_b32_e32 v2, 0x7fffffff, v1
	v_mov_b32_e32 v3, v51
	v_cmp_gt_u64_e32 vcc, s[78:79], v[2:3]
	v_and_b32_sdwa v0, v1, s96 dst_sel:DWORD dst_unused:UNUSED_PAD src0_sel:BYTE_3 src1_sel:DWORD
                                        ; implicit-def: $vgpr21
	s_and_saveexec_b64 s[26:27], vcc
	s_xor_b64 s[30:31], exec, s[26:27]
	s_cbranch_execz .LBB6_2119
; %bb.2110:                             ;   in Loop: Header=BB6_136 Depth=3
	v_mov_b32_e32 v21, 0
	v_cmp_ne_u32_e32 vcc, 0, v1
	s_and_saveexec_b64 s[34:35], vcc
	s_cbranch_execz .LBB6_2118
; %bb.2111:                             ;   in Loop: Header=BB6_136 Depth=3
	v_and_b32_e32 v3, 0x7fffff, v1
	v_bfe_u32 v1, v1, 23, 8
	v_cmp_gt_u32_e64 s[26:27], s97, v1
	v_sub_u32_e32 v2, 0x79, v1
	v_cmp_eq_u32_e32 vcc, 0, v1
	v_cndmask_b32_e64 v2, 0, v2, s[26:27]
	v_mov_b32_e32 v6, 0x78
	v_or_b32_e32 v5, 0x800000, v3
	v_cndmask_b32_e32 v2, v2, v6, vcc
	v_cndmask_b32_e32 v5, v5, v3, vcc
	v_add_u32_e32 v3, 20, v2
	v_lshlrev_b64 v[7:8], v3, -1
	v_add_u32_e32 v3, 19, v2
	v_lshlrev_b64 v[14:15], v3, 1
	v_mov_b32_e32 v6, v51
	v_bfi_b32 v8, v8, 0, 0
	v_bfi_b32 v7, v7, 0, v5
	v_cmp_eq_u64_e64 s[26:27], v[7:8], v[14:15]
	v_lshrrev_b64 v[8:9], v2, v[5:6]
	v_mov_b32_e32 v15, v9
	v_mov_b32_e32 v14, v8
	s_and_saveexec_b64 s[36:37], s[26:27]
; %bb.2112:                             ;   in Loop: Header=BB6_136 Depth=3
	v_bfe_u32 v3, v8, 20, 1
	v_add_co_u32_e64 v3, s[26:27], v8, v3
	v_add_co_u32_e64 v14, s[26:27], -1, v3
; %bb.2113:                             ;   in Loop: Header=BB6_136 Depth=3
	s_or_b64 exec, exec, s[36:37]
	v_add_u32_e32 v1, 0xffffff81, v1
	v_mov_b32_e32 v3, 0xffffff82
	v_cndmask_b32_e32 v1, v1, v3, vcc
	v_lshrrev_b32_e32 v3, 23, v8
	v_add3_u32 v3, v2, v1, v3
	v_add_u32_e32 v2, 6, v3
	v_and_b32_e32 v1, 0xfffff, v14
	v_add_u32_e32 v8, v1, v8
	v_mov_b32_e32 v9, v51
	v_cmp_ne_u32_e32 vcc, 0, v2
                                        ; implicit-def: $vgpr1
	s_and_saveexec_b64 s[26:27], vcc
	s_xor_b64 s[26:27], exec, s[26:27]
; %bb.2114:                             ;   in Loop: Header=BB6_136 Depth=3
	v_cmp_lt_u64_e32 vcc, s[88:89], v[8:9]
	v_add_u32_e32 v1, 7, v3
	v_cndmask_b32_e32 v1, v2, v1, vcc
	v_cndmask_b32_e64 v2, 0, 1, vcc
	v_lshrrev_b64 v[8:9], v2, v[8:9]
; %bb.2115:                             ;   in Loop: Header=BB6_136 Depth=3
	s_andn2_saveexec_b64 s[26:27], s[26:27]
; %bb.2116:                             ;   in Loop: Header=BB6_136 Depth=3
	v_bfe_u32 v1, v8, 23, 1
; %bb.2117:                             ;   in Loop: Header=BB6_136 Depth=3
	s_or_b64 exec, exec, s[26:27]
	v_lshrrev_b64 v[2:3], 20, v[8:9]
	v_cmp_gt_i32_e32 vcc, 16, v1
	v_cndmask_b32_e32 v3, 0, v3, vcc
	v_cndmask_b32_e32 v2, 7, v2, vcc
	v_cmp_eq_u32_e32 vcc, 0, v1
	v_min_i32_e32 v1, 15, v1
	v_cmp_eq_u64_e64 s[26:27], 0, v[2:3]
	v_lshlrev_b32_e32 v1, 3, v1
	v_and_b32_e32 v1, 0xf8, v1
	v_and_or_b32 v1, v2, 7, v1
	s_and_b64 s[26:27], vcc, s[26:27]
	v_cndmask_b32_e64 v1, v1, 0, s[26:27]
	v_or_b32_e32 v21, v1, v0
.LBB6_2118:                             ;   in Loop: Header=BB6_136 Depth=3
	s_or_b64 exec, exec, s[34:35]
                                        ; implicit-def: $vgpr0
.LBB6_2119:                             ;   in Loop: Header=BB6_136 Depth=3
	s_andn2_saveexec_b64 s[26:27], s[30:31]
; %bb.2120:                             ;   in Loop: Header=BB6_136 Depth=3
	v_or_b32_e32 v21, 0x7e, v0
; %bb.2121:                             ;   in Loop: Header=BB6_136 Depth=3
	s_or_b64 exec, exec, s[26:27]
                                        ; implicit-def: $vgpr1
.LBB6_2122:                             ;   in Loop: Header=BB6_136 Depth=3
	s_andn2_saveexec_b64 s[26:27], s[94:95]
; %bb.2123:                             ;   in Loop: Header=BB6_136 Depth=3
	v_or_b32_sdwa v21, v1, s86 dst_sel:DWORD dst_unused:UNUSED_PAD src0_sel:BYTE_3 src1_sel:DWORD
; %bb.2124:                             ;   in Loop: Header=BB6_136 Depth=3
	s_or_b64 exec, exec, s[26:27]
	v_lshrrev_b32_e32 v8, 16, v10
	v_cmp_ne_u16_sdwa s[94:95], v8, v51 src0_sel:BYTE_0 src1_sel:DWORD
	v_mov_b32_e32 v0, 0
	s_and_saveexec_b64 s[26:27], s[94:95]
	s_cbranch_execz .LBB6_2130
; %bb.2125:                             ;   in Loop: Header=BB6_136 Depth=3
	v_cmp_ne_u16_sdwa vcc, v8, s96 src0_sel:BYTE_0 src1_sel:DWORD
	v_bfrev_b32_e32 v0, 1
	s_and_saveexec_b64 s[94:95], vcc
	s_cbranch_execz .LBB6_2129
; %bb.2126:                             ;   in Loop: Header=BB6_136 Depth=3
	v_bfe_u32 v1, v10, 16, 7
	v_cmp_ne_u32_e32 vcc, s86, v1
	v_mov_b32_e32 v0, 0x7f800001
	s_and_saveexec_b64 s[30:31], vcc
	s_cbranch_execz .LBB6_2128
; %bb.2127:                             ;   in Loop: Header=BB6_136 Depth=3
	v_and_b32_e32 v2, 7, v8
	v_ffbh_u32_e32 v0, v2
	v_min_u32_e32 v5, 32, v0
	v_subrev_u32_e32 v0, 28, v5
	v_lshrrev_b32_e32 v3, 3, v1
	v_cmp_gt_u32_e32 vcc, 8, v1
	v_lshlrev_b64 v[0:1], v0, v[8:9]
	v_sub_u32_e32 v1, 29, v5
	v_and_b32_e32 v0, 7, v0
	v_cndmask_b32_e32 v1, v3, v1, vcc
	v_cndmask_b32_e32 v0, v2, v0, vcc
	v_lshlrev_b32_e32 v2, 24, v8
	v_bfrev_b32_e32 v3, 60
	v_lshlrev_b32_e32 v0, 20, v0
	v_and_b32_e32 v2, 0x80000000, v2
	v_lshl_add_u32 v1, v1, 23, v3
	v_or3_b32 v0, v2, v1, v0
.LBB6_2128:                             ;   in Loop: Header=BB6_136 Depth=3
	s_or_b64 exec, exec, s[30:31]
.LBB6_2129:                             ;   in Loop: Header=BB6_136 Depth=3
	s_or_b64 exec, exec, s[94:95]
.LBB6_2130:                             ;   in Loop: Header=BB6_136 Depth=3
	s_or_b64 exec, exec, s[26:27]
	v_mul_f32_e32 v1, v18, v0
	v_and_b32_e32 v2, 0x7f800000, v1
	v_mov_b32_e32 v3, v51
	v_cmp_ne_u64_e32 vcc, s[76:77], v[2:3]
                                        ; implicit-def: $vgpr22
	s_and_saveexec_b64 s[26:27], vcc
	s_xor_b64 s[94:95], exec, s[26:27]
	s_cbranch_execz .LBB6_2144
; %bb.2131:                             ;   in Loop: Header=BB6_136 Depth=3
	v_and_b32_e32 v2, 0x7fffffff, v1
	v_mov_b32_e32 v3, v51
	v_cmp_gt_u64_e32 vcc, s[78:79], v[2:3]
	v_and_b32_sdwa v0, v1, s96 dst_sel:DWORD dst_unused:UNUSED_PAD src0_sel:BYTE_3 src1_sel:DWORD
                                        ; implicit-def: $vgpr22
	s_and_saveexec_b64 s[26:27], vcc
	s_xor_b64 s[30:31], exec, s[26:27]
	s_cbranch_execz .LBB6_2141
; %bb.2132:                             ;   in Loop: Header=BB6_136 Depth=3
	v_mov_b32_e32 v22, 0
	v_cmp_ne_u32_e32 vcc, 0, v1
	s_and_saveexec_b64 s[34:35], vcc
	s_cbranch_execz .LBB6_2140
; %bb.2133:                             ;   in Loop: Header=BB6_136 Depth=3
	v_and_b32_e32 v3, 0x7fffff, v1
	v_bfe_u32 v1, v1, 23, 8
	v_cmp_gt_u32_e64 s[26:27], s97, v1
	v_sub_u32_e32 v2, 0x79, v1
	v_cmp_eq_u32_e32 vcc, 0, v1
	v_cndmask_b32_e64 v2, 0, v2, s[26:27]
	v_mov_b32_e32 v6, 0x78
	v_or_b32_e32 v5, 0x800000, v3
	v_cndmask_b32_e32 v2, v2, v6, vcc
	v_cndmask_b32_e32 v5, v5, v3, vcc
	v_add_u32_e32 v3, 20, v2
	v_lshlrev_b64 v[7:8], v3, -1
	v_add_u32_e32 v3, 19, v2
	v_lshlrev_b64 v[14:15], v3, 1
	v_mov_b32_e32 v6, v51
	v_bfi_b32 v8, v8, 0, 0
	v_bfi_b32 v7, v7, 0, v5
	v_cmp_eq_u64_e64 s[26:27], v[7:8], v[14:15]
	v_lshrrev_b64 v[8:9], v2, v[5:6]
	v_mov_b32_e32 v15, v9
	v_mov_b32_e32 v14, v8
	s_and_saveexec_b64 s[36:37], s[26:27]
; %bb.2134:                             ;   in Loop: Header=BB6_136 Depth=3
	v_bfe_u32 v3, v8, 20, 1
	v_add_co_u32_e64 v3, s[26:27], v8, v3
	v_add_co_u32_e64 v14, s[26:27], -1, v3
; %bb.2135:                             ;   in Loop: Header=BB6_136 Depth=3
	s_or_b64 exec, exec, s[36:37]
	v_add_u32_e32 v1, 0xffffff81, v1
	v_mov_b32_e32 v3, 0xffffff82
	v_cndmask_b32_e32 v1, v1, v3, vcc
	v_lshrrev_b32_e32 v3, 23, v8
	v_add3_u32 v3, v2, v1, v3
	v_add_u32_e32 v2, 6, v3
	v_and_b32_e32 v1, 0xfffff, v14
	v_add_u32_e32 v8, v1, v8
	v_mov_b32_e32 v9, v51
	v_cmp_ne_u32_e32 vcc, 0, v2
                                        ; implicit-def: $vgpr1
	s_and_saveexec_b64 s[26:27], vcc
	s_xor_b64 s[26:27], exec, s[26:27]
; %bb.2136:                             ;   in Loop: Header=BB6_136 Depth=3
	v_cmp_lt_u64_e32 vcc, s[88:89], v[8:9]
	v_add_u32_e32 v1, 7, v3
	v_cndmask_b32_e32 v1, v2, v1, vcc
	v_cndmask_b32_e64 v2, 0, 1, vcc
	v_lshrrev_b64 v[8:9], v2, v[8:9]
; %bb.2137:                             ;   in Loop: Header=BB6_136 Depth=3
	s_andn2_saveexec_b64 s[26:27], s[26:27]
; %bb.2138:                             ;   in Loop: Header=BB6_136 Depth=3
	v_bfe_u32 v1, v8, 23, 1
; %bb.2139:                             ;   in Loop: Header=BB6_136 Depth=3
	s_or_b64 exec, exec, s[26:27]
	v_lshrrev_b64 v[2:3], 20, v[8:9]
	v_cmp_gt_i32_e32 vcc, 16, v1
	v_cndmask_b32_e32 v3, 0, v3, vcc
	v_cndmask_b32_e32 v2, 7, v2, vcc
	v_cmp_eq_u32_e32 vcc, 0, v1
	v_min_i32_e32 v1, 15, v1
	v_cmp_eq_u64_e64 s[26:27], 0, v[2:3]
	v_lshlrev_b32_e32 v1, 3, v1
	v_and_b32_e32 v1, 0xf8, v1
	v_and_or_b32 v1, v2, 7, v1
	s_and_b64 s[26:27], vcc, s[26:27]
	v_cndmask_b32_e64 v1, v1, 0, s[26:27]
	v_or_b32_e32 v22, v1, v0
.LBB6_2140:                             ;   in Loop: Header=BB6_136 Depth=3
	s_or_b64 exec, exec, s[34:35]
                                        ; implicit-def: $vgpr0
.LBB6_2141:                             ;   in Loop: Header=BB6_136 Depth=3
	s_andn2_saveexec_b64 s[26:27], s[30:31]
; %bb.2142:                             ;   in Loop: Header=BB6_136 Depth=3
	v_or_b32_e32 v22, 0x7e, v0
; %bb.2143:                             ;   in Loop: Header=BB6_136 Depth=3
	s_or_b64 exec, exec, s[26:27]
                                        ; implicit-def: $vgpr1
.LBB6_2144:                             ;   in Loop: Header=BB6_136 Depth=3
	s_andn2_saveexec_b64 s[26:27], s[94:95]
; %bb.2145:                             ;   in Loop: Header=BB6_136 Depth=3
	v_or_b32_sdwa v22, v1, s86 dst_sel:DWORD dst_unused:UNUSED_PAD src0_sel:BYTE_3 src1_sel:DWORD
; %bb.2146:                             ;   in Loop: Header=BB6_136 Depth=3
	s_or_b64 exec, exec, s[26:27]
	v_cmp_lt_u32_e32 vcc, s57, v10
	v_mov_b32_e32 v0, 0
	s_and_saveexec_b64 s[26:27], vcc
	s_cbranch_execz .LBB6_2152
; %bb.2147:                             ;   in Loop: Header=BB6_136 Depth=3
	v_lshrrev_b32_e32 v8, 24, v10
	v_cmp_ne_u32_e32 vcc, s96, v8
	v_bfrev_b32_e32 v0, 1
	s_and_saveexec_b64 s[94:95], vcc
	s_cbranch_execz .LBB6_2151
; %bb.2148:                             ;   in Loop: Header=BB6_136 Depth=3
	v_bfe_u32 v1, v10, 24, 7
	v_cmp_ne_u32_e32 vcc, s86, v1
	v_mov_b32_e32 v0, 0x7f800001
	s_and_saveexec_b64 s[30:31], vcc
	s_cbranch_execz .LBB6_2150
; %bb.2149:                             ;   in Loop: Header=BB6_136 Depth=3
	v_and_b32_e32 v2, 7, v8
	v_ffbh_u32_e32 v0, v2
	v_min_u32_e32 v5, 32, v0
	v_subrev_u32_e32 v0, 28, v5
	v_lshrrev_b32_e32 v3, 3, v1
	v_cmp_gt_u32_e32 vcc, 8, v1
	v_lshlrev_b64 v[0:1], v0, v[8:9]
	v_sub_u32_e32 v1, 29, v5
	v_and_b32_e32 v0, 7, v0
	v_cndmask_b32_e32 v1, v3, v1, vcc
	v_cndmask_b32_e32 v0, v2, v0, vcc
	v_lshlrev_b32_e32 v2, 24, v8
	v_bfrev_b32_e32 v3, 60
	v_lshlrev_b32_e32 v0, 20, v0
	v_and_b32_e32 v2, 0x80000000, v2
	v_lshl_add_u32 v1, v1, 23, v3
	v_or3_b32 v0, v2, v1, v0
.LBB6_2150:                             ;   in Loop: Header=BB6_136 Depth=3
	s_or_b64 exec, exec, s[30:31]
.LBB6_2151:                             ;   in Loop: Header=BB6_136 Depth=3
	s_or_b64 exec, exec, s[94:95]
.LBB6_2152:                             ;   in Loop: Header=BB6_136 Depth=3
	s_or_b64 exec, exec, s[26:27]
	v_mul_f32_e32 v1, v18, v0
	v_and_b32_e32 v2, 0x7f800000, v1
	v_mov_b32_e32 v3, v51
	v_cmp_ne_u64_e32 vcc, s[76:77], v[2:3]
                                        ; implicit-def: $vgpr23
	s_and_saveexec_b64 s[26:27], vcc
	s_xor_b64 s[94:95], exec, s[26:27]
	s_cbranch_execz .LBB6_2166
; %bb.2153:                             ;   in Loop: Header=BB6_136 Depth=3
	v_and_b32_e32 v2, 0x7fffffff, v1
	v_mov_b32_e32 v3, v51
	v_cmp_gt_u64_e32 vcc, s[78:79], v[2:3]
	v_and_b32_sdwa v0, v1, s96 dst_sel:DWORD dst_unused:UNUSED_PAD src0_sel:BYTE_3 src1_sel:DWORD
                                        ; implicit-def: $vgpr23
	s_and_saveexec_b64 s[26:27], vcc
	s_xor_b64 s[30:31], exec, s[26:27]
	s_cbranch_execz .LBB6_2163
; %bb.2154:                             ;   in Loop: Header=BB6_136 Depth=3
	v_mov_b32_e32 v23, 0
	v_cmp_ne_u32_e32 vcc, 0, v1
	s_and_saveexec_b64 s[34:35], vcc
	s_cbranch_execz .LBB6_2162
; %bb.2155:                             ;   in Loop: Header=BB6_136 Depth=3
	v_and_b32_e32 v3, 0x7fffff, v1
	v_bfe_u32 v1, v1, 23, 8
	v_cmp_gt_u32_e64 s[26:27], s97, v1
	v_sub_u32_e32 v2, 0x79, v1
	v_cmp_eq_u32_e32 vcc, 0, v1
	v_cndmask_b32_e64 v2, 0, v2, s[26:27]
	v_mov_b32_e32 v6, 0x78
	v_or_b32_e32 v5, 0x800000, v3
	v_cndmask_b32_e32 v2, v2, v6, vcc
	v_cndmask_b32_e32 v5, v5, v3, vcc
	v_add_u32_e32 v3, 20, v2
	v_lshlrev_b64 v[7:8], v3, -1
	v_add_u32_e32 v3, 19, v2
	v_lshlrev_b64 v[14:15], v3, 1
	v_mov_b32_e32 v6, v51
	v_bfi_b32 v8, v8, 0, 0
	v_bfi_b32 v7, v7, 0, v5
	v_cmp_eq_u64_e64 s[26:27], v[7:8], v[14:15]
	v_lshrrev_b64 v[8:9], v2, v[5:6]
	v_mov_b32_e32 v15, v9
	v_mov_b32_e32 v14, v8
	s_and_saveexec_b64 s[36:37], s[26:27]
; %bb.2156:                             ;   in Loop: Header=BB6_136 Depth=3
	v_bfe_u32 v3, v8, 20, 1
	v_add_co_u32_e64 v3, s[26:27], v8, v3
	v_add_co_u32_e64 v14, s[26:27], -1, v3
; %bb.2157:                             ;   in Loop: Header=BB6_136 Depth=3
	s_or_b64 exec, exec, s[36:37]
	v_add_u32_e32 v1, 0xffffff81, v1
	v_mov_b32_e32 v3, 0xffffff82
	v_cndmask_b32_e32 v1, v1, v3, vcc
	v_lshrrev_b32_e32 v3, 23, v8
	v_add3_u32 v3, v2, v1, v3
	v_add_u32_e32 v2, 6, v3
	v_and_b32_e32 v1, 0xfffff, v14
	v_add_u32_e32 v8, v1, v8
	v_mov_b32_e32 v9, v51
	v_cmp_ne_u32_e32 vcc, 0, v2
                                        ; implicit-def: $vgpr1
	s_and_saveexec_b64 s[26:27], vcc
	s_xor_b64 s[26:27], exec, s[26:27]
; %bb.2158:                             ;   in Loop: Header=BB6_136 Depth=3
	v_cmp_lt_u64_e32 vcc, s[88:89], v[8:9]
	v_add_u32_e32 v1, 7, v3
	v_cndmask_b32_e32 v1, v2, v1, vcc
	v_cndmask_b32_e64 v2, 0, 1, vcc
	v_lshrrev_b64 v[8:9], v2, v[8:9]
; %bb.2159:                             ;   in Loop: Header=BB6_136 Depth=3
	s_andn2_saveexec_b64 s[26:27], s[26:27]
; %bb.2160:                             ;   in Loop: Header=BB6_136 Depth=3
	v_bfe_u32 v1, v8, 23, 1
; %bb.2161:                             ;   in Loop: Header=BB6_136 Depth=3
	s_or_b64 exec, exec, s[26:27]
	v_lshrrev_b64 v[2:3], 20, v[8:9]
	v_cmp_gt_i32_e32 vcc, 16, v1
	v_cndmask_b32_e32 v3, 0, v3, vcc
	v_cndmask_b32_e32 v2, 7, v2, vcc
	v_cmp_eq_u32_e32 vcc, 0, v1
	v_min_i32_e32 v1, 15, v1
	v_cmp_eq_u64_e64 s[26:27], 0, v[2:3]
	v_lshlrev_b32_e32 v1, 3, v1
	v_and_b32_e32 v1, 0xf8, v1
	v_and_or_b32 v1, v2, 7, v1
	s_and_b64 s[26:27], vcc, s[26:27]
	v_cndmask_b32_e64 v1, v1, 0, s[26:27]
	v_or_b32_e32 v23, v1, v0
.LBB6_2162:                             ;   in Loop: Header=BB6_136 Depth=3
	s_or_b64 exec, exec, s[34:35]
                                        ; implicit-def: $vgpr0
.LBB6_2163:                             ;   in Loop: Header=BB6_136 Depth=3
	s_andn2_saveexec_b64 s[26:27], s[30:31]
; %bb.2164:                             ;   in Loop: Header=BB6_136 Depth=3
	v_or_b32_e32 v23, 0x7e, v0
; %bb.2165:                             ;   in Loop: Header=BB6_136 Depth=3
	s_or_b64 exec, exec, s[26:27]
                                        ; implicit-def: $vgpr1
.LBB6_2166:                             ;   in Loop: Header=BB6_136 Depth=3
	s_andn2_saveexec_b64 s[26:27], s[94:95]
; %bb.2167:                             ;   in Loop: Header=BB6_136 Depth=3
	v_or_b32_sdwa v23, v1, s86 dst_sel:DWORD dst_unused:UNUSED_PAD src0_sel:BYTE_3 src1_sel:DWORD
; %bb.2168:                             ;   in Loop: Header=BB6_136 Depth=3
	s_or_b64 exec, exec, s[26:27]
	v_mov_b32_e32 v8, v11
	v_mov_b32_e32 v9, v51
	v_cmp_ne_u16_sdwa s[94:95], v11, v51 src0_sel:BYTE_0 src1_sel:DWORD
	v_mov_b32_e32 v0, 0
	s_and_saveexec_b64 s[26:27], s[94:95]
	s_cbranch_execz .LBB6_2174
; %bb.2169:                             ;   in Loop: Header=BB6_136 Depth=3
	v_cmp_ne_u16_sdwa vcc, v11, s96 src0_sel:BYTE_0 src1_sel:DWORD
	v_bfrev_b32_e32 v0, 1
	s_and_saveexec_b64 s[94:95], vcc
	s_cbranch_execz .LBB6_2173
; %bb.2170:                             ;   in Loop: Header=BB6_136 Depth=3
	v_and_b32_e32 v1, 0x7f, v11
	v_cmp_ne_u32_e32 vcc, s86, v1
	v_mov_b32_e32 v0, 0x7f800001
	s_and_saveexec_b64 s[30:31], vcc
	s_cbranch_execz .LBB6_2172
; %bb.2171:                             ;   in Loop: Header=BB6_136 Depth=3
	v_and_b32_e32 v0, 7, v11
	v_ffbh_u32_e32 v0, v0
	v_min_u32_e32 v0, 32, v0
	v_lshrrev_b32_e32 v2, 3, v1
	v_cmp_gt_u32_e32 vcc, 8, v1
	v_subrev_u32_e32 v1, 28, v0
	v_sub_u32_e32 v0, 29, v0
	v_cndmask_b32_e32 v2, v2, v0, vcc
	v_cndmask_b32_e32 v0, 0, v1, vcc
	v_lshlrev_b64 v[0:1], v0, v[8:9]
	v_lshlrev_b32_e32 v1, 24, v8
	v_lshlrev_b32_e32 v0, 20, v0
	v_bfrev_b32_e32 v3, 60
	v_and_b32_e32 v0, 0x700000, v0
	v_and_b32_e32 v1, 0x80000000, v1
	v_lshl_add_u32 v2, v2, 23, v3
	v_or3_b32 v0, v1, v2, v0
.LBB6_2172:                             ;   in Loop: Header=BB6_136 Depth=3
	s_or_b64 exec, exec, s[30:31]
.LBB6_2173:                             ;   in Loop: Header=BB6_136 Depth=3
	s_or_b64 exec, exec, s[94:95]
.LBB6_2174:                             ;   in Loop: Header=BB6_136 Depth=3
	s_or_b64 exec, exec, s[26:27]
	v_mul_f32_e32 v1, v18, v0
	v_and_b32_e32 v2, 0x7f800000, v1
	v_mov_b32_e32 v3, v51
	v_cmp_ne_u64_e32 vcc, s[76:77], v[2:3]
                                        ; implicit-def: $vgpr2
	s_and_saveexec_b64 s[26:27], vcc
	s_xor_b64 s[94:95], exec, s[26:27]
	s_cbranch_execz .LBB6_2188
; %bb.2175:                             ;   in Loop: Header=BB6_136 Depth=3
	v_and_b32_e32 v2, 0x7fffffff, v1
	v_mov_b32_e32 v3, v51
	v_cmp_gt_u64_e32 vcc, s[78:79], v[2:3]
	v_and_b32_sdwa v0, v1, s96 dst_sel:DWORD dst_unused:UNUSED_PAD src0_sel:BYTE_3 src1_sel:DWORD
                                        ; implicit-def: $vgpr2
	s_and_saveexec_b64 s[26:27], vcc
	s_xor_b64 s[30:31], exec, s[26:27]
	s_cbranch_execz .LBB6_2185
; %bb.2176:                             ;   in Loop: Header=BB6_136 Depth=3
	v_mov_b32_e32 v2, 0
	v_cmp_ne_u32_e32 vcc, 0, v1
	s_and_saveexec_b64 s[34:35], vcc
	s_cbranch_execz .LBB6_2184
; %bb.2177:                             ;   in Loop: Header=BB6_136 Depth=3
	v_and_b32_e32 v3, 0x7fffff, v1
	v_bfe_u32 v1, v1, 23, 8
	v_cmp_gt_u32_e64 s[26:27], s97, v1
	v_sub_u32_e32 v2, 0x79, v1
	v_cmp_eq_u32_e32 vcc, 0, v1
	v_cndmask_b32_e64 v2, 0, v2, s[26:27]
	v_mov_b32_e32 v6, 0x78
	v_or_b32_e32 v5, 0x800000, v3
	v_cndmask_b32_e32 v2, v2, v6, vcc
	v_cndmask_b32_e32 v5, v5, v3, vcc
	v_add_u32_e32 v3, 20, v2
	v_lshlrev_b64 v[14:15], v3, -1
	v_add_u32_e32 v3, 19, v2
	v_lshlrev_b64 v[16:17], v3, 1
	v_mov_b32_e32 v6, v51
	v_bfi_b32 v15, v15, 0, 0
	v_bfi_b32 v14, v14, 0, v5
	v_cmp_eq_u64_e64 s[26:27], v[14:15], v[16:17]
	v_lshrrev_b64 v[14:15], v2, v[5:6]
	v_mov_b32_e32 v16, v15
	v_mov_b32_e32 v15, v14
	s_and_saveexec_b64 s[36:37], s[26:27]
; %bb.2178:                             ;   in Loop: Header=BB6_136 Depth=3
	v_bfe_u32 v3, v14, 20, 1
	v_add_co_u32_e64 v3, s[26:27], v14, v3
	v_add_co_u32_e64 v15, s[26:27], -1, v3
; %bb.2179:                             ;   in Loop: Header=BB6_136 Depth=3
	s_or_b64 exec, exec, s[36:37]
	v_add_u32_e32 v1, 0xffffff81, v1
	v_mov_b32_e32 v3, 0xffffff82
	v_cndmask_b32_e32 v1, v1, v3, vcc
	v_lshrrev_b32_e32 v3, 23, v14
	v_add3_u32 v3, v2, v1, v3
	v_add_u32_e32 v2, 6, v3
	v_and_b32_e32 v1, 0xfffff, v15
	v_add_u32_e32 v14, v1, v14
	v_mov_b32_e32 v15, v51
	v_cmp_ne_u32_e32 vcc, 0, v2
                                        ; implicit-def: $vgpr1
	s_and_saveexec_b64 s[26:27], vcc
	s_xor_b64 s[26:27], exec, s[26:27]
; %bb.2180:                             ;   in Loop: Header=BB6_136 Depth=3
	v_cmp_lt_u64_e32 vcc, s[88:89], v[14:15]
	v_add_u32_e32 v1, 7, v3
	v_cndmask_b32_e32 v1, v2, v1, vcc
	v_cndmask_b32_e64 v2, 0, 1, vcc
	v_lshrrev_b64 v[14:15], v2, v[14:15]
; %bb.2181:                             ;   in Loop: Header=BB6_136 Depth=3
	s_andn2_saveexec_b64 s[26:27], s[26:27]
; %bb.2182:                             ;   in Loop: Header=BB6_136 Depth=3
	v_bfe_u32 v1, v14, 23, 1
; %bb.2183:                             ;   in Loop: Header=BB6_136 Depth=3
	s_or_b64 exec, exec, s[26:27]
	v_lshrrev_b64 v[2:3], 20, v[14:15]
	v_cmp_gt_i32_e32 vcc, 16, v1
	v_cndmask_b32_e32 v3, 0, v3, vcc
	v_cndmask_b32_e32 v2, 7, v2, vcc
	v_cmp_eq_u32_e32 vcc, 0, v1
	v_min_i32_e32 v1, 15, v1
	v_cmp_eq_u64_e64 s[26:27], 0, v[2:3]
	v_lshlrev_b32_e32 v1, 3, v1
	v_and_b32_e32 v1, 0xf8, v1
	v_and_or_b32 v1, v2, 7, v1
	s_and_b64 s[26:27], vcc, s[26:27]
	v_cndmask_b32_e64 v1, v1, 0, s[26:27]
	v_or_b32_e32 v2, v1, v0
.LBB6_2184:                             ;   in Loop: Header=BB6_136 Depth=3
	s_or_b64 exec, exec, s[34:35]
                                        ; implicit-def: $vgpr0
.LBB6_2185:                             ;   in Loop: Header=BB6_136 Depth=3
	s_andn2_saveexec_b64 s[26:27], s[30:31]
; %bb.2186:                             ;   in Loop: Header=BB6_136 Depth=3
	v_or_b32_e32 v2, 0x7e, v0
; %bb.2187:                             ;   in Loop: Header=BB6_136 Depth=3
	s_or_b64 exec, exec, s[26:27]
                                        ; implicit-def: $vgpr1
.LBB6_2188:                             ;   in Loop: Header=BB6_136 Depth=3
	s_andn2_saveexec_b64 s[26:27], s[94:95]
; %bb.2189:                             ;   in Loop: Header=BB6_136 Depth=3
	v_or_b32_sdwa v2, v1, s86 dst_sel:DWORD dst_unused:UNUSED_PAD src0_sel:BYTE_3 src1_sel:DWORD
; %bb.2190:                             ;   in Loop: Header=BB6_136 Depth=3
	s_or_b64 exec, exec, s[26:27]
	v_lshrrev_b16_e32 v9, 8, v8
	v_cmp_ne_u16_e32 vcc, 0, v9
	v_mov_b32_e32 v0, 0
	s_and_saveexec_b64 s[26:27], vcc
	s_cbranch_execz .LBB6_2196
; %bb.2191:                             ;   in Loop: Header=BB6_136 Depth=3
	v_cmp_ne_u16_e32 vcc, s96, v9
	v_bfrev_b32_e32 v0, 1
	s_and_saveexec_b64 s[94:95], vcc
	s_cbranch_execz .LBB6_2195
; %bb.2192:                             ;   in Loop: Header=BB6_136 Depth=3
	v_and_b32_e32 v1, 0x7f, v9
	v_cmp_ne_u32_e32 vcc, s86, v1
	v_mov_b32_e32 v0, 0x7f800001
	s_and_saveexec_b64 s[30:31], vcc
	s_cbranch_execz .LBB6_2194
; %bb.2193:                             ;   in Loop: Header=BB6_136 Depth=3
	v_and_b32_e32 v3, 7, v9
	v_ffbh_u32_e32 v0, v3
	v_min_u32_e32 v6, 32, v0
	v_subrev_u32_e32 v0, 28, v6
	v_lshrrev_b32_e32 v5, 3, v1
	v_cmp_gt_u32_e32 vcc, 8, v1
	v_lshlrev_b64 v[0:1], v0, v[9:10]
	v_sub_u32_e32 v1, 29, v6
	v_and_b32_e32 v0, 7, v0
	v_cndmask_b32_e32 v1, v5, v1, vcc
	v_cndmask_b32_e32 v0, v3, v0, vcc
	v_lshlrev_b32_e32 v3, 16, v8
	v_bfrev_b32_e32 v5, 60
	v_lshlrev_b32_e32 v0, 20, v0
	v_and_b32_e32 v3, 0x80000000, v3
	v_lshl_add_u32 v1, v1, 23, v5
	v_or3_b32 v0, v3, v1, v0
.LBB6_2194:                             ;   in Loop: Header=BB6_136 Depth=3
	s_or_b64 exec, exec, s[30:31]
.LBB6_2195:                             ;   in Loop: Header=BB6_136 Depth=3
	s_or_b64 exec, exec, s[94:95]
.LBB6_2196:                             ;   in Loop: Header=BB6_136 Depth=3
	s_or_b64 exec, exec, s[26:27]
	v_mul_f32_e32 v1, v18, v0
	v_and_b32_e32 v5, 0x7f800000, v1
	v_mov_b32_e32 v6, v51
	v_cmp_ne_u64_e32 vcc, s[76:77], v[5:6]
                                        ; implicit-def: $vgpr34
	s_and_saveexec_b64 s[26:27], vcc
	s_xor_b64 s[94:95], exec, s[26:27]
	s_cbranch_execz .LBB6_2210
; %bb.2197:                             ;   in Loop: Header=BB6_136 Depth=3
	v_and_b32_e32 v5, 0x7fffffff, v1
	v_mov_b32_e32 v6, v51
	v_cmp_gt_u64_e32 vcc, s[78:79], v[5:6]
	v_and_b32_sdwa v0, v1, s96 dst_sel:DWORD dst_unused:UNUSED_PAD src0_sel:BYTE_3 src1_sel:DWORD
                                        ; implicit-def: $vgpr34
	s_and_saveexec_b64 s[26:27], vcc
	s_xor_b64 s[30:31], exec, s[26:27]
	s_cbranch_execz .LBB6_2207
; %bb.2198:                             ;   in Loop: Header=BB6_136 Depth=3
	v_mov_b32_e32 v34, 0
	v_cmp_ne_u32_e32 vcc, 0, v1
	s_and_saveexec_b64 s[34:35], vcc
	s_cbranch_execz .LBB6_2206
; %bb.2199:                             ;   in Loop: Header=BB6_136 Depth=3
	v_and_b32_e32 v5, 0x7fffff, v1
	v_bfe_u32 v1, v1, 23, 8
	v_cmp_gt_u32_e64 s[26:27], s97, v1
	v_sub_u32_e32 v3, 0x79, v1
	v_cmp_eq_u32_e32 vcc, 0, v1
	v_cndmask_b32_e64 v3, 0, v3, s[26:27]
	v_mov_b32_e32 v7, 0x78
	v_cndmask_b32_e32 v3, v3, v7, vcc
	v_add_u32_e32 v7, 20, v3
	v_or_b32_e32 v6, 0x800000, v5
	v_lshlrev_b64 v[7:8], v7, -1
	v_add_u32_e32 v9, 19, v3
	v_cndmask_b32_e32 v5, v6, v5, vcc
	v_lshlrev_b64 v[14:15], v9, 1
	v_mov_b32_e32 v6, v51
	v_bfi_b32 v8, v8, 0, 0
	v_bfi_b32 v7, v7, 0, v5
	v_cmp_eq_u64_e64 s[26:27], v[7:8], v[14:15]
	v_lshrrev_b64 v[8:9], v3, v[5:6]
	v_mov_b32_e32 v15, v9
	v_mov_b32_e32 v14, v8
	s_and_saveexec_b64 s[36:37], s[26:27]
; %bb.2200:                             ;   in Loop: Header=BB6_136 Depth=3
	v_bfe_u32 v5, v8, 20, 1
	v_add_co_u32_e64 v5, s[26:27], v8, v5
	v_add_co_u32_e64 v14, s[26:27], -1, v5
; %bb.2201:                             ;   in Loop: Header=BB6_136 Depth=3
	s_or_b64 exec, exec, s[36:37]
	v_add_u32_e32 v1, 0xffffff81, v1
	v_mov_b32_e32 v5, 0xffffff82
	v_cndmask_b32_e32 v1, v1, v5, vcc
	v_lshrrev_b32_e32 v5, 23, v8
	v_add3_u32 v5, v3, v1, v5
	v_add_u32_e32 v3, 6, v5
	v_and_b32_e32 v1, 0xfffff, v14
	v_add_u32_e32 v8, v1, v8
	v_mov_b32_e32 v9, v51
	v_cmp_ne_u32_e32 vcc, 0, v3
                                        ; implicit-def: $vgpr1
	s_and_saveexec_b64 s[26:27], vcc
	s_xor_b64 s[26:27], exec, s[26:27]
; %bb.2202:                             ;   in Loop: Header=BB6_136 Depth=3
	v_cmp_lt_u64_e32 vcc, s[88:89], v[8:9]
	v_add_u32_e32 v1, 7, v5
	v_cndmask_b32_e32 v1, v3, v1, vcc
	v_cndmask_b32_e64 v3, 0, 1, vcc
	v_lshrrev_b64 v[8:9], v3, v[8:9]
; %bb.2203:                             ;   in Loop: Header=BB6_136 Depth=3
	s_andn2_saveexec_b64 s[26:27], s[26:27]
; %bb.2204:                             ;   in Loop: Header=BB6_136 Depth=3
	v_bfe_u32 v1, v8, 23, 1
; %bb.2205:                             ;   in Loop: Header=BB6_136 Depth=3
	s_or_b64 exec, exec, s[26:27]
	v_lshrrev_b64 v[5:6], 20, v[8:9]
	v_cmp_gt_i32_e32 vcc, 16, v1
	v_cndmask_b32_e32 v6, 0, v6, vcc
	v_cndmask_b32_e32 v5, 7, v5, vcc
	v_cmp_eq_u32_e32 vcc, 0, v1
	v_min_i32_e32 v1, 15, v1
	v_cmp_eq_u64_e64 s[26:27], 0, v[5:6]
	v_lshlrev_b32_e32 v1, 3, v1
	v_and_b32_e32 v1, 0xf8, v1
	v_and_or_b32 v1, v5, 7, v1
	s_and_b64 s[26:27], vcc, s[26:27]
	v_cndmask_b32_e64 v1, v1, 0, s[26:27]
	v_or_b32_e32 v34, v1, v0
.LBB6_2206:                             ;   in Loop: Header=BB6_136 Depth=3
	s_or_b64 exec, exec, s[34:35]
                                        ; implicit-def: $vgpr0
.LBB6_2207:                             ;   in Loop: Header=BB6_136 Depth=3
	s_andn2_saveexec_b64 s[26:27], s[30:31]
; %bb.2208:                             ;   in Loop: Header=BB6_136 Depth=3
	v_or_b32_e32 v34, 0x7e, v0
; %bb.2209:                             ;   in Loop: Header=BB6_136 Depth=3
	s_or_b64 exec, exec, s[26:27]
                                        ; implicit-def: $vgpr1
.LBB6_2210:                             ;   in Loop: Header=BB6_136 Depth=3
	s_andn2_saveexec_b64 s[26:27], s[94:95]
; %bb.2211:                             ;   in Loop: Header=BB6_136 Depth=3
	v_or_b32_sdwa v34, v1, s86 dst_sel:DWORD dst_unused:UNUSED_PAD src0_sel:BYTE_3 src1_sel:DWORD
; %bb.2212:                             ;   in Loop: Header=BB6_136 Depth=3
	s_or_b64 exec, exec, s[26:27]
	v_lshrrev_b32_e32 v8, 16, v11
	v_cmp_ne_u16_sdwa s[94:95], v8, v51 src0_sel:BYTE_0 src1_sel:DWORD
	v_mov_b32_e32 v0, 0
	s_and_saveexec_b64 s[26:27], s[94:95]
	s_cbranch_execz .LBB6_2218
; %bb.2213:                             ;   in Loop: Header=BB6_136 Depth=3
	v_cmp_ne_u16_sdwa vcc, v8, s96 src0_sel:BYTE_0 src1_sel:DWORD
	v_bfrev_b32_e32 v0, 1
	s_and_saveexec_b64 s[94:95], vcc
	s_cbranch_execz .LBB6_2217
; %bb.2214:                             ;   in Loop: Header=BB6_136 Depth=3
	v_bfe_u32 v1, v11, 16, 7
	v_cmp_ne_u32_e32 vcc, s86, v1
	v_mov_b32_e32 v0, 0x7f800001
	s_and_saveexec_b64 s[30:31], vcc
	s_cbranch_execz .LBB6_2216
; %bb.2215:                             ;   in Loop: Header=BB6_136 Depth=3
	v_and_b32_e32 v3, 7, v8
	v_ffbh_u32_e32 v0, v3
	v_min_u32_e32 v6, 32, v0
	v_subrev_u32_e32 v0, 28, v6
	v_lshrrev_b32_e32 v5, 3, v1
	v_cmp_gt_u32_e32 vcc, 8, v1
	v_lshlrev_b64 v[0:1], v0, v[8:9]
	v_sub_u32_e32 v1, 29, v6
	v_and_b32_e32 v0, 7, v0
	v_cndmask_b32_e32 v1, v5, v1, vcc
	v_cndmask_b32_e32 v0, v3, v0, vcc
	v_lshlrev_b32_e32 v3, 24, v8
	v_bfrev_b32_e32 v5, 60
	v_lshlrev_b32_e32 v0, 20, v0
	v_and_b32_e32 v3, 0x80000000, v3
	v_lshl_add_u32 v1, v1, 23, v5
	v_or3_b32 v0, v3, v1, v0
.LBB6_2216:                             ;   in Loop: Header=BB6_136 Depth=3
	s_or_b64 exec, exec, s[30:31]
.LBB6_2217:                             ;   in Loop: Header=BB6_136 Depth=3
	s_or_b64 exec, exec, s[94:95]
.LBB6_2218:                             ;   in Loop: Header=BB6_136 Depth=3
	s_or_b64 exec, exec, s[26:27]
	v_mul_f32_e32 v1, v18, v0
	v_and_b32_e32 v5, 0x7f800000, v1
	v_mov_b32_e32 v6, v51
	v_cmp_ne_u64_e32 vcc, s[76:77], v[5:6]
                                        ; implicit-def: $vgpr3
	s_and_saveexec_b64 s[26:27], vcc
	s_xor_b64 s[94:95], exec, s[26:27]
	s_cbranch_execz .LBB6_2232
; %bb.2219:                             ;   in Loop: Header=BB6_136 Depth=3
	v_and_b32_e32 v5, 0x7fffffff, v1
	v_mov_b32_e32 v6, v51
	v_cmp_gt_u64_e32 vcc, s[78:79], v[5:6]
	v_and_b32_sdwa v0, v1, s96 dst_sel:DWORD dst_unused:UNUSED_PAD src0_sel:BYTE_3 src1_sel:DWORD
                                        ; implicit-def: $vgpr3
	s_and_saveexec_b64 s[26:27], vcc
	s_xor_b64 s[30:31], exec, s[26:27]
	s_cbranch_execz .LBB6_2229
; %bb.2220:                             ;   in Loop: Header=BB6_136 Depth=3
	v_mov_b32_e32 v3, 0
	v_cmp_ne_u32_e32 vcc, 0, v1
	s_and_saveexec_b64 s[34:35], vcc
	s_cbranch_execz .LBB6_2228
; %bb.2221:                             ;   in Loop: Header=BB6_136 Depth=3
	v_and_b32_e32 v5, 0x7fffff, v1
	v_bfe_u32 v1, v1, 23, 8
	v_cmp_gt_u32_e64 s[26:27], s97, v1
	v_sub_u32_e32 v3, 0x79, v1
	v_cmp_eq_u32_e32 vcc, 0, v1
	v_cndmask_b32_e64 v3, 0, v3, s[26:27]
	v_mov_b32_e32 v7, 0x78
	v_cndmask_b32_e32 v3, v3, v7, vcc
	v_add_u32_e32 v7, 20, v3
	v_or_b32_e32 v6, 0x800000, v5
	v_lshlrev_b64 v[7:8], v7, -1
	v_add_u32_e32 v9, 19, v3
	v_cndmask_b32_e32 v5, v6, v5, vcc
	v_lshlrev_b64 v[14:15], v9, 1
	v_mov_b32_e32 v6, v51
	v_bfi_b32 v8, v8, 0, 0
	v_bfi_b32 v7, v7, 0, v5
	v_cmp_eq_u64_e64 s[26:27], v[7:8], v[14:15]
	v_lshrrev_b64 v[8:9], v3, v[5:6]
	v_mov_b32_e32 v15, v9
	v_mov_b32_e32 v14, v8
	s_and_saveexec_b64 s[36:37], s[26:27]
; %bb.2222:                             ;   in Loop: Header=BB6_136 Depth=3
	v_bfe_u32 v5, v8, 20, 1
	v_add_co_u32_e64 v5, s[26:27], v8, v5
	v_add_co_u32_e64 v14, s[26:27], -1, v5
; %bb.2223:                             ;   in Loop: Header=BB6_136 Depth=3
	s_or_b64 exec, exec, s[36:37]
	v_add_u32_e32 v1, 0xffffff81, v1
	v_mov_b32_e32 v5, 0xffffff82
	v_cndmask_b32_e32 v1, v1, v5, vcc
	v_lshrrev_b32_e32 v5, 23, v8
	v_add3_u32 v5, v3, v1, v5
	v_add_u32_e32 v3, 6, v5
	v_and_b32_e32 v1, 0xfffff, v14
	v_add_u32_e32 v8, v1, v8
	v_mov_b32_e32 v9, v51
	v_cmp_ne_u32_e32 vcc, 0, v3
                                        ; implicit-def: $vgpr1
	s_and_saveexec_b64 s[26:27], vcc
	s_xor_b64 s[26:27], exec, s[26:27]
; %bb.2224:                             ;   in Loop: Header=BB6_136 Depth=3
	v_cmp_lt_u64_e32 vcc, s[88:89], v[8:9]
	v_add_u32_e32 v1, 7, v5
	v_cndmask_b32_e32 v1, v3, v1, vcc
	v_cndmask_b32_e64 v3, 0, 1, vcc
	v_lshrrev_b64 v[8:9], v3, v[8:9]
; %bb.2225:                             ;   in Loop: Header=BB6_136 Depth=3
	s_andn2_saveexec_b64 s[26:27], s[26:27]
; %bb.2226:                             ;   in Loop: Header=BB6_136 Depth=3
	v_bfe_u32 v1, v8, 23, 1
; %bb.2227:                             ;   in Loop: Header=BB6_136 Depth=3
	s_or_b64 exec, exec, s[26:27]
	v_lshrrev_b64 v[5:6], 20, v[8:9]
	v_cmp_gt_i32_e32 vcc, 16, v1
	v_cndmask_b32_e32 v6, 0, v6, vcc
	v_cndmask_b32_e32 v5, 7, v5, vcc
	v_cmp_eq_u32_e32 vcc, 0, v1
	v_min_i32_e32 v1, 15, v1
	v_cmp_eq_u64_e64 s[26:27], 0, v[5:6]
	v_lshlrev_b32_e32 v1, 3, v1
	v_and_b32_e32 v1, 0xf8, v1
	v_and_or_b32 v1, v5, 7, v1
	s_and_b64 s[26:27], vcc, s[26:27]
	v_cndmask_b32_e64 v1, v1, 0, s[26:27]
	v_or_b32_e32 v3, v1, v0
.LBB6_2228:                             ;   in Loop: Header=BB6_136 Depth=3
	s_or_b64 exec, exec, s[34:35]
                                        ; implicit-def: $vgpr0
.LBB6_2229:                             ;   in Loop: Header=BB6_136 Depth=3
	s_andn2_saveexec_b64 s[26:27], s[30:31]
; %bb.2230:                             ;   in Loop: Header=BB6_136 Depth=3
	v_or_b32_e32 v3, 0x7e, v0
; %bb.2231:                             ;   in Loop: Header=BB6_136 Depth=3
	s_or_b64 exec, exec, s[26:27]
                                        ; implicit-def: $vgpr1
.LBB6_2232:                             ;   in Loop: Header=BB6_136 Depth=3
	s_andn2_saveexec_b64 s[26:27], s[94:95]
; %bb.2233:                             ;   in Loop: Header=BB6_136 Depth=3
	v_or_b32_sdwa v3, v1, s86 dst_sel:DWORD dst_unused:UNUSED_PAD src0_sel:BYTE_3 src1_sel:DWORD
; %bb.2234:                             ;   in Loop: Header=BB6_136 Depth=3
	s_or_b64 exec, exec, s[26:27]
	v_cmp_lt_u64_e32 vcc, s[56:57], v[10:11]
	v_mov_b32_e32 v0, 0
	s_and_saveexec_b64 s[26:27], vcc
	s_cbranch_execz .LBB6_2240
; %bb.2235:                             ;   in Loop: Header=BB6_136 Depth=3
	v_lshrrev_b32_e32 v8, 24, v11
	v_cmp_ne_u32_e32 vcc, s96, v8
	v_bfrev_b32_e32 v0, 1
	s_and_saveexec_b64 s[94:95], vcc
	s_cbranch_execz .LBB6_2239
; %bb.2236:                             ;   in Loop: Header=BB6_136 Depth=3
	v_bfe_u32 v1, v11, 24, 7
	v_cmp_ne_u32_e32 vcc, s86, v1
	v_mov_b32_e32 v0, 0x7f800001
	s_and_saveexec_b64 s[30:31], vcc
	s_cbranch_execz .LBB6_2238
; %bb.2237:                             ;   in Loop: Header=BB6_136 Depth=3
	v_and_b32_e32 v5, 7, v8
	v_ffbh_u32_e32 v0, v5
	v_min_u32_e32 v7, 32, v0
	v_subrev_u32_e32 v0, 28, v7
	v_lshrrev_b32_e32 v6, 3, v1
	v_cmp_gt_u32_e32 vcc, 8, v1
	v_lshlrev_b64 v[0:1], v0, v[8:9]
	v_sub_u32_e32 v1, 29, v7
	v_and_b32_e32 v0, 7, v0
	v_cndmask_b32_e32 v1, v6, v1, vcc
	v_cndmask_b32_e32 v0, v5, v0, vcc
	v_lshlrev_b32_e32 v5, 24, v8
	v_bfrev_b32_e32 v6, 60
	v_lshlrev_b32_e32 v0, 20, v0
	v_and_b32_e32 v5, 0x80000000, v5
	v_lshl_add_u32 v1, v1, 23, v6
	v_or3_b32 v0, v5, v1, v0
.LBB6_2238:                             ;   in Loop: Header=BB6_136 Depth=3
	s_or_b64 exec, exec, s[30:31]
.LBB6_2239:                             ;   in Loop: Header=BB6_136 Depth=3
	s_or_b64 exec, exec, s[94:95]
.LBB6_2240:                             ;   in Loop: Header=BB6_136 Depth=3
	s_or_b64 exec, exec, s[26:27]
	v_mul_f32_e32 v1, v18, v0
	v_and_b32_e32 v5, 0x7f800000, v1
	v_mov_b32_e32 v6, v51
	v_cmp_ne_u64_e32 vcc, s[76:77], v[5:6]
                                        ; implicit-def: $vgpr35
	s_and_saveexec_b64 s[26:27], vcc
	s_xor_b64 s[94:95], exec, s[26:27]
	s_cbranch_execz .LBB6_2254
; %bb.2241:                             ;   in Loop: Header=BB6_136 Depth=3
	v_and_b32_e32 v5, 0x7fffffff, v1
	v_mov_b32_e32 v6, v51
	v_cmp_gt_u64_e32 vcc, s[78:79], v[5:6]
	v_and_b32_sdwa v0, v1, s96 dst_sel:DWORD dst_unused:UNUSED_PAD src0_sel:BYTE_3 src1_sel:DWORD
                                        ; implicit-def: $vgpr35
	s_and_saveexec_b64 s[26:27], vcc
	s_xor_b64 s[30:31], exec, s[26:27]
	s_cbranch_execz .LBB6_2251
; %bb.2242:                             ;   in Loop: Header=BB6_136 Depth=3
	v_mov_b32_e32 v35, 0
	v_cmp_ne_u32_e32 vcc, 0, v1
	s_and_saveexec_b64 s[34:35], vcc
	s_cbranch_execz .LBB6_2250
; %bb.2243:                             ;   in Loop: Header=BB6_136 Depth=3
	v_and_b32_e32 v6, 0x7fffff, v1
	v_bfe_u32 v1, v1, 23, 8
	v_cmp_gt_u32_e64 s[26:27], s97, v1
	v_sub_u32_e32 v5, 0x79, v1
	v_cmp_eq_u32_e32 vcc, 0, v1
	v_cndmask_b32_e64 v5, 0, v5, s[26:27]
	v_mov_b32_e32 v8, 0x78
	v_cndmask_b32_e32 v5, v5, v8, vcc
	v_add_u32_e32 v8, 20, v5
	v_or_b32_e32 v7, 0x800000, v6
	v_lshlrev_b64 v[8:9], v8, -1
	v_add_u32_e32 v10, 19, v5
	v_cndmask_b32_e32 v6, v7, v6, vcc
	v_lshlrev_b64 v[10:11], v10, 1
	v_mov_b32_e32 v7, v51
	v_bfi_b32 v9, v9, 0, 0
	v_bfi_b32 v8, v8, 0, v6
	v_cmp_eq_u64_e64 s[26:27], v[8:9], v[10:11]
	v_lshrrev_b64 v[8:9], v5, v[6:7]
	v_mov_b32_e32 v10, v9
	v_mov_b32_e32 v9, v8
	s_and_saveexec_b64 s[36:37], s[26:27]
; %bb.2244:                             ;   in Loop: Header=BB6_136 Depth=3
	v_bfe_u32 v6, v8, 20, 1
	v_add_co_u32_e64 v6, s[26:27], v8, v6
	v_add_co_u32_e64 v9, s[26:27], -1, v6
; %bb.2245:                             ;   in Loop: Header=BB6_136 Depth=3
	s_or_b64 exec, exec, s[36:37]
	v_add_u32_e32 v1, 0xffffff81, v1
	v_mov_b32_e32 v6, 0xffffff82
	v_cndmask_b32_e32 v1, v1, v6, vcc
	v_lshrrev_b32_e32 v6, 23, v8
	v_add3_u32 v6, v5, v1, v6
	v_add_u32_e32 v5, 6, v6
	v_and_b32_e32 v1, 0xfffff, v9
	v_add_u32_e32 v8, v1, v8
	v_mov_b32_e32 v9, v51
	v_cmp_ne_u32_e32 vcc, 0, v5
                                        ; implicit-def: $vgpr1
	s_and_saveexec_b64 s[26:27], vcc
	s_xor_b64 s[26:27], exec, s[26:27]
; %bb.2246:                             ;   in Loop: Header=BB6_136 Depth=3
	v_cmp_lt_u64_e32 vcc, s[88:89], v[8:9]
	v_add_u32_e32 v1, 7, v6
	v_cndmask_b32_e32 v1, v5, v1, vcc
	v_cndmask_b32_e64 v5, 0, 1, vcc
	v_lshrrev_b64 v[8:9], v5, v[8:9]
; %bb.2247:                             ;   in Loop: Header=BB6_136 Depth=3
	s_andn2_saveexec_b64 s[26:27], s[26:27]
; %bb.2248:                             ;   in Loop: Header=BB6_136 Depth=3
	v_bfe_u32 v1, v8, 23, 1
; %bb.2249:                             ;   in Loop: Header=BB6_136 Depth=3
	s_or_b64 exec, exec, s[26:27]
	v_lshrrev_b64 v[5:6], 20, v[8:9]
	v_cmp_gt_i32_e32 vcc, 16, v1
	v_cndmask_b32_e32 v6, 0, v6, vcc
	v_cndmask_b32_e32 v5, 7, v5, vcc
	v_cmp_eq_u32_e32 vcc, 0, v1
	v_min_i32_e32 v1, 15, v1
	v_cmp_eq_u64_e64 s[26:27], 0, v[5:6]
	v_lshlrev_b32_e32 v1, 3, v1
	v_and_b32_e32 v1, 0xf8, v1
	v_and_or_b32 v1, v5, 7, v1
	s_and_b64 s[26:27], vcc, s[26:27]
	v_cndmask_b32_e64 v1, v1, 0, s[26:27]
	v_or_b32_e32 v35, v1, v0
.LBB6_2250:                             ;   in Loop: Header=BB6_136 Depth=3
	s_or_b64 exec, exec, s[34:35]
                                        ; implicit-def: $vgpr0
.LBB6_2251:                             ;   in Loop: Header=BB6_136 Depth=3
	s_andn2_saveexec_b64 s[26:27], s[30:31]
; %bb.2252:                             ;   in Loop: Header=BB6_136 Depth=3
	v_or_b32_e32 v35, 0x7e, v0
; %bb.2253:                             ;   in Loop: Header=BB6_136 Depth=3
	s_or_b64 exec, exec, s[26:27]
                                        ; implicit-def: $vgpr1
.LBB6_2254:                             ;   in Loop: Header=BB6_136 Depth=3
	s_andn2_saveexec_b64 s[26:27], s[94:95]
; %bb.2255:                             ;   in Loop: Header=BB6_136 Depth=3
	v_or_b32_sdwa v35, v1, s86 dst_sel:DWORD dst_unused:UNUSED_PAD src0_sel:BYTE_3 src1_sel:DWORD
; %bb.2256:                             ;   in Loop: Header=BB6_136 Depth=3
	s_or_b64 exec, exec, s[26:27]
	v_add_co_u32_e32 v0, vcc, 0x1000, v12
	v_addc_co_u32_e32 v1, vcc, 0, v13, vcc
	global_load_dwordx4 v[8:11], v[0:1], off offset:2048 glc slc
	v_mov_b32_e32 v0, 0
	s_waitcnt vmcnt(0)
	v_cmp_ne_u16_sdwa s[94:95], v8, v51 src0_sel:BYTE_0 src1_sel:DWORD
	s_and_saveexec_b64 s[26:27], s[94:95]
	s_cbranch_execz .LBB6_2262
; %bb.2257:                             ;   in Loop: Header=BB6_136 Depth=3
	v_cmp_ne_u16_sdwa vcc, v8, s96 src0_sel:BYTE_0 src1_sel:DWORD
	v_bfrev_b32_e32 v0, 1
	s_and_saveexec_b64 s[94:95], vcc
	s_cbranch_execz .LBB6_2261
; %bb.2258:                             ;   in Loop: Header=BB6_136 Depth=3
	v_and_b32_e32 v1, 0x7f, v8
	v_cmp_ne_u32_e32 vcc, s86, v1
	v_mov_b32_e32 v0, 0x7f800001
	s_and_saveexec_b64 s[30:31], vcc
	s_cbranch_execz .LBB6_2260
; %bb.2259:                             ;   in Loop: Header=BB6_136 Depth=3
	v_and_b32_e32 v0, 7, v8
	v_ffbh_u32_e32 v0, v0
	v_min_u32_e32 v0, 32, v0
	v_lshrrev_b32_e32 v5, 3, v1
	v_cmp_gt_u32_e32 vcc, 8, v1
	v_subrev_u32_e32 v1, 28, v0
	v_sub_u32_e32 v0, 29, v0
	v_cndmask_b32_e32 v5, v5, v0, vcc
	v_cndmask_b32_e32 v0, 0, v1, vcc
	v_lshlrev_b64 v[0:1], v0, v[8:9]
	v_lshlrev_b32_e32 v1, 24, v8
	v_lshlrev_b32_e32 v0, 20, v0
	v_bfrev_b32_e32 v6, 60
	v_and_b32_e32 v0, 0x700000, v0
	v_and_b32_e32 v1, 0x80000000, v1
	v_lshl_add_u32 v5, v5, 23, v6
	v_or3_b32 v0, v1, v5, v0
.LBB6_2260:                             ;   in Loop: Header=BB6_136 Depth=3
	s_or_b64 exec, exec, s[30:31]
.LBB6_2261:                             ;   in Loop: Header=BB6_136 Depth=3
	s_or_b64 exec, exec, s[94:95]
.LBB6_2262:                             ;   in Loop: Header=BB6_136 Depth=3
	s_or_b64 exec, exec, s[26:27]
	v_mul_f32_e32 v1, v18, v0
	v_and_b32_e32 v5, 0x7f800000, v1
	v_mov_b32_e32 v6, v51
	v_cmp_ne_u64_e32 vcc, s[76:77], v[5:6]
                                        ; implicit-def: $vgpr30
	s_and_saveexec_b64 s[26:27], vcc
	s_xor_b64 s[94:95], exec, s[26:27]
	s_cbranch_execz .LBB6_2276
; %bb.2263:                             ;   in Loop: Header=BB6_136 Depth=3
	v_and_b32_e32 v5, 0x7fffffff, v1
	v_mov_b32_e32 v6, v51
	v_cmp_gt_u64_e32 vcc, s[78:79], v[5:6]
	v_and_b32_sdwa v0, v1, s96 dst_sel:DWORD dst_unused:UNUSED_PAD src0_sel:BYTE_3 src1_sel:DWORD
                                        ; implicit-def: $vgpr30
	s_and_saveexec_b64 s[26:27], vcc
	s_xor_b64 s[30:31], exec, s[26:27]
	s_cbranch_execz .LBB6_2273
; %bb.2264:                             ;   in Loop: Header=BB6_136 Depth=3
	v_mov_b32_e32 v30, 0
	v_cmp_ne_u32_e32 vcc, 0, v1
	s_and_saveexec_b64 s[34:35], vcc
	s_cbranch_execz .LBB6_2272
; %bb.2265:                             ;   in Loop: Header=BB6_136 Depth=3
	v_and_b32_e32 v6, 0x7fffff, v1
	v_bfe_u32 v1, v1, 23, 8
	v_cmp_gt_u32_e64 s[26:27], s97, v1
	v_sub_u32_e32 v5, 0x79, v1
	v_cmp_eq_u32_e32 vcc, 0, v1
	v_cndmask_b32_e64 v5, 0, v5, s[26:27]
	v_mov_b32_e32 v14, 0x78
	v_cndmask_b32_e32 v5, v5, v14, vcc
	v_add_u32_e32 v14, 20, v5
	v_or_b32_e32 v7, 0x800000, v6
	v_lshlrev_b64 v[14:15], v14, -1
	v_add_u32_e32 v16, 19, v5
	v_cndmask_b32_e32 v6, v7, v6, vcc
	v_lshlrev_b64 v[16:17], v16, 1
	v_mov_b32_e32 v7, v51
	v_bfi_b32 v15, v15, 0, 0
	v_bfi_b32 v14, v14, 0, v6
	v_cmp_eq_u64_e64 s[26:27], v[14:15], v[16:17]
	v_lshrrev_b64 v[14:15], v5, v[6:7]
	v_mov_b32_e32 v16, v15
	v_mov_b32_e32 v15, v14
	s_and_saveexec_b64 s[36:37], s[26:27]
; %bb.2266:                             ;   in Loop: Header=BB6_136 Depth=3
	v_bfe_u32 v6, v14, 20, 1
	v_add_co_u32_e64 v6, s[26:27], v14, v6
	v_add_co_u32_e64 v15, s[26:27], -1, v6
; %bb.2267:                             ;   in Loop: Header=BB6_136 Depth=3
	s_or_b64 exec, exec, s[36:37]
	v_add_u32_e32 v1, 0xffffff81, v1
	v_mov_b32_e32 v6, 0xffffff82
	v_cndmask_b32_e32 v1, v1, v6, vcc
	v_lshrrev_b32_e32 v6, 23, v14
	v_add3_u32 v6, v5, v1, v6
	v_add_u32_e32 v5, 6, v6
	v_and_b32_e32 v1, 0xfffff, v15
	v_add_u32_e32 v14, v1, v14
	v_mov_b32_e32 v15, v51
	v_cmp_ne_u32_e32 vcc, 0, v5
                                        ; implicit-def: $vgpr1
	s_and_saveexec_b64 s[26:27], vcc
	s_xor_b64 s[26:27], exec, s[26:27]
; %bb.2268:                             ;   in Loop: Header=BB6_136 Depth=3
	v_cmp_lt_u64_e32 vcc, s[88:89], v[14:15]
	v_add_u32_e32 v1, 7, v6
	v_cndmask_b32_e32 v1, v5, v1, vcc
	v_cndmask_b32_e64 v5, 0, 1, vcc
	v_lshrrev_b64 v[14:15], v5, v[14:15]
; %bb.2269:                             ;   in Loop: Header=BB6_136 Depth=3
	s_andn2_saveexec_b64 s[26:27], s[26:27]
; %bb.2270:                             ;   in Loop: Header=BB6_136 Depth=3
	v_bfe_u32 v1, v14, 23, 1
; %bb.2271:                             ;   in Loop: Header=BB6_136 Depth=3
	s_or_b64 exec, exec, s[26:27]
	v_lshrrev_b64 v[5:6], 20, v[14:15]
	v_cmp_gt_i32_e32 vcc, 16, v1
	v_cndmask_b32_e32 v6, 0, v6, vcc
	v_cndmask_b32_e32 v5, 7, v5, vcc
	v_cmp_eq_u32_e32 vcc, 0, v1
	v_min_i32_e32 v1, 15, v1
	v_cmp_eq_u64_e64 s[26:27], 0, v[5:6]
	v_lshlrev_b32_e32 v1, 3, v1
	v_and_b32_e32 v1, 0xf8, v1
	v_and_or_b32 v1, v5, 7, v1
	s_and_b64 s[26:27], vcc, s[26:27]
	v_cndmask_b32_e64 v1, v1, 0, s[26:27]
	v_or_b32_e32 v30, v1, v0
.LBB6_2272:                             ;   in Loop: Header=BB6_136 Depth=3
	s_or_b64 exec, exec, s[34:35]
                                        ; implicit-def: $vgpr0
.LBB6_2273:                             ;   in Loop: Header=BB6_136 Depth=3
	s_andn2_saveexec_b64 s[26:27], s[30:31]
; %bb.2274:                             ;   in Loop: Header=BB6_136 Depth=3
	v_or_b32_e32 v30, 0x7e, v0
; %bb.2275:                             ;   in Loop: Header=BB6_136 Depth=3
	s_or_b64 exec, exec, s[26:27]
                                        ; implicit-def: $vgpr1
.LBB6_2276:                             ;   in Loop: Header=BB6_136 Depth=3
	s_andn2_saveexec_b64 s[26:27], s[94:95]
; %bb.2277:                             ;   in Loop: Header=BB6_136 Depth=3
	v_or_b32_sdwa v30, v1, s86 dst_sel:DWORD dst_unused:UNUSED_PAD src0_sel:BYTE_3 src1_sel:DWORD
; %bb.2278:                             ;   in Loop: Header=BB6_136 Depth=3
	s_or_b64 exec, exec, s[26:27]
	v_lshrrev_b16_e32 v14, 8, v8
	v_cmp_ne_u16_e32 vcc, 0, v14
	v_mov_b32_e32 v0, 0
	s_and_saveexec_b64 s[26:27], vcc
	s_cbranch_execz .LBB6_2284
; %bb.2279:                             ;   in Loop: Header=BB6_136 Depth=3
	v_cmp_ne_u16_e32 vcc, s96, v14
	v_bfrev_b32_e32 v0, 1
	s_and_saveexec_b64 s[94:95], vcc
	s_cbranch_execz .LBB6_2283
; %bb.2280:                             ;   in Loop: Header=BB6_136 Depth=3
	v_and_b32_e32 v1, 0x7f, v14
	v_cmp_ne_u32_e32 vcc, s86, v1
	v_mov_b32_e32 v0, 0x7f800001
	s_and_saveexec_b64 s[30:31], vcc
	s_cbranch_execz .LBB6_2282
; %bb.2281:                             ;   in Loop: Header=BB6_136 Depth=3
	v_and_b32_e32 v5, 7, v14
	v_ffbh_u32_e32 v0, v5
	v_min_u32_e32 v7, 32, v0
	v_subrev_u32_e32 v0, 28, v7
	v_lshrrev_b32_e32 v6, 3, v1
	v_cmp_gt_u32_e32 vcc, 8, v1
	v_lshlrev_b64 v[0:1], v0, v[14:15]
	v_sub_u32_e32 v1, 29, v7
	v_and_b32_e32 v0, 7, v0
	v_cndmask_b32_e32 v1, v6, v1, vcc
	v_cndmask_b32_e32 v0, v5, v0, vcc
	v_lshlrev_b32_e32 v5, 16, v8
	v_bfrev_b32_e32 v6, 60
	v_lshlrev_b32_e32 v0, 20, v0
	v_and_b32_e32 v5, 0x80000000, v5
	v_lshl_add_u32 v1, v1, 23, v6
	v_or3_b32 v0, v5, v1, v0
.LBB6_2282:                             ;   in Loop: Header=BB6_136 Depth=3
	s_or_b64 exec, exec, s[30:31]
.LBB6_2283:                             ;   in Loop: Header=BB6_136 Depth=3
	s_or_b64 exec, exec, s[94:95]
.LBB6_2284:                             ;   in Loop: Header=BB6_136 Depth=3
	s_or_b64 exec, exec, s[26:27]
	v_mul_f32_e32 v1, v18, v0
	v_and_b32_e32 v5, 0x7f800000, v1
	v_mov_b32_e32 v6, v51
	v_cmp_ne_u64_e32 vcc, s[76:77], v[5:6]
                                        ; implicit-def: $vgpr32
	s_and_saveexec_b64 s[26:27], vcc
	s_xor_b64 s[94:95], exec, s[26:27]
	s_cbranch_execz .LBB6_2298
; %bb.2285:                             ;   in Loop: Header=BB6_136 Depth=3
	v_and_b32_e32 v5, 0x7fffffff, v1
	v_mov_b32_e32 v6, v51
	v_cmp_gt_u64_e32 vcc, s[78:79], v[5:6]
	v_and_b32_sdwa v0, v1, s96 dst_sel:DWORD dst_unused:UNUSED_PAD src0_sel:BYTE_3 src1_sel:DWORD
                                        ; implicit-def: $vgpr32
	s_and_saveexec_b64 s[26:27], vcc
	s_xor_b64 s[30:31], exec, s[26:27]
	s_cbranch_execz .LBB6_2295
; %bb.2286:                             ;   in Loop: Header=BB6_136 Depth=3
	v_mov_b32_e32 v32, 0
	v_cmp_ne_u32_e32 vcc, 0, v1
	s_and_saveexec_b64 s[34:35], vcc
	s_cbranch_execz .LBB6_2294
; %bb.2287:                             ;   in Loop: Header=BB6_136 Depth=3
	v_and_b32_e32 v6, 0x7fffff, v1
	v_bfe_u32 v1, v1, 23, 8
	v_cmp_gt_u32_e64 s[26:27], s97, v1
	v_sub_u32_e32 v5, 0x79, v1
	v_cmp_eq_u32_e32 vcc, 0, v1
	v_cndmask_b32_e64 v5, 0, v5, s[26:27]
	v_mov_b32_e32 v14, 0x78
	v_cndmask_b32_e32 v5, v5, v14, vcc
	v_add_u32_e32 v14, 20, v5
	v_or_b32_e32 v7, 0x800000, v6
	v_lshlrev_b64 v[14:15], v14, -1
	v_add_u32_e32 v16, 19, v5
	v_cndmask_b32_e32 v6, v7, v6, vcc
	v_lshlrev_b64 v[16:17], v16, 1
	v_mov_b32_e32 v7, v51
	v_bfi_b32 v15, v15, 0, 0
	v_bfi_b32 v14, v14, 0, v6
	v_cmp_eq_u64_e64 s[26:27], v[14:15], v[16:17]
	v_lshrrev_b64 v[14:15], v5, v[6:7]
	v_mov_b32_e32 v16, v15
	v_mov_b32_e32 v15, v14
	s_and_saveexec_b64 s[36:37], s[26:27]
; %bb.2288:                             ;   in Loop: Header=BB6_136 Depth=3
	v_bfe_u32 v6, v14, 20, 1
	v_add_co_u32_e64 v6, s[26:27], v14, v6
	v_add_co_u32_e64 v15, s[26:27], -1, v6
; %bb.2289:                             ;   in Loop: Header=BB6_136 Depth=3
	s_or_b64 exec, exec, s[36:37]
	v_add_u32_e32 v1, 0xffffff81, v1
	v_mov_b32_e32 v6, 0xffffff82
	v_cndmask_b32_e32 v1, v1, v6, vcc
	v_lshrrev_b32_e32 v6, 23, v14
	v_add3_u32 v6, v5, v1, v6
	v_add_u32_e32 v5, 6, v6
	v_and_b32_e32 v1, 0xfffff, v15
	v_add_u32_e32 v14, v1, v14
	v_mov_b32_e32 v15, v51
	v_cmp_ne_u32_e32 vcc, 0, v5
                                        ; implicit-def: $vgpr1
	s_and_saveexec_b64 s[26:27], vcc
	s_xor_b64 s[26:27], exec, s[26:27]
; %bb.2290:                             ;   in Loop: Header=BB6_136 Depth=3
	v_cmp_lt_u64_e32 vcc, s[88:89], v[14:15]
	v_add_u32_e32 v1, 7, v6
	v_cndmask_b32_e32 v1, v5, v1, vcc
	v_cndmask_b32_e64 v5, 0, 1, vcc
	v_lshrrev_b64 v[14:15], v5, v[14:15]
; %bb.2291:                             ;   in Loop: Header=BB6_136 Depth=3
	s_andn2_saveexec_b64 s[26:27], s[26:27]
; %bb.2292:                             ;   in Loop: Header=BB6_136 Depth=3
	v_bfe_u32 v1, v14, 23, 1
; %bb.2293:                             ;   in Loop: Header=BB6_136 Depth=3
	s_or_b64 exec, exec, s[26:27]
	v_lshrrev_b64 v[5:6], 20, v[14:15]
	v_cmp_gt_i32_e32 vcc, 16, v1
	v_cndmask_b32_e32 v6, 0, v6, vcc
	v_cndmask_b32_e32 v5, 7, v5, vcc
	v_cmp_eq_u32_e32 vcc, 0, v1
	v_min_i32_e32 v1, 15, v1
	v_cmp_eq_u64_e64 s[26:27], 0, v[5:6]
	v_lshlrev_b32_e32 v1, 3, v1
	v_and_b32_e32 v1, 0xf8, v1
	v_and_or_b32 v1, v5, 7, v1
	s_and_b64 s[26:27], vcc, s[26:27]
	v_cndmask_b32_e64 v1, v1, 0, s[26:27]
	v_or_b32_e32 v32, v1, v0
.LBB6_2294:                             ;   in Loop: Header=BB6_136 Depth=3
	s_or_b64 exec, exec, s[34:35]
                                        ; implicit-def: $vgpr0
.LBB6_2295:                             ;   in Loop: Header=BB6_136 Depth=3
	s_andn2_saveexec_b64 s[26:27], s[30:31]
; %bb.2296:                             ;   in Loop: Header=BB6_136 Depth=3
	v_or_b32_e32 v32, 0x7e, v0
; %bb.2297:                             ;   in Loop: Header=BB6_136 Depth=3
	s_or_b64 exec, exec, s[26:27]
                                        ; implicit-def: $vgpr1
.LBB6_2298:                             ;   in Loop: Header=BB6_136 Depth=3
	s_andn2_saveexec_b64 s[26:27], s[94:95]
; %bb.2299:                             ;   in Loop: Header=BB6_136 Depth=3
	v_or_b32_sdwa v32, v1, s86 dst_sel:DWORD dst_unused:UNUSED_PAD src0_sel:BYTE_3 src1_sel:DWORD
; %bb.2300:                             ;   in Loop: Header=BB6_136 Depth=3
	s_or_b64 exec, exec, s[26:27]
	v_lshrrev_b32_e32 v14, 16, v8
	v_cmp_ne_u16_sdwa s[94:95], v14, v51 src0_sel:BYTE_0 src1_sel:DWORD
	v_mov_b32_e32 v0, 0
	s_and_saveexec_b64 s[26:27], s[94:95]
	s_cbranch_execz .LBB6_2306
; %bb.2301:                             ;   in Loop: Header=BB6_136 Depth=3
	v_cmp_ne_u16_sdwa vcc, v14, s96 src0_sel:BYTE_0 src1_sel:DWORD
	v_bfrev_b32_e32 v0, 1
	s_and_saveexec_b64 s[94:95], vcc
	s_cbranch_execz .LBB6_2305
; %bb.2302:                             ;   in Loop: Header=BB6_136 Depth=3
	v_bfe_u32 v1, v8, 16, 7
	v_cmp_ne_u32_e32 vcc, s86, v1
	v_mov_b32_e32 v0, 0x7f800001
	s_and_saveexec_b64 s[30:31], vcc
	s_cbranch_execz .LBB6_2304
; %bb.2303:                             ;   in Loop: Header=BB6_136 Depth=3
	v_and_b32_e32 v5, 7, v14
	v_ffbh_u32_e32 v0, v5
	v_min_u32_e32 v7, 32, v0
	v_subrev_u32_e32 v0, 28, v7
	v_lshrrev_b32_e32 v6, 3, v1
	v_cmp_gt_u32_e32 vcc, 8, v1
	v_lshlrev_b64 v[0:1], v0, v[14:15]
	v_sub_u32_e32 v1, 29, v7
	v_and_b32_e32 v0, 7, v0
	v_cndmask_b32_e32 v1, v6, v1, vcc
	v_cndmask_b32_e32 v0, v5, v0, vcc
	v_lshlrev_b32_e32 v5, 24, v14
	v_bfrev_b32_e32 v6, 60
	v_lshlrev_b32_e32 v0, 20, v0
	v_and_b32_e32 v5, 0x80000000, v5
	v_lshl_add_u32 v1, v1, 23, v6
	v_or3_b32 v0, v5, v1, v0
.LBB6_2304:                             ;   in Loop: Header=BB6_136 Depth=3
	s_or_b64 exec, exec, s[30:31]
.LBB6_2305:                             ;   in Loop: Header=BB6_136 Depth=3
	s_or_b64 exec, exec, s[94:95]
.LBB6_2306:                             ;   in Loop: Header=BB6_136 Depth=3
	s_or_b64 exec, exec, s[26:27]
	v_mul_f32_e32 v5, v18, v0
	v_and_b32_e32 v0, 0x7f800000, v5
	v_mov_b32_e32 v1, v51
	v_cmp_ne_u64_e32 vcc, s[76:77], v[0:1]
                                        ; implicit-def: $vgpr1
	s_and_saveexec_b64 s[26:27], vcc
	s_xor_b64 s[94:95], exec, s[26:27]
	s_cbranch_execz .LBB6_2320
; %bb.2307:                             ;   in Loop: Header=BB6_136 Depth=3
	v_and_b32_e32 v0, 0x7fffffff, v5
	v_mov_b32_e32 v1, v51
	v_cmp_gt_u64_e32 vcc, s[78:79], v[0:1]
	v_and_b32_sdwa v0, v5, s96 dst_sel:DWORD dst_unused:UNUSED_PAD src0_sel:BYTE_3 src1_sel:DWORD
                                        ; implicit-def: $vgpr1
	s_and_saveexec_b64 s[26:27], vcc
	s_xor_b64 s[30:31], exec, s[26:27]
	s_cbranch_execz .LBB6_2317
; %bb.2308:                             ;   in Loop: Header=BB6_136 Depth=3
	v_mov_b32_e32 v1, 0
	v_cmp_ne_u32_e32 vcc, 0, v5
	s_and_saveexec_b64 s[34:35], vcc
	s_cbranch_execz .LBB6_2316
; %bb.2309:                             ;   in Loop: Header=BB6_136 Depth=3
	v_bfe_u32 v1, v5, 23, 8
	v_and_b32_e32 v6, 0x7fffff, v5
	v_cmp_gt_u32_e64 s[26:27], s97, v1
	v_sub_u32_e32 v5, 0x79, v1
	v_cmp_eq_u32_e32 vcc, 0, v1
	v_cndmask_b32_e64 v5, 0, v5, s[26:27]
	v_mov_b32_e32 v14, 0x78
	v_cndmask_b32_e32 v5, v5, v14, vcc
	v_add_u32_e32 v14, 20, v5
	v_or_b32_e32 v7, 0x800000, v6
	v_lshlrev_b64 v[14:15], v14, -1
	v_add_u32_e32 v16, 19, v5
	v_cndmask_b32_e32 v6, v7, v6, vcc
	v_lshlrev_b64 v[16:17], v16, 1
	v_mov_b32_e32 v7, v51
	v_bfi_b32 v15, v15, 0, 0
	v_bfi_b32 v14, v14, 0, v6
	v_cmp_eq_u64_e64 s[26:27], v[14:15], v[16:17]
	v_lshrrev_b64 v[14:15], v5, v[6:7]
	v_mov_b32_e32 v16, v15
	v_mov_b32_e32 v15, v14
	s_and_saveexec_b64 s[36:37], s[26:27]
; %bb.2310:                             ;   in Loop: Header=BB6_136 Depth=3
	v_bfe_u32 v6, v14, 20, 1
	v_add_co_u32_e64 v6, s[26:27], v14, v6
	v_add_co_u32_e64 v15, s[26:27], -1, v6
; %bb.2311:                             ;   in Loop: Header=BB6_136 Depth=3
	s_or_b64 exec, exec, s[36:37]
	v_add_u32_e32 v1, 0xffffff81, v1
	v_mov_b32_e32 v6, 0xffffff82
	v_cndmask_b32_e32 v1, v1, v6, vcc
	v_lshrrev_b32_e32 v6, 23, v14
	v_add3_u32 v6, v5, v1, v6
	v_add_u32_e32 v5, 6, v6
	v_and_b32_e32 v1, 0xfffff, v15
	v_add_u32_e32 v14, v1, v14
	v_mov_b32_e32 v15, v51
	v_cmp_ne_u32_e32 vcc, 0, v5
                                        ; implicit-def: $vgpr1
	s_and_saveexec_b64 s[26:27], vcc
	s_xor_b64 s[26:27], exec, s[26:27]
; %bb.2312:                             ;   in Loop: Header=BB6_136 Depth=3
	v_cmp_lt_u64_e32 vcc, s[88:89], v[14:15]
	v_add_u32_e32 v1, 7, v6
	v_cndmask_b32_e32 v1, v5, v1, vcc
	v_cndmask_b32_e64 v5, 0, 1, vcc
	v_lshrrev_b64 v[14:15], v5, v[14:15]
; %bb.2313:                             ;   in Loop: Header=BB6_136 Depth=3
	s_andn2_saveexec_b64 s[26:27], s[26:27]
; %bb.2314:                             ;   in Loop: Header=BB6_136 Depth=3
	v_bfe_u32 v1, v14, 23, 1
; %bb.2315:                             ;   in Loop: Header=BB6_136 Depth=3
	s_or_b64 exec, exec, s[26:27]
	v_lshrrev_b64 v[5:6], 20, v[14:15]
	v_cmp_gt_i32_e32 vcc, 16, v1
	v_cndmask_b32_e32 v6, 0, v6, vcc
	v_cndmask_b32_e32 v5, 7, v5, vcc
	v_cmp_eq_u32_e32 vcc, 0, v1
	v_min_i32_e32 v1, 15, v1
	v_cmp_eq_u64_e64 s[26:27], 0, v[5:6]
	v_lshlrev_b32_e32 v1, 3, v1
	v_and_b32_e32 v1, 0xf8, v1
	v_and_or_b32 v1, v5, 7, v1
	s_and_b64 s[26:27], vcc, s[26:27]
	v_cndmask_b32_e64 v1, v1, 0, s[26:27]
	v_or_b32_e32 v1, v1, v0
.LBB6_2316:                             ;   in Loop: Header=BB6_136 Depth=3
	s_or_b64 exec, exec, s[34:35]
                                        ; implicit-def: $vgpr0
.LBB6_2317:                             ;   in Loop: Header=BB6_136 Depth=3
	s_andn2_saveexec_b64 s[26:27], s[30:31]
; %bb.2318:                             ;   in Loop: Header=BB6_136 Depth=3
	v_or_b32_e32 v1, 0x7e, v0
; %bb.2319:                             ;   in Loop: Header=BB6_136 Depth=3
	s_or_b64 exec, exec, s[26:27]
                                        ; implicit-def: $vgpr5
.LBB6_2320:                             ;   in Loop: Header=BB6_136 Depth=3
	s_andn2_saveexec_b64 s[26:27], s[94:95]
; %bb.2321:                             ;   in Loop: Header=BB6_136 Depth=3
	v_or_b32_sdwa v1, v5, s86 dst_sel:DWORD dst_unused:UNUSED_PAD src0_sel:BYTE_3 src1_sel:DWORD
; %bb.2322:                             ;   in Loop: Header=BB6_136 Depth=3
	s_or_b64 exec, exec, s[26:27]
	v_cmp_lt_u32_e32 vcc, s57, v8
	v_mov_b32_e32 v0, 0
	s_and_saveexec_b64 s[26:27], vcc
	s_cbranch_execz .LBB6_2328
; %bb.2323:                             ;   in Loop: Header=BB6_136 Depth=3
	v_lshrrev_b32_e32 v14, 24, v8
	v_cmp_ne_u32_e32 vcc, s96, v14
	v_bfrev_b32_e32 v0, 1
	s_and_saveexec_b64 s[94:95], vcc
	s_cbranch_execz .LBB6_2327
; %bb.2324:                             ;   in Loop: Header=BB6_136 Depth=3
	v_bfe_u32 v5, v8, 24, 7
	v_cmp_ne_u32_e32 vcc, s86, v5
	v_mov_b32_e32 v0, 0x7f800001
	s_and_saveexec_b64 s[30:31], vcc
	s_cbranch_execz .LBB6_2326
; %bb.2325:                             ;   in Loop: Header=BB6_136 Depth=3
	v_and_b32_e32 v0, 7, v14
	v_lshrrev_b32_e32 v7, 3, v5
	v_cmp_gt_u32_e32 vcc, 8, v5
	v_ffbh_u32_e32 v5, v0
	v_min_u32_e32 v15, 32, v5
	v_subrev_u32_e32 v5, 28, v15
	v_lshlrev_b64 v[5:6], v5, v[14:15]
	v_sub_u32_e32 v6, 29, v15
	v_and_b32_e32 v5, 7, v5
	v_cndmask_b32_e32 v6, v7, v6, vcc
	v_cndmask_b32_e32 v0, v0, v5, vcc
	v_lshlrev_b32_e32 v5, 24, v14
	v_bfrev_b32_e32 v7, 60
	v_lshlrev_b32_e32 v0, 20, v0
	v_and_b32_e32 v5, 0x80000000, v5
	v_lshl_add_u32 v6, v6, 23, v7
	v_or3_b32 v0, v5, v6, v0
.LBB6_2326:                             ;   in Loop: Header=BB6_136 Depth=3
	s_or_b64 exec, exec, s[30:31]
.LBB6_2327:                             ;   in Loop: Header=BB6_136 Depth=3
	s_or_b64 exec, exec, s[94:95]
.LBB6_2328:                             ;   in Loop: Header=BB6_136 Depth=3
	s_or_b64 exec, exec, s[26:27]
	v_mul_f32_e32 v5, v18, v0
	v_and_b32_e32 v6, 0x7f800000, v5
	v_mov_b32_e32 v7, v51
	v_cmp_ne_u64_e32 vcc, s[76:77], v[6:7]
                                        ; implicit-def: $vgpr33
	s_and_saveexec_b64 s[26:27], vcc
	s_xor_b64 s[94:95], exec, s[26:27]
	s_cbranch_execz .LBB6_2342
; %bb.2329:                             ;   in Loop: Header=BB6_136 Depth=3
	v_and_b32_e32 v6, 0x7fffffff, v5
	v_mov_b32_e32 v7, v51
	v_cmp_gt_u64_e32 vcc, s[78:79], v[6:7]
	v_and_b32_sdwa v0, v5, s96 dst_sel:DWORD dst_unused:UNUSED_PAD src0_sel:BYTE_3 src1_sel:DWORD
                                        ; implicit-def: $vgpr33
	s_and_saveexec_b64 s[26:27], vcc
	s_xor_b64 s[30:31], exec, s[26:27]
	s_cbranch_execz .LBB6_2339
; %bb.2330:                             ;   in Loop: Header=BB6_136 Depth=3
	v_mov_b32_e32 v33, 0
	v_cmp_ne_u32_e32 vcc, 0, v5
	s_and_saveexec_b64 s[34:35], vcc
	s_cbranch_execz .LBB6_2338
; %bb.2331:                             ;   in Loop: Header=BB6_136 Depth=3
	v_and_b32_e32 v7, 0x7fffff, v5
	v_bfe_u32 v5, v5, 23, 8
	v_cmp_gt_u32_e64 s[26:27], s97, v5
	v_sub_u32_e32 v6, 0x79, v5
	v_cmp_eq_u32_e32 vcc, 0, v5
	v_cndmask_b32_e64 v6, 0, v6, s[26:27]
	v_mov_b32_e32 v15, 0x78
	v_or_b32_e32 v14, 0x800000, v7
	v_cndmask_b32_e32 v6, v6, v15, vcc
	v_cndmask_b32_e32 v14, v14, v7, vcc
	v_add_u32_e32 v7, 20, v6
	v_lshlrev_b64 v[16:17], v7, -1
	v_mov_b32_e32 v15, v51
	v_add_u32_e32 v7, 19, v6
	v_bfi_b32 v16, v16, 0, v14
	v_lshlrev_b64 v[24:25], v7, 1
	v_lshrrev_b64 v[14:15], v6, v[14:15]
	v_bfi_b32 v17, v17, 0, 0
	v_cmp_eq_u64_e64 s[26:27], v[16:17], v[24:25]
	v_mov_b32_e32 v16, v15
	v_mov_b32_e32 v15, v14
	s_and_saveexec_b64 s[36:37], s[26:27]
; %bb.2332:                             ;   in Loop: Header=BB6_136 Depth=3
	v_bfe_u32 v7, v14, 20, 1
	v_add_co_u32_e64 v7, s[26:27], v14, v7
	v_add_co_u32_e64 v15, s[26:27], -1, v7
; %bb.2333:                             ;   in Loop: Header=BB6_136 Depth=3
	s_or_b64 exec, exec, s[36:37]
	v_add_u32_e32 v5, 0xffffff81, v5
	v_mov_b32_e32 v7, 0xffffff82
	v_cndmask_b32_e32 v5, v5, v7, vcc
	v_lshrrev_b32_e32 v7, 23, v14
	v_add3_u32 v7, v6, v5, v7
	v_add_u32_e32 v6, 6, v7
	v_and_b32_e32 v5, 0xfffff, v15
	v_add_u32_e32 v14, v5, v14
	v_mov_b32_e32 v15, v51
	v_cmp_ne_u32_e32 vcc, 0, v6
                                        ; implicit-def: $vgpr5
	s_and_saveexec_b64 s[26:27], vcc
	s_xor_b64 s[26:27], exec, s[26:27]
; %bb.2334:                             ;   in Loop: Header=BB6_136 Depth=3
	v_cmp_lt_u64_e32 vcc, s[88:89], v[14:15]
	v_add_u32_e32 v5, 7, v7
	v_cndmask_b32_e32 v5, v6, v5, vcc
	v_cndmask_b32_e64 v6, 0, 1, vcc
	v_lshrrev_b64 v[14:15], v6, v[14:15]
; %bb.2335:                             ;   in Loop: Header=BB6_136 Depth=3
	s_andn2_saveexec_b64 s[26:27], s[26:27]
; %bb.2336:                             ;   in Loop: Header=BB6_136 Depth=3
	v_bfe_u32 v5, v14, 23, 1
; %bb.2337:                             ;   in Loop: Header=BB6_136 Depth=3
	s_or_b64 exec, exec, s[26:27]
	v_lshrrev_b64 v[6:7], 20, v[14:15]
	v_cmp_gt_i32_e32 vcc, 16, v5
	v_cndmask_b32_e32 v7, 0, v7, vcc
	v_cndmask_b32_e32 v6, 7, v6, vcc
	v_cmp_eq_u32_e32 vcc, 0, v5
	v_min_i32_e32 v5, 15, v5
	v_cmp_eq_u64_e64 s[26:27], 0, v[6:7]
	v_lshlrev_b32_e32 v5, 3, v5
	v_and_b32_e32 v5, 0xf8, v5
	v_and_or_b32 v5, v6, 7, v5
	s_and_b64 s[26:27], vcc, s[26:27]
	v_cndmask_b32_e64 v5, v5, 0, s[26:27]
	v_or_b32_e32 v33, v5, v0
.LBB6_2338:                             ;   in Loop: Header=BB6_136 Depth=3
	s_or_b64 exec, exec, s[34:35]
                                        ; implicit-def: $vgpr0
.LBB6_2339:                             ;   in Loop: Header=BB6_136 Depth=3
	s_andn2_saveexec_b64 s[26:27], s[30:31]
; %bb.2340:                             ;   in Loop: Header=BB6_136 Depth=3
	v_or_b32_e32 v33, 0x7e, v0
; %bb.2341:                             ;   in Loop: Header=BB6_136 Depth=3
	s_or_b64 exec, exec, s[26:27]
                                        ; implicit-def: $vgpr5
.LBB6_2342:                             ;   in Loop: Header=BB6_136 Depth=3
	s_andn2_saveexec_b64 s[26:27], s[94:95]
; %bb.2343:                             ;   in Loop: Header=BB6_136 Depth=3
	v_or_b32_sdwa v33, v5, s86 dst_sel:DWORD dst_unused:UNUSED_PAD src0_sel:BYTE_3 src1_sel:DWORD
; %bb.2344:                             ;   in Loop: Header=BB6_136 Depth=3
	s_or_b64 exec, exec, s[26:27]
	v_mov_b32_e32 v14, v9
	v_mov_b32_e32 v15, v51
	v_cmp_ne_u16_sdwa s[94:95], v9, v51 src0_sel:BYTE_0 src1_sel:DWORD
	v_mov_b32_e32 v0, 0
	s_and_saveexec_b64 s[26:27], s[94:95]
	s_cbranch_execz .LBB6_2350
; %bb.2345:                             ;   in Loop: Header=BB6_136 Depth=3
	v_cmp_ne_u16_sdwa vcc, v9, s96 src0_sel:BYTE_0 src1_sel:DWORD
	v_bfrev_b32_e32 v0, 1
	s_and_saveexec_b64 s[94:95], vcc
	s_cbranch_execz .LBB6_2349
; %bb.2346:                             ;   in Loop: Header=BB6_136 Depth=3
	v_and_b32_e32 v5, 0x7f, v9
	v_cmp_ne_u32_e32 vcc, s86, v5
	v_mov_b32_e32 v0, 0x7f800001
	s_and_saveexec_b64 s[30:31], vcc
	s_cbranch_execz .LBB6_2348
; %bb.2347:                             ;   in Loop: Header=BB6_136 Depth=3
	v_and_b32_e32 v0, 7, v9
	v_ffbh_u32_e32 v0, v0
	v_min_u32_e32 v0, 32, v0
	v_lshrrev_b32_e32 v6, 3, v5
	v_cmp_gt_u32_e32 vcc, 8, v5
	v_subrev_u32_e32 v5, 28, v0
	v_sub_u32_e32 v0, 29, v0
	v_cndmask_b32_e32 v5, 0, v5, vcc
	v_cndmask_b32_e32 v0, v6, v0, vcc
	v_lshlrev_b64 v[5:6], v5, v[14:15]
	v_lshlrev_b32_e32 v6, 24, v14
	v_lshlrev_b32_e32 v5, 20, v5
	v_bfrev_b32_e32 v7, 60
	v_and_b32_e32 v5, 0x700000, v5
	v_and_b32_e32 v6, 0x80000000, v6
	v_lshl_add_u32 v0, v0, 23, v7
	v_or3_b32 v0, v6, v0, v5
.LBB6_2348:                             ;   in Loop: Header=BB6_136 Depth=3
	s_or_b64 exec, exec, s[30:31]
.LBB6_2349:                             ;   in Loop: Header=BB6_136 Depth=3
	s_or_b64 exec, exec, s[94:95]
.LBB6_2350:                             ;   in Loop: Header=BB6_136 Depth=3
	s_or_b64 exec, exec, s[26:27]
	v_mul_f32_e32 v5, v18, v0
	v_and_b32_e32 v6, 0x7f800000, v5
	v_mov_b32_e32 v7, v51
	v_cmp_ne_u64_e32 vcc, s[76:77], v[6:7]
                                        ; implicit-def: $vgpr17
	s_and_saveexec_b64 s[26:27], vcc
	s_xor_b64 s[94:95], exec, s[26:27]
	s_cbranch_execz .LBB6_2364
; %bb.2351:                             ;   in Loop: Header=BB6_136 Depth=3
	v_and_b32_e32 v6, 0x7fffffff, v5
	v_mov_b32_e32 v7, v51
	v_cmp_gt_u64_e32 vcc, s[78:79], v[6:7]
	v_and_b32_sdwa v0, v5, s96 dst_sel:DWORD dst_unused:UNUSED_PAD src0_sel:BYTE_3 src1_sel:DWORD
                                        ; implicit-def: $vgpr17
	s_and_saveexec_b64 s[26:27], vcc
	s_xor_b64 s[30:31], exec, s[26:27]
	s_cbranch_execz .LBB6_2361
; %bb.2352:                             ;   in Loop: Header=BB6_136 Depth=3
	v_mov_b32_e32 v17, 0
	v_cmp_ne_u32_e32 vcc, 0, v5
	s_and_saveexec_b64 s[34:35], vcc
	s_cbranch_execz .LBB6_2360
; %bb.2353:                             ;   in Loop: Header=BB6_136 Depth=3
	v_and_b32_e32 v7, 0x7fffff, v5
	v_bfe_u32 v5, v5, 23, 8
	v_cmp_gt_u32_e64 s[26:27], s97, v5
	v_sub_u32_e32 v6, 0x79, v5
	v_cmp_eq_u32_e32 vcc, 0, v5
	v_cndmask_b32_e64 v6, 0, v6, s[26:27]
	v_mov_b32_e32 v16, 0x78
	v_or_b32_e32 v15, 0x800000, v7
	v_cndmask_b32_e32 v6, v6, v16, vcc
	v_cndmask_b32_e32 v15, v15, v7, vcc
	v_add_u32_e32 v7, 20, v6
	v_lshlrev_b64 v[24:25], v7, -1
	v_mov_b32_e32 v16, v51
	v_add_u32_e32 v7, 19, v6
	v_bfi_b32 v24, v24, 0, v15
	v_lshlrev_b64 v[36:37], v7, 1
	v_lshrrev_b64 v[15:16], v6, v[15:16]
	v_bfi_b32 v25, v25, 0, 0
	v_cmp_eq_u64_e64 s[26:27], v[24:25], v[36:37]
	v_mov_b32_e32 v17, v16
	v_mov_b32_e32 v16, v15
	s_and_saveexec_b64 s[36:37], s[26:27]
; %bb.2354:                             ;   in Loop: Header=BB6_136 Depth=3
	v_bfe_u32 v7, v15, 20, 1
	v_add_co_u32_e64 v7, s[26:27], v15, v7
	v_add_co_u32_e64 v16, s[26:27], -1, v7
; %bb.2355:                             ;   in Loop: Header=BB6_136 Depth=3
	s_or_b64 exec, exec, s[36:37]
	v_add_u32_e32 v5, 0xffffff81, v5
	v_mov_b32_e32 v7, 0xffffff82
	v_cndmask_b32_e32 v5, v5, v7, vcc
	v_lshrrev_b32_e32 v7, 23, v15
	v_add3_u32 v7, v6, v5, v7
	v_add_u32_e32 v6, 6, v7
	v_and_b32_e32 v5, 0xfffff, v16
	v_add_u32_e32 v15, v5, v15
	v_mov_b32_e32 v16, v51
	v_cmp_ne_u32_e32 vcc, 0, v6
                                        ; implicit-def: $vgpr5
	s_and_saveexec_b64 s[26:27], vcc
	s_xor_b64 s[26:27], exec, s[26:27]
; %bb.2356:                             ;   in Loop: Header=BB6_136 Depth=3
	v_cmp_lt_u64_e32 vcc, s[88:89], v[15:16]
	v_add_u32_e32 v5, 7, v7
	v_cndmask_b32_e32 v5, v6, v5, vcc
	v_cndmask_b32_e64 v6, 0, 1, vcc
	v_lshrrev_b64 v[15:16], v6, v[15:16]
; %bb.2357:                             ;   in Loop: Header=BB6_136 Depth=3
	s_andn2_saveexec_b64 s[26:27], s[26:27]
; %bb.2358:                             ;   in Loop: Header=BB6_136 Depth=3
	v_bfe_u32 v5, v15, 23, 1
; %bb.2359:                             ;   in Loop: Header=BB6_136 Depth=3
	s_or_b64 exec, exec, s[26:27]
	v_lshrrev_b64 v[6:7], 20, v[15:16]
	v_cmp_gt_i32_e32 vcc, 16, v5
	v_cndmask_b32_e32 v7, 0, v7, vcc
	v_cndmask_b32_e32 v6, 7, v6, vcc
	v_cmp_eq_u32_e32 vcc, 0, v5
	v_min_i32_e32 v5, 15, v5
	v_cmp_eq_u64_e64 s[26:27], 0, v[6:7]
	v_lshlrev_b32_e32 v5, 3, v5
	v_and_b32_e32 v5, 0xf8, v5
	v_and_or_b32 v5, v6, 7, v5
	s_and_b64 s[26:27], vcc, s[26:27]
	v_cndmask_b32_e64 v5, v5, 0, s[26:27]
	v_or_b32_e32 v17, v5, v0
.LBB6_2360:                             ;   in Loop: Header=BB6_136 Depth=3
	s_or_b64 exec, exec, s[34:35]
                                        ; implicit-def: $vgpr0
.LBB6_2361:                             ;   in Loop: Header=BB6_136 Depth=3
	s_andn2_saveexec_b64 s[26:27], s[30:31]
; %bb.2362:                             ;   in Loop: Header=BB6_136 Depth=3
	v_or_b32_e32 v17, 0x7e, v0
; %bb.2363:                             ;   in Loop: Header=BB6_136 Depth=3
	s_or_b64 exec, exec, s[26:27]
                                        ; implicit-def: $vgpr5
.LBB6_2364:                             ;   in Loop: Header=BB6_136 Depth=3
	s_andn2_saveexec_b64 s[26:27], s[94:95]
; %bb.2365:                             ;   in Loop: Header=BB6_136 Depth=3
	v_or_b32_sdwa v17, v5, s86 dst_sel:DWORD dst_unused:UNUSED_PAD src0_sel:BYTE_3 src1_sel:DWORD
; %bb.2366:                             ;   in Loop: Header=BB6_136 Depth=3
	s_or_b64 exec, exec, s[26:27]
	v_lshrrev_b16_e32 v15, 8, v14
	v_cmp_ne_u16_e32 vcc, 0, v15
	v_mov_b32_e32 v0, 0
	s_and_saveexec_b64 s[26:27], vcc
	s_cbranch_execz .LBB6_2372
; %bb.2367:                             ;   in Loop: Header=BB6_136 Depth=3
	v_cmp_ne_u16_e32 vcc, s96, v15
	v_bfrev_b32_e32 v0, 1
	s_and_saveexec_b64 s[94:95], vcc
	s_cbranch_execz .LBB6_2371
; %bb.2368:                             ;   in Loop: Header=BB6_136 Depth=3
	v_and_b32_e32 v5, 0x7f, v15
	v_cmp_ne_u32_e32 vcc, s86, v5
	v_mov_b32_e32 v0, 0x7f800001
	s_and_saveexec_b64 s[30:31], vcc
	s_cbranch_execz .LBB6_2370
; %bb.2369:                             ;   in Loop: Header=BB6_136 Depth=3
	v_and_b32_e32 v0, 7, v15
	v_lshrrev_b32_e32 v7, 3, v5
	v_cmp_gt_u32_e32 vcc, 8, v5
	v_ffbh_u32_e32 v5, v0
	v_min_u32_e32 v16, 32, v5
	v_subrev_u32_e32 v5, 28, v16
	v_lshlrev_b64 v[5:6], v5, v[15:16]
	v_sub_u32_e32 v6, 29, v16
	v_and_b32_e32 v5, 7, v5
	v_cndmask_b32_e32 v6, v7, v6, vcc
	v_cndmask_b32_e32 v0, v0, v5, vcc
	v_lshlrev_b32_e32 v5, 16, v14
	v_bfrev_b32_e32 v7, 60
	v_lshlrev_b32_e32 v0, 20, v0
	v_and_b32_e32 v5, 0x80000000, v5
	v_lshl_add_u32 v6, v6, 23, v7
	v_or3_b32 v0, v5, v6, v0
.LBB6_2370:                             ;   in Loop: Header=BB6_136 Depth=3
	s_or_b64 exec, exec, s[30:31]
.LBB6_2371:                             ;   in Loop: Header=BB6_136 Depth=3
	s_or_b64 exec, exec, s[94:95]
.LBB6_2372:                             ;   in Loop: Header=BB6_136 Depth=3
	s_or_b64 exec, exec, s[26:27]
	v_mul_f32_e32 v5, v18, v0
	v_and_b32_e32 v6, 0x7f800000, v5
	v_mov_b32_e32 v7, v51
	v_cmp_ne_u64_e32 vcc, s[76:77], v[6:7]
                                        ; implicit-def: $vgpr36
	s_and_saveexec_b64 s[26:27], vcc
	s_xor_b64 s[94:95], exec, s[26:27]
	s_cbranch_execz .LBB6_2386
; %bb.2373:                             ;   in Loop: Header=BB6_136 Depth=3
	v_and_b32_e32 v6, 0x7fffffff, v5
	v_mov_b32_e32 v7, v51
	v_cmp_gt_u64_e32 vcc, s[78:79], v[6:7]
	v_and_b32_sdwa v0, v5, s96 dst_sel:DWORD dst_unused:UNUSED_PAD src0_sel:BYTE_3 src1_sel:DWORD
                                        ; implicit-def: $vgpr36
	s_and_saveexec_b64 s[26:27], vcc
	s_xor_b64 s[30:31], exec, s[26:27]
	s_cbranch_execz .LBB6_2383
; %bb.2374:                             ;   in Loop: Header=BB6_136 Depth=3
	v_mov_b32_e32 v36, 0
	v_cmp_ne_u32_e32 vcc, 0, v5
	s_and_saveexec_b64 s[34:35], vcc
	s_cbranch_execz .LBB6_2382
; %bb.2375:                             ;   in Loop: Header=BB6_136 Depth=3
	v_and_b32_e32 v7, 0x7fffff, v5
	v_bfe_u32 v5, v5, 23, 8
	v_cmp_gt_u32_e64 s[26:27], s97, v5
	v_sub_u32_e32 v6, 0x79, v5
	v_cmp_eq_u32_e32 vcc, 0, v5
	v_cndmask_b32_e64 v6, 0, v6, s[26:27]
	v_mov_b32_e32 v15, 0x78
	v_or_b32_e32 v14, 0x800000, v7
	v_cndmask_b32_e32 v6, v6, v15, vcc
	v_cndmask_b32_e32 v14, v14, v7, vcc
	v_add_u32_e32 v7, 20, v6
	v_lshlrev_b64 v[24:25], v7, -1
	v_mov_b32_e32 v15, v51
	v_add_u32_e32 v7, 19, v6
	v_bfi_b32 v24, v24, 0, v14
	v_lshlrev_b64 v[36:37], v7, 1
	v_lshrrev_b64 v[14:15], v6, v[14:15]
	v_bfi_b32 v25, v25, 0, 0
	v_cmp_eq_u64_e64 s[26:27], v[24:25], v[36:37]
	v_mov_b32_e32 v16, v15
	v_mov_b32_e32 v15, v14
	s_and_saveexec_b64 s[36:37], s[26:27]
; %bb.2376:                             ;   in Loop: Header=BB6_136 Depth=3
	v_bfe_u32 v7, v14, 20, 1
	v_add_co_u32_e64 v7, s[26:27], v14, v7
	v_add_co_u32_e64 v15, s[26:27], -1, v7
; %bb.2377:                             ;   in Loop: Header=BB6_136 Depth=3
	s_or_b64 exec, exec, s[36:37]
	v_add_u32_e32 v5, 0xffffff81, v5
	v_mov_b32_e32 v7, 0xffffff82
	v_cndmask_b32_e32 v5, v5, v7, vcc
	v_lshrrev_b32_e32 v7, 23, v14
	v_add3_u32 v7, v6, v5, v7
	v_add_u32_e32 v6, 6, v7
	v_and_b32_e32 v5, 0xfffff, v15
	v_add_u32_e32 v14, v5, v14
	v_mov_b32_e32 v15, v51
	v_cmp_ne_u32_e32 vcc, 0, v6
                                        ; implicit-def: $vgpr5
	s_and_saveexec_b64 s[26:27], vcc
	s_xor_b64 s[26:27], exec, s[26:27]
; %bb.2378:                             ;   in Loop: Header=BB6_136 Depth=3
	v_cmp_lt_u64_e32 vcc, s[88:89], v[14:15]
	v_add_u32_e32 v5, 7, v7
	v_cndmask_b32_e32 v5, v6, v5, vcc
	v_cndmask_b32_e64 v6, 0, 1, vcc
	v_lshrrev_b64 v[14:15], v6, v[14:15]
; %bb.2379:                             ;   in Loop: Header=BB6_136 Depth=3
	s_andn2_saveexec_b64 s[26:27], s[26:27]
; %bb.2380:                             ;   in Loop: Header=BB6_136 Depth=3
	v_bfe_u32 v5, v14, 23, 1
; %bb.2381:                             ;   in Loop: Header=BB6_136 Depth=3
	s_or_b64 exec, exec, s[26:27]
	v_lshrrev_b64 v[6:7], 20, v[14:15]
	v_cmp_gt_i32_e32 vcc, 16, v5
	v_cndmask_b32_e32 v7, 0, v7, vcc
	v_cndmask_b32_e32 v6, 7, v6, vcc
	v_cmp_eq_u32_e32 vcc, 0, v5
	v_min_i32_e32 v5, 15, v5
	v_cmp_eq_u64_e64 s[26:27], 0, v[6:7]
	v_lshlrev_b32_e32 v5, 3, v5
	v_and_b32_e32 v5, 0xf8, v5
	v_and_or_b32 v5, v6, 7, v5
	s_and_b64 s[26:27], vcc, s[26:27]
	v_cndmask_b32_e64 v5, v5, 0, s[26:27]
	v_or_b32_e32 v36, v5, v0
.LBB6_2382:                             ;   in Loop: Header=BB6_136 Depth=3
	s_or_b64 exec, exec, s[34:35]
                                        ; implicit-def: $vgpr0
.LBB6_2383:                             ;   in Loop: Header=BB6_136 Depth=3
	s_andn2_saveexec_b64 s[26:27], s[30:31]
; %bb.2384:                             ;   in Loop: Header=BB6_136 Depth=3
	v_or_b32_e32 v36, 0x7e, v0
; %bb.2385:                             ;   in Loop: Header=BB6_136 Depth=3
	s_or_b64 exec, exec, s[26:27]
                                        ; implicit-def: $vgpr5
.LBB6_2386:                             ;   in Loop: Header=BB6_136 Depth=3
	s_andn2_saveexec_b64 s[26:27], s[94:95]
; %bb.2387:                             ;   in Loop: Header=BB6_136 Depth=3
	v_or_b32_sdwa v36, v5, s86 dst_sel:DWORD dst_unused:UNUSED_PAD src0_sel:BYTE_3 src1_sel:DWORD
; %bb.2388:                             ;   in Loop: Header=BB6_136 Depth=3
	s_or_b64 exec, exec, s[26:27]
	v_lshrrev_b32_e32 v14, 16, v9
	v_cmp_ne_u16_sdwa s[94:95], v14, v51 src0_sel:BYTE_0 src1_sel:DWORD
	v_mov_b32_e32 v0, 0
	s_and_saveexec_b64 s[26:27], s[94:95]
	s_cbranch_execz .LBB6_2394
; %bb.2389:                             ;   in Loop: Header=BB6_136 Depth=3
	v_cmp_ne_u16_sdwa vcc, v14, s96 src0_sel:BYTE_0 src1_sel:DWORD
	v_bfrev_b32_e32 v0, 1
	s_and_saveexec_b64 s[94:95], vcc
	s_cbranch_execz .LBB6_2393
; %bb.2390:                             ;   in Loop: Header=BB6_136 Depth=3
	v_bfe_u32 v5, v9, 16, 7
	v_cmp_ne_u32_e32 vcc, s86, v5
	v_mov_b32_e32 v0, 0x7f800001
	s_and_saveexec_b64 s[30:31], vcc
	s_cbranch_execz .LBB6_2392
; %bb.2391:                             ;   in Loop: Header=BB6_136 Depth=3
	v_and_b32_e32 v0, 7, v14
	v_lshrrev_b32_e32 v7, 3, v5
	v_cmp_gt_u32_e32 vcc, 8, v5
	v_ffbh_u32_e32 v5, v0
	v_min_u32_e32 v15, 32, v5
	v_subrev_u32_e32 v5, 28, v15
	v_lshlrev_b64 v[5:6], v5, v[14:15]
	v_sub_u32_e32 v6, 29, v15
	v_and_b32_e32 v5, 7, v5
	v_cndmask_b32_e32 v6, v7, v6, vcc
	v_cndmask_b32_e32 v0, v0, v5, vcc
	v_lshlrev_b32_e32 v5, 24, v14
	v_bfrev_b32_e32 v7, 60
	v_lshlrev_b32_e32 v0, 20, v0
	v_and_b32_e32 v5, 0x80000000, v5
	v_lshl_add_u32 v6, v6, 23, v7
	v_or3_b32 v0, v5, v6, v0
.LBB6_2392:                             ;   in Loop: Header=BB6_136 Depth=3
	s_or_b64 exec, exec, s[30:31]
.LBB6_2393:                             ;   in Loop: Header=BB6_136 Depth=3
	s_or_b64 exec, exec, s[94:95]
.LBB6_2394:                             ;   in Loop: Header=BB6_136 Depth=3
	s_or_b64 exec, exec, s[26:27]
	v_mul_f32_e32 v5, v18, v0
	v_and_b32_e32 v6, 0x7f800000, v5
	v_mov_b32_e32 v7, v51
	v_cmp_ne_u64_e32 vcc, s[76:77], v[6:7]
                                        ; implicit-def: $vgpr37
	s_and_saveexec_b64 s[26:27], vcc
	s_xor_b64 s[94:95], exec, s[26:27]
	s_cbranch_execz .LBB6_2408
; %bb.2395:                             ;   in Loop: Header=BB6_136 Depth=3
	v_and_b32_e32 v6, 0x7fffffff, v5
	v_mov_b32_e32 v7, v51
	v_cmp_gt_u64_e32 vcc, s[78:79], v[6:7]
	v_and_b32_sdwa v0, v5, s96 dst_sel:DWORD dst_unused:UNUSED_PAD src0_sel:BYTE_3 src1_sel:DWORD
                                        ; implicit-def: $vgpr37
	s_and_saveexec_b64 s[26:27], vcc
	s_xor_b64 s[30:31], exec, s[26:27]
	s_cbranch_execz .LBB6_2405
; %bb.2396:                             ;   in Loop: Header=BB6_136 Depth=3
	v_mov_b32_e32 v37, 0
	v_cmp_ne_u32_e32 vcc, 0, v5
	s_and_saveexec_b64 s[34:35], vcc
	s_cbranch_execz .LBB6_2404
; %bb.2397:                             ;   in Loop: Header=BB6_136 Depth=3
	v_and_b32_e32 v7, 0x7fffff, v5
	v_bfe_u32 v5, v5, 23, 8
	v_cmp_gt_u32_e64 s[26:27], s97, v5
	v_sub_u32_e32 v6, 0x79, v5
	v_cmp_eq_u32_e32 vcc, 0, v5
	v_cndmask_b32_e64 v6, 0, v6, s[26:27]
	v_mov_b32_e32 v15, 0x78
	v_or_b32_e32 v14, 0x800000, v7
	v_cndmask_b32_e32 v6, v6, v15, vcc
	v_cndmask_b32_e32 v14, v14, v7, vcc
	v_add_u32_e32 v7, 20, v6
	v_lshlrev_b64 v[24:25], v7, -1
	v_mov_b32_e32 v15, v51
	v_add_u32_e32 v7, 19, v6
	v_bfi_b32 v24, v24, 0, v14
	v_lshlrev_b64 v[37:38], v7, 1
	v_lshrrev_b64 v[14:15], v6, v[14:15]
	v_bfi_b32 v25, v25, 0, 0
	v_cmp_eq_u64_e64 s[26:27], v[24:25], v[37:38]
	v_mov_b32_e32 v16, v15
	v_mov_b32_e32 v15, v14
	s_and_saveexec_b64 s[36:37], s[26:27]
; %bb.2398:                             ;   in Loop: Header=BB6_136 Depth=3
	v_bfe_u32 v7, v14, 20, 1
	v_add_co_u32_e64 v7, s[26:27], v14, v7
	v_add_co_u32_e64 v15, s[26:27], -1, v7
; %bb.2399:                             ;   in Loop: Header=BB6_136 Depth=3
	s_or_b64 exec, exec, s[36:37]
	v_add_u32_e32 v5, 0xffffff81, v5
	v_mov_b32_e32 v7, 0xffffff82
	v_cndmask_b32_e32 v5, v5, v7, vcc
	v_lshrrev_b32_e32 v7, 23, v14
	v_add3_u32 v7, v6, v5, v7
	v_add_u32_e32 v6, 6, v7
	v_and_b32_e32 v5, 0xfffff, v15
	v_add_u32_e32 v14, v5, v14
	v_mov_b32_e32 v15, v51
	v_cmp_ne_u32_e32 vcc, 0, v6
                                        ; implicit-def: $vgpr5
	s_and_saveexec_b64 s[26:27], vcc
	s_xor_b64 s[26:27], exec, s[26:27]
; %bb.2400:                             ;   in Loop: Header=BB6_136 Depth=3
	v_cmp_lt_u64_e32 vcc, s[88:89], v[14:15]
	v_add_u32_e32 v5, 7, v7
	v_cndmask_b32_e32 v5, v6, v5, vcc
	v_cndmask_b32_e64 v6, 0, 1, vcc
	v_lshrrev_b64 v[14:15], v6, v[14:15]
; %bb.2401:                             ;   in Loop: Header=BB6_136 Depth=3
	s_andn2_saveexec_b64 s[26:27], s[26:27]
; %bb.2402:                             ;   in Loop: Header=BB6_136 Depth=3
	v_bfe_u32 v5, v14, 23, 1
; %bb.2403:                             ;   in Loop: Header=BB6_136 Depth=3
	s_or_b64 exec, exec, s[26:27]
	v_lshrrev_b64 v[6:7], 20, v[14:15]
	v_cmp_gt_i32_e32 vcc, 16, v5
	v_cndmask_b32_e32 v7, 0, v7, vcc
	v_cndmask_b32_e32 v6, 7, v6, vcc
	v_cmp_eq_u32_e32 vcc, 0, v5
	v_min_i32_e32 v5, 15, v5
	v_cmp_eq_u64_e64 s[26:27], 0, v[6:7]
	v_lshlrev_b32_e32 v5, 3, v5
	v_and_b32_e32 v5, 0xf8, v5
	v_and_or_b32 v5, v6, 7, v5
	s_and_b64 s[26:27], vcc, s[26:27]
	v_cndmask_b32_e64 v5, v5, 0, s[26:27]
	v_or_b32_e32 v37, v5, v0
.LBB6_2404:                             ;   in Loop: Header=BB6_136 Depth=3
	s_or_b64 exec, exec, s[34:35]
                                        ; implicit-def: $vgpr0
.LBB6_2405:                             ;   in Loop: Header=BB6_136 Depth=3
	s_andn2_saveexec_b64 s[26:27], s[30:31]
; %bb.2406:                             ;   in Loop: Header=BB6_136 Depth=3
	v_or_b32_e32 v37, 0x7e, v0
; %bb.2407:                             ;   in Loop: Header=BB6_136 Depth=3
	s_or_b64 exec, exec, s[26:27]
                                        ; implicit-def: $vgpr5
.LBB6_2408:                             ;   in Loop: Header=BB6_136 Depth=3
	s_andn2_saveexec_b64 s[26:27], s[94:95]
; %bb.2409:                             ;   in Loop: Header=BB6_136 Depth=3
	v_or_b32_sdwa v37, v5, s86 dst_sel:DWORD dst_unused:UNUSED_PAD src0_sel:BYTE_3 src1_sel:DWORD
; %bb.2410:                             ;   in Loop: Header=BB6_136 Depth=3
	s_or_b64 exec, exec, s[26:27]
	v_cmp_lt_u64_e32 vcc, s[56:57], v[8:9]
	v_mov_b32_e32 v0, 0
	s_and_saveexec_b64 s[26:27], vcc
	s_cbranch_execz .LBB6_2416
; %bb.2411:                             ;   in Loop: Header=BB6_136 Depth=3
	v_lshrrev_b32_e32 v8, 24, v9
	v_cmp_ne_u32_e32 vcc, s96, v8
	v_bfrev_b32_e32 v0, 1
	s_and_saveexec_b64 s[94:95], vcc
	s_cbranch_execz .LBB6_2415
; %bb.2412:                             ;   in Loop: Header=BB6_136 Depth=3
	v_bfe_u32 v5, v9, 24, 7
	v_cmp_ne_u32_e32 vcc, s86, v5
	v_mov_b32_e32 v0, 0x7f800001
	s_and_saveexec_b64 s[30:31], vcc
	s_cbranch_execz .LBB6_2414
; %bb.2413:                             ;   in Loop: Header=BB6_136 Depth=3
	v_and_b32_e32 v0, 7, v8
	v_lshrrev_b32_e32 v7, 3, v5
	v_cmp_gt_u32_e32 vcc, 8, v5
	v_ffbh_u32_e32 v5, v0
	v_min_u32_e32 v9, 32, v5
	v_subrev_u32_e32 v5, 28, v9
	v_lshlrev_b64 v[5:6], v5, v[8:9]
	v_sub_u32_e32 v6, 29, v9
	v_and_b32_e32 v5, 7, v5
	v_cndmask_b32_e32 v6, v7, v6, vcc
	v_cndmask_b32_e32 v0, v0, v5, vcc
	v_lshlrev_b32_e32 v5, 24, v8
	v_bfrev_b32_e32 v7, 60
	v_lshlrev_b32_e32 v0, 20, v0
	v_and_b32_e32 v5, 0x80000000, v5
	v_lshl_add_u32 v6, v6, 23, v7
	v_or3_b32 v0, v5, v6, v0
.LBB6_2414:                             ;   in Loop: Header=BB6_136 Depth=3
	s_or_b64 exec, exec, s[30:31]
.LBB6_2415:                             ;   in Loop: Header=BB6_136 Depth=3
	s_or_b64 exec, exec, s[94:95]
.LBB6_2416:                             ;   in Loop: Header=BB6_136 Depth=3
	s_or_b64 exec, exec, s[26:27]
	v_mul_f32_e32 v5, v18, v0
	v_and_b32_e32 v6, 0x7f800000, v5
	v_mov_b32_e32 v7, v51
	v_cmp_ne_u64_e32 vcc, s[76:77], v[6:7]
                                        ; implicit-def: $vgpr38
	s_and_saveexec_b64 s[26:27], vcc
	s_xor_b64 s[94:95], exec, s[26:27]
	s_cbranch_execz .LBB6_2430
; %bb.2417:                             ;   in Loop: Header=BB6_136 Depth=3
	v_and_b32_e32 v6, 0x7fffffff, v5
	v_mov_b32_e32 v7, v51
	v_cmp_gt_u64_e32 vcc, s[78:79], v[6:7]
	v_and_b32_sdwa v0, v5, s96 dst_sel:DWORD dst_unused:UNUSED_PAD src0_sel:BYTE_3 src1_sel:DWORD
                                        ; implicit-def: $vgpr38
	s_and_saveexec_b64 s[26:27], vcc
	s_xor_b64 s[30:31], exec, s[26:27]
	s_cbranch_execz .LBB6_2427
; %bb.2418:                             ;   in Loop: Header=BB6_136 Depth=3
	v_mov_b32_e32 v38, 0
	v_cmp_ne_u32_e32 vcc, 0, v5
	s_and_saveexec_b64 s[34:35], vcc
	s_cbranch_execz .LBB6_2426
; %bb.2419:                             ;   in Loop: Header=BB6_136 Depth=3
	v_and_b32_e32 v7, 0x7fffff, v5
	v_bfe_u32 v5, v5, 23, 8
	v_cmp_gt_u32_e64 s[26:27], s97, v5
	v_sub_u32_e32 v6, 0x79, v5
	v_cmp_eq_u32_e32 vcc, 0, v5
	v_cndmask_b32_e64 v6, 0, v6, s[26:27]
	v_mov_b32_e32 v9, 0x78
	v_cndmask_b32_e32 v6, v6, v9, vcc
	v_or_b32_e32 v8, 0x800000, v7
	v_add_u32_e32 v9, 20, v6
	v_cndmask_b32_e32 v7, v8, v7, vcc
	v_mov_b32_e32 v8, v51
	v_lshlrev_b64 v[14:15], v9, -1
	v_add_u32_e32 v9, 19, v6
	v_lshlrev_b64 v[24:25], v9, 1
	v_lshrrev_b64 v[8:9], v6, v[7:8]
	v_bfi_b32 v15, v15, 0, 0
	v_bfi_b32 v14, v14, 0, v7
	v_cmp_eq_u64_e64 s[26:27], v[14:15], v[24:25]
	v_mov_b32_e32 v15, v9
	v_mov_b32_e32 v14, v8
	s_and_saveexec_b64 s[36:37], s[26:27]
; %bb.2420:                             ;   in Loop: Header=BB6_136 Depth=3
	v_bfe_u32 v7, v8, 20, 1
	v_add_co_u32_e64 v7, s[26:27], v8, v7
	v_add_co_u32_e64 v14, s[26:27], -1, v7
; %bb.2421:                             ;   in Loop: Header=BB6_136 Depth=3
	s_or_b64 exec, exec, s[36:37]
	v_add_u32_e32 v5, 0xffffff81, v5
	v_mov_b32_e32 v7, 0xffffff82
	v_cndmask_b32_e32 v5, v5, v7, vcc
	v_lshrrev_b32_e32 v7, 23, v8
	v_add3_u32 v7, v6, v5, v7
	v_add_u32_e32 v6, 6, v7
	v_and_b32_e32 v5, 0xfffff, v14
	v_add_u32_e32 v8, v5, v8
	v_mov_b32_e32 v9, v51
	v_cmp_ne_u32_e32 vcc, 0, v6
                                        ; implicit-def: $vgpr5
	s_and_saveexec_b64 s[26:27], vcc
	s_xor_b64 s[26:27], exec, s[26:27]
; %bb.2422:                             ;   in Loop: Header=BB6_136 Depth=3
	v_cmp_lt_u64_e32 vcc, s[88:89], v[8:9]
	v_add_u32_e32 v5, 7, v7
	v_cndmask_b32_e32 v5, v6, v5, vcc
	v_cndmask_b32_e64 v6, 0, 1, vcc
	v_lshrrev_b64 v[8:9], v6, v[8:9]
; %bb.2423:                             ;   in Loop: Header=BB6_136 Depth=3
	s_andn2_saveexec_b64 s[26:27], s[26:27]
; %bb.2424:                             ;   in Loop: Header=BB6_136 Depth=3
	v_bfe_u32 v5, v8, 23, 1
; %bb.2425:                             ;   in Loop: Header=BB6_136 Depth=3
	s_or_b64 exec, exec, s[26:27]
	v_lshrrev_b64 v[6:7], 20, v[8:9]
	v_cmp_gt_i32_e32 vcc, 16, v5
	v_cndmask_b32_e32 v7, 0, v7, vcc
	v_cndmask_b32_e32 v6, 7, v6, vcc
	v_cmp_eq_u32_e32 vcc, 0, v5
	v_min_i32_e32 v5, 15, v5
	v_cmp_eq_u64_e64 s[26:27], 0, v[6:7]
	v_lshlrev_b32_e32 v5, 3, v5
	v_and_b32_e32 v5, 0xf8, v5
	v_and_or_b32 v5, v6, 7, v5
	s_and_b64 s[26:27], vcc, s[26:27]
	v_cndmask_b32_e64 v5, v5, 0, s[26:27]
	v_or_b32_e32 v38, v5, v0
.LBB6_2426:                             ;   in Loop: Header=BB6_136 Depth=3
	s_or_b64 exec, exec, s[34:35]
                                        ; implicit-def: $vgpr0
.LBB6_2427:                             ;   in Loop: Header=BB6_136 Depth=3
	s_andn2_saveexec_b64 s[26:27], s[30:31]
; %bb.2428:                             ;   in Loop: Header=BB6_136 Depth=3
	v_or_b32_e32 v38, 0x7e, v0
; %bb.2429:                             ;   in Loop: Header=BB6_136 Depth=3
	s_or_b64 exec, exec, s[26:27]
                                        ; implicit-def: $vgpr5
.LBB6_2430:                             ;   in Loop: Header=BB6_136 Depth=3
	s_andn2_saveexec_b64 s[26:27], s[94:95]
; %bb.2431:                             ;   in Loop: Header=BB6_136 Depth=3
	v_or_b32_sdwa v38, v5, s86 dst_sel:DWORD dst_unused:UNUSED_PAD src0_sel:BYTE_3 src1_sel:DWORD
; %bb.2432:                             ;   in Loop: Header=BB6_136 Depth=3
	s_or_b64 exec, exec, s[26:27]
	v_cmp_ne_u16_sdwa s[94:95], v10, v51 src0_sel:BYTE_0 src1_sel:DWORD
	v_mov_b32_e32 v0, 0
	s_and_saveexec_b64 s[26:27], s[94:95]
	s_cbranch_execz .LBB6_2438
; %bb.2433:                             ;   in Loop: Header=BB6_136 Depth=3
	v_cmp_ne_u16_sdwa vcc, v10, s96 src0_sel:BYTE_0 src1_sel:DWORD
	v_bfrev_b32_e32 v0, 1
	s_and_saveexec_b64 s[94:95], vcc
	s_cbranch_execz .LBB6_2437
; %bb.2434:                             ;   in Loop: Header=BB6_136 Depth=3
	v_and_b32_e32 v5, 0x7f, v10
	v_cmp_ne_u32_e32 vcc, s86, v5
	v_mov_b32_e32 v0, 0x7f800001
	s_and_saveexec_b64 s[30:31], vcc
	s_cbranch_execz .LBB6_2436
; %bb.2435:                             ;   in Loop: Header=BB6_136 Depth=3
	v_and_b32_e32 v0, 7, v10
	v_ffbh_u32_e32 v0, v0
	v_min_u32_e32 v0, 32, v0
	v_lshrrev_b32_e32 v6, 3, v5
	v_cmp_gt_u32_e32 vcc, 8, v5
	v_subrev_u32_e32 v5, 28, v0
	v_sub_u32_e32 v0, 29, v0
	v_cndmask_b32_e32 v5, 0, v5, vcc
	v_cndmask_b32_e32 v0, v6, v0, vcc
	v_lshlrev_b64 v[5:6], v5, v[10:11]
	v_lshlrev_b32_e32 v6, 24, v10
	v_lshlrev_b32_e32 v5, 20, v5
	v_bfrev_b32_e32 v7, 60
	v_and_b32_e32 v5, 0x700000, v5
	v_and_b32_e32 v6, 0x80000000, v6
	v_lshl_add_u32 v0, v0, 23, v7
	v_or3_b32 v0, v6, v0, v5
.LBB6_2436:                             ;   in Loop: Header=BB6_136 Depth=3
	s_or_b64 exec, exec, s[30:31]
.LBB6_2437:                             ;   in Loop: Header=BB6_136 Depth=3
	s_or_b64 exec, exec, s[94:95]
.LBB6_2438:                             ;   in Loop: Header=BB6_136 Depth=3
	s_or_b64 exec, exec, s[26:27]
	v_mul_f32_e32 v5, v18, v0
	v_and_b32_e32 v6, 0x7f800000, v5
	v_mov_b32_e32 v7, v51
	v_cmp_ne_u64_e32 vcc, s[76:77], v[6:7]
                                        ; implicit-def: $vgpr39
	s_and_saveexec_b64 s[26:27], vcc
	s_xor_b64 s[94:95], exec, s[26:27]
	s_cbranch_execz .LBB6_2452
; %bb.2439:                             ;   in Loop: Header=BB6_136 Depth=3
	v_and_b32_e32 v6, 0x7fffffff, v5
	v_mov_b32_e32 v7, v51
	v_cmp_gt_u64_e32 vcc, s[78:79], v[6:7]
	v_and_b32_sdwa v0, v5, s96 dst_sel:DWORD dst_unused:UNUSED_PAD src0_sel:BYTE_3 src1_sel:DWORD
                                        ; implicit-def: $vgpr39
	s_and_saveexec_b64 s[26:27], vcc
	s_xor_b64 s[30:31], exec, s[26:27]
	s_cbranch_execz .LBB6_2449
; %bb.2440:                             ;   in Loop: Header=BB6_136 Depth=3
	v_mov_b32_e32 v39, 0
	v_cmp_ne_u32_e32 vcc, 0, v5
	s_and_saveexec_b64 s[34:35], vcc
	s_cbranch_execz .LBB6_2448
; %bb.2441:                             ;   in Loop: Header=BB6_136 Depth=3
	v_and_b32_e32 v7, 0x7fffff, v5
	v_bfe_u32 v5, v5, 23, 8
	v_cmp_gt_u32_e64 s[26:27], s97, v5
	v_sub_u32_e32 v6, 0x79, v5
	v_cmp_eq_u32_e32 vcc, 0, v5
	v_cndmask_b32_e64 v6, 0, v6, s[26:27]
	v_mov_b32_e32 v9, 0x78
	v_cndmask_b32_e32 v6, v6, v9, vcc
	v_or_b32_e32 v8, 0x800000, v7
	v_add_u32_e32 v9, 20, v6
	v_cndmask_b32_e32 v7, v8, v7, vcc
	v_mov_b32_e32 v8, v51
	v_lshlrev_b64 v[14:15], v9, -1
	v_add_u32_e32 v9, 19, v6
	v_lshlrev_b64 v[24:25], v9, 1
	v_lshrrev_b64 v[8:9], v6, v[7:8]
	v_bfi_b32 v15, v15, 0, 0
	v_bfi_b32 v14, v14, 0, v7
	v_cmp_eq_u64_e64 s[26:27], v[14:15], v[24:25]
	v_mov_b32_e32 v15, v9
	v_mov_b32_e32 v14, v8
	s_and_saveexec_b64 s[36:37], s[26:27]
; %bb.2442:                             ;   in Loop: Header=BB6_136 Depth=3
	v_bfe_u32 v7, v8, 20, 1
	v_add_co_u32_e64 v7, s[26:27], v8, v7
	v_add_co_u32_e64 v14, s[26:27], -1, v7
; %bb.2443:                             ;   in Loop: Header=BB6_136 Depth=3
	s_or_b64 exec, exec, s[36:37]
	v_add_u32_e32 v5, 0xffffff81, v5
	v_mov_b32_e32 v7, 0xffffff82
	v_cndmask_b32_e32 v5, v5, v7, vcc
	v_lshrrev_b32_e32 v7, 23, v8
	v_add3_u32 v7, v6, v5, v7
	v_add_u32_e32 v6, 6, v7
	v_and_b32_e32 v5, 0xfffff, v14
	v_add_u32_e32 v8, v5, v8
	v_mov_b32_e32 v9, v51
	v_cmp_ne_u32_e32 vcc, 0, v6
                                        ; implicit-def: $vgpr5
	s_and_saveexec_b64 s[26:27], vcc
	s_xor_b64 s[26:27], exec, s[26:27]
; %bb.2444:                             ;   in Loop: Header=BB6_136 Depth=3
	v_cmp_lt_u64_e32 vcc, s[88:89], v[8:9]
	v_add_u32_e32 v5, 7, v7
	v_cndmask_b32_e32 v5, v6, v5, vcc
	v_cndmask_b32_e64 v6, 0, 1, vcc
	v_lshrrev_b64 v[8:9], v6, v[8:9]
; %bb.2445:                             ;   in Loop: Header=BB6_136 Depth=3
	s_andn2_saveexec_b64 s[26:27], s[26:27]
; %bb.2446:                             ;   in Loop: Header=BB6_136 Depth=3
	v_bfe_u32 v5, v8, 23, 1
; %bb.2447:                             ;   in Loop: Header=BB6_136 Depth=3
	s_or_b64 exec, exec, s[26:27]
	v_lshrrev_b64 v[6:7], 20, v[8:9]
	v_cmp_gt_i32_e32 vcc, 16, v5
	v_cndmask_b32_e32 v7, 0, v7, vcc
	v_cndmask_b32_e32 v6, 7, v6, vcc
	v_cmp_eq_u32_e32 vcc, 0, v5
	v_min_i32_e32 v5, 15, v5
	v_cmp_eq_u64_e64 s[26:27], 0, v[6:7]
	v_lshlrev_b32_e32 v5, 3, v5
	v_and_b32_e32 v5, 0xf8, v5
	v_and_or_b32 v5, v6, 7, v5
	s_and_b64 s[26:27], vcc, s[26:27]
	v_cndmask_b32_e64 v5, v5, 0, s[26:27]
	v_or_b32_e32 v39, v5, v0
.LBB6_2448:                             ;   in Loop: Header=BB6_136 Depth=3
	s_or_b64 exec, exec, s[34:35]
                                        ; implicit-def: $vgpr0
.LBB6_2449:                             ;   in Loop: Header=BB6_136 Depth=3
	s_andn2_saveexec_b64 s[26:27], s[30:31]
; %bb.2450:                             ;   in Loop: Header=BB6_136 Depth=3
	v_or_b32_e32 v39, 0x7e, v0
; %bb.2451:                             ;   in Loop: Header=BB6_136 Depth=3
	s_or_b64 exec, exec, s[26:27]
                                        ; implicit-def: $vgpr5
.LBB6_2452:                             ;   in Loop: Header=BB6_136 Depth=3
	s_andn2_saveexec_b64 s[26:27], s[94:95]
; %bb.2453:                             ;   in Loop: Header=BB6_136 Depth=3
	v_or_b32_sdwa v39, v5, s86 dst_sel:DWORD dst_unused:UNUSED_PAD src0_sel:BYTE_3 src1_sel:DWORD
; %bb.2454:                             ;   in Loop: Header=BB6_136 Depth=3
	s_or_b64 exec, exec, s[26:27]
	v_lshrrev_b16_e32 v8, 8, v10
	v_cmp_ne_u16_e32 vcc, 0, v8
	v_mov_b32_e32 v0, 0
	s_and_saveexec_b64 s[26:27], vcc
	s_cbranch_execz .LBB6_2460
; %bb.2455:                             ;   in Loop: Header=BB6_136 Depth=3
	v_cmp_ne_u16_e32 vcc, s96, v8
	v_bfrev_b32_e32 v0, 1
	s_and_saveexec_b64 s[94:95], vcc
	s_cbranch_execz .LBB6_2459
; %bb.2456:                             ;   in Loop: Header=BB6_136 Depth=3
	v_and_b32_e32 v5, 0x7f, v8
	v_cmp_ne_u32_e32 vcc, s86, v5
	v_mov_b32_e32 v0, 0x7f800001
	s_and_saveexec_b64 s[30:31], vcc
	s_cbranch_execz .LBB6_2458
; %bb.2457:                             ;   in Loop: Header=BB6_136 Depth=3
	v_and_b32_e32 v0, 7, v8
	v_lshrrev_b32_e32 v7, 3, v5
	v_cmp_gt_u32_e32 vcc, 8, v5
	v_ffbh_u32_e32 v5, v0
	v_min_u32_e32 v9, 32, v5
	v_subrev_u32_e32 v5, 28, v9
	v_lshlrev_b64 v[5:6], v5, v[8:9]
	v_sub_u32_e32 v6, 29, v9
	v_and_b32_e32 v5, 7, v5
	v_cndmask_b32_e32 v6, v7, v6, vcc
	v_cndmask_b32_e32 v0, v0, v5, vcc
	v_lshlrev_b32_e32 v5, 16, v10
	v_bfrev_b32_e32 v7, 60
	v_lshlrev_b32_e32 v0, 20, v0
	v_and_b32_e32 v5, 0x80000000, v5
	v_lshl_add_u32 v6, v6, 23, v7
	v_or3_b32 v0, v5, v6, v0
.LBB6_2458:                             ;   in Loop: Header=BB6_136 Depth=3
	s_or_b64 exec, exec, s[30:31]
.LBB6_2459:                             ;   in Loop: Header=BB6_136 Depth=3
	s_or_b64 exec, exec, s[94:95]
.LBB6_2460:                             ;   in Loop: Header=BB6_136 Depth=3
	s_or_b64 exec, exec, s[26:27]
	v_mul_f32_e32 v5, v18, v0
	v_and_b32_e32 v6, 0x7f800000, v5
	v_mov_b32_e32 v7, v51
	v_cmp_ne_u64_e32 vcc, s[76:77], v[6:7]
                                        ; implicit-def: $vgpr19
	s_and_saveexec_b64 s[26:27], vcc
	s_xor_b64 s[94:95], exec, s[26:27]
	s_cbranch_execz .LBB6_2474
; %bb.2461:                             ;   in Loop: Header=BB6_136 Depth=3
	v_and_b32_e32 v6, 0x7fffffff, v5
	v_mov_b32_e32 v7, v51
	v_cmp_gt_u64_e32 vcc, s[78:79], v[6:7]
	v_and_b32_sdwa v0, v5, s96 dst_sel:DWORD dst_unused:UNUSED_PAD src0_sel:BYTE_3 src1_sel:DWORD
                                        ; implicit-def: $vgpr19
	s_and_saveexec_b64 s[26:27], vcc
	s_xor_b64 s[30:31], exec, s[26:27]
	s_cbranch_execz .LBB6_2471
; %bb.2462:                             ;   in Loop: Header=BB6_136 Depth=3
	v_mov_b32_e32 v19, 0
	v_cmp_ne_u32_e32 vcc, 0, v5
	s_and_saveexec_b64 s[34:35], vcc
	s_cbranch_execz .LBB6_2470
; %bb.2463:                             ;   in Loop: Header=BB6_136 Depth=3
	v_and_b32_e32 v7, 0x7fffff, v5
	v_bfe_u32 v5, v5, 23, 8
	v_cmp_gt_u32_e64 s[26:27], s97, v5
	v_sub_u32_e32 v6, 0x79, v5
	v_cmp_eq_u32_e32 vcc, 0, v5
	v_cndmask_b32_e64 v6, 0, v6, s[26:27]
	v_mov_b32_e32 v9, 0x78
	v_cndmask_b32_e32 v6, v6, v9, vcc
	v_or_b32_e32 v8, 0x800000, v7
	v_add_u32_e32 v9, 20, v6
	v_cndmask_b32_e32 v7, v8, v7, vcc
	v_mov_b32_e32 v8, v51
	v_lshlrev_b64 v[14:15], v9, -1
	v_add_u32_e32 v9, 19, v6
	v_lshlrev_b64 v[24:25], v9, 1
	v_lshrrev_b64 v[8:9], v6, v[7:8]
	v_bfi_b32 v15, v15, 0, 0
	v_bfi_b32 v14, v14, 0, v7
	v_cmp_eq_u64_e64 s[26:27], v[14:15], v[24:25]
	v_mov_b32_e32 v15, v9
	v_mov_b32_e32 v14, v8
	s_and_saveexec_b64 s[36:37], s[26:27]
; %bb.2464:                             ;   in Loop: Header=BB6_136 Depth=3
	v_bfe_u32 v7, v8, 20, 1
	v_add_co_u32_e64 v7, s[26:27], v8, v7
	v_add_co_u32_e64 v14, s[26:27], -1, v7
; %bb.2465:                             ;   in Loop: Header=BB6_136 Depth=3
	s_or_b64 exec, exec, s[36:37]
	v_add_u32_e32 v5, 0xffffff81, v5
	v_mov_b32_e32 v7, 0xffffff82
	v_cndmask_b32_e32 v5, v5, v7, vcc
	v_lshrrev_b32_e32 v7, 23, v8
	v_add3_u32 v7, v6, v5, v7
	v_add_u32_e32 v6, 6, v7
	v_and_b32_e32 v5, 0xfffff, v14
	v_add_u32_e32 v8, v5, v8
	v_mov_b32_e32 v9, v51
	v_cmp_ne_u32_e32 vcc, 0, v6
                                        ; implicit-def: $vgpr5
	s_and_saveexec_b64 s[26:27], vcc
	s_xor_b64 s[26:27], exec, s[26:27]
; %bb.2466:                             ;   in Loop: Header=BB6_136 Depth=3
	v_cmp_lt_u64_e32 vcc, s[88:89], v[8:9]
	v_add_u32_e32 v5, 7, v7
	v_cndmask_b32_e32 v5, v6, v5, vcc
	v_cndmask_b32_e64 v6, 0, 1, vcc
	v_lshrrev_b64 v[8:9], v6, v[8:9]
; %bb.2467:                             ;   in Loop: Header=BB6_136 Depth=3
	s_andn2_saveexec_b64 s[26:27], s[26:27]
; %bb.2468:                             ;   in Loop: Header=BB6_136 Depth=3
	v_bfe_u32 v5, v8, 23, 1
; %bb.2469:                             ;   in Loop: Header=BB6_136 Depth=3
	s_or_b64 exec, exec, s[26:27]
	v_lshrrev_b64 v[6:7], 20, v[8:9]
	v_cmp_gt_i32_e32 vcc, 16, v5
	v_cndmask_b32_e32 v7, 0, v7, vcc
	v_cndmask_b32_e32 v6, 7, v6, vcc
	v_cmp_eq_u32_e32 vcc, 0, v5
	v_min_i32_e32 v5, 15, v5
	v_cmp_eq_u64_e64 s[26:27], 0, v[6:7]
	v_lshlrev_b32_e32 v5, 3, v5
	v_and_b32_e32 v5, 0xf8, v5
	v_and_or_b32 v5, v6, 7, v5
	s_and_b64 s[26:27], vcc, s[26:27]
	v_cndmask_b32_e64 v5, v5, 0, s[26:27]
	v_or_b32_e32 v19, v5, v0
.LBB6_2470:                             ;   in Loop: Header=BB6_136 Depth=3
	s_or_b64 exec, exec, s[34:35]
                                        ; implicit-def: $vgpr0
.LBB6_2471:                             ;   in Loop: Header=BB6_136 Depth=3
	s_andn2_saveexec_b64 s[26:27], s[30:31]
; %bb.2472:                             ;   in Loop: Header=BB6_136 Depth=3
	v_or_b32_e32 v19, 0x7e, v0
; %bb.2473:                             ;   in Loop: Header=BB6_136 Depth=3
	s_or_b64 exec, exec, s[26:27]
                                        ; implicit-def: $vgpr5
.LBB6_2474:                             ;   in Loop: Header=BB6_136 Depth=3
	s_andn2_saveexec_b64 s[26:27], s[94:95]
; %bb.2475:                             ;   in Loop: Header=BB6_136 Depth=3
	v_or_b32_sdwa v19, v5, s86 dst_sel:DWORD dst_unused:UNUSED_PAD src0_sel:BYTE_3 src1_sel:DWORD
; %bb.2476:                             ;   in Loop: Header=BB6_136 Depth=3
	s_or_b64 exec, exec, s[26:27]
	v_lshrrev_b32_e32 v8, 16, v10
	v_cmp_ne_u16_sdwa s[94:95], v8, v51 src0_sel:BYTE_0 src1_sel:DWORD
	v_mov_b32_e32 v0, 0
	s_and_saveexec_b64 s[26:27], s[94:95]
	s_cbranch_execz .LBB6_2482
; %bb.2477:                             ;   in Loop: Header=BB6_136 Depth=3
	v_cmp_ne_u16_sdwa vcc, v8, s96 src0_sel:BYTE_0 src1_sel:DWORD
	v_bfrev_b32_e32 v0, 1
	s_and_saveexec_b64 s[94:95], vcc
	s_cbranch_execz .LBB6_2481
; %bb.2478:                             ;   in Loop: Header=BB6_136 Depth=3
	v_bfe_u32 v5, v10, 16, 7
	v_cmp_ne_u32_e32 vcc, s86, v5
	v_mov_b32_e32 v0, 0x7f800001
	s_and_saveexec_b64 s[30:31], vcc
	s_cbranch_execz .LBB6_2480
; %bb.2479:                             ;   in Loop: Header=BB6_136 Depth=3
	v_and_b32_e32 v0, 7, v8
	v_lshrrev_b32_e32 v7, 3, v5
	v_cmp_gt_u32_e32 vcc, 8, v5
	v_ffbh_u32_e32 v5, v0
	v_min_u32_e32 v9, 32, v5
	v_subrev_u32_e32 v5, 28, v9
	v_lshlrev_b64 v[5:6], v5, v[8:9]
	v_sub_u32_e32 v6, 29, v9
	v_and_b32_e32 v5, 7, v5
	v_cndmask_b32_e32 v6, v7, v6, vcc
	v_cndmask_b32_e32 v0, v0, v5, vcc
	v_lshlrev_b32_e32 v5, 24, v8
	v_bfrev_b32_e32 v7, 60
	v_lshlrev_b32_e32 v0, 20, v0
	v_and_b32_e32 v5, 0x80000000, v5
	v_lshl_add_u32 v6, v6, 23, v7
	v_or3_b32 v0, v5, v6, v0
.LBB6_2480:                             ;   in Loop: Header=BB6_136 Depth=3
	s_or_b64 exec, exec, s[30:31]
.LBB6_2481:                             ;   in Loop: Header=BB6_136 Depth=3
	s_or_b64 exec, exec, s[94:95]
.LBB6_2482:                             ;   in Loop: Header=BB6_136 Depth=3
	s_or_b64 exec, exec, s[26:27]
	v_mul_f32_e32 v5, v18, v0
	v_and_b32_e32 v6, 0x7f800000, v5
	v_mov_b32_e32 v7, v51
	v_cmp_ne_u64_e32 vcc, s[76:77], v[6:7]
                                        ; implicit-def: $vgpr48
	s_and_saveexec_b64 s[26:27], vcc
	s_xor_b64 s[94:95], exec, s[26:27]
	s_cbranch_execz .LBB6_2496
; %bb.2483:                             ;   in Loop: Header=BB6_136 Depth=3
	v_and_b32_e32 v6, 0x7fffffff, v5
	v_mov_b32_e32 v7, v51
	v_cmp_gt_u64_e32 vcc, s[78:79], v[6:7]
	v_and_b32_sdwa v0, v5, s96 dst_sel:DWORD dst_unused:UNUSED_PAD src0_sel:BYTE_3 src1_sel:DWORD
                                        ; implicit-def: $vgpr48
	s_and_saveexec_b64 s[26:27], vcc
	s_xor_b64 s[30:31], exec, s[26:27]
	s_cbranch_execz .LBB6_2493
; %bb.2484:                             ;   in Loop: Header=BB6_136 Depth=3
	v_mov_b32_e32 v48, 0
	v_cmp_ne_u32_e32 vcc, 0, v5
	s_and_saveexec_b64 s[34:35], vcc
	s_cbranch_execz .LBB6_2492
; %bb.2485:                             ;   in Loop: Header=BB6_136 Depth=3
	v_and_b32_e32 v7, 0x7fffff, v5
	v_bfe_u32 v5, v5, 23, 8
	v_cmp_gt_u32_e64 s[26:27], s97, v5
	v_sub_u32_e32 v6, 0x79, v5
	v_cmp_eq_u32_e32 vcc, 0, v5
	v_cndmask_b32_e64 v6, 0, v6, s[26:27]
	v_mov_b32_e32 v9, 0x78
	v_cndmask_b32_e32 v6, v6, v9, vcc
	v_or_b32_e32 v8, 0x800000, v7
	v_add_u32_e32 v9, 20, v6
	v_cndmask_b32_e32 v7, v8, v7, vcc
	v_mov_b32_e32 v8, v51
	v_lshlrev_b64 v[14:15], v9, -1
	v_add_u32_e32 v9, 19, v6
	v_lshlrev_b64 v[24:25], v9, 1
	v_lshrrev_b64 v[8:9], v6, v[7:8]
	v_bfi_b32 v15, v15, 0, 0
	v_bfi_b32 v14, v14, 0, v7
	v_cmp_eq_u64_e64 s[26:27], v[14:15], v[24:25]
	v_mov_b32_e32 v15, v9
	v_mov_b32_e32 v14, v8
	s_and_saveexec_b64 s[36:37], s[26:27]
; %bb.2486:                             ;   in Loop: Header=BB6_136 Depth=3
	v_bfe_u32 v7, v8, 20, 1
	v_add_co_u32_e64 v7, s[26:27], v8, v7
	v_add_co_u32_e64 v14, s[26:27], -1, v7
; %bb.2487:                             ;   in Loop: Header=BB6_136 Depth=3
	s_or_b64 exec, exec, s[36:37]
	v_add_u32_e32 v5, 0xffffff81, v5
	v_mov_b32_e32 v7, 0xffffff82
	v_cndmask_b32_e32 v5, v5, v7, vcc
	v_lshrrev_b32_e32 v7, 23, v8
	v_add3_u32 v7, v6, v5, v7
	v_add_u32_e32 v6, 6, v7
	v_and_b32_e32 v5, 0xfffff, v14
	v_add_u32_e32 v8, v5, v8
	v_mov_b32_e32 v9, v51
	v_cmp_ne_u32_e32 vcc, 0, v6
                                        ; implicit-def: $vgpr5
	s_and_saveexec_b64 s[26:27], vcc
	s_xor_b64 s[26:27], exec, s[26:27]
; %bb.2488:                             ;   in Loop: Header=BB6_136 Depth=3
	v_cmp_lt_u64_e32 vcc, s[88:89], v[8:9]
	v_add_u32_e32 v5, 7, v7
	v_cndmask_b32_e32 v5, v6, v5, vcc
	v_cndmask_b32_e64 v6, 0, 1, vcc
	v_lshrrev_b64 v[8:9], v6, v[8:9]
; %bb.2489:                             ;   in Loop: Header=BB6_136 Depth=3
	s_andn2_saveexec_b64 s[26:27], s[26:27]
; %bb.2490:                             ;   in Loop: Header=BB6_136 Depth=3
	v_bfe_u32 v5, v8, 23, 1
; %bb.2491:                             ;   in Loop: Header=BB6_136 Depth=3
	s_or_b64 exec, exec, s[26:27]
	v_lshrrev_b64 v[6:7], 20, v[8:9]
	v_cmp_gt_i32_e32 vcc, 16, v5
	v_cndmask_b32_e32 v7, 0, v7, vcc
	v_cndmask_b32_e32 v6, 7, v6, vcc
	v_cmp_eq_u32_e32 vcc, 0, v5
	v_min_i32_e32 v5, 15, v5
	v_cmp_eq_u64_e64 s[26:27], 0, v[6:7]
	v_lshlrev_b32_e32 v5, 3, v5
	v_and_b32_e32 v5, 0xf8, v5
	v_and_or_b32 v5, v6, 7, v5
	s_and_b64 s[26:27], vcc, s[26:27]
	v_cndmask_b32_e64 v5, v5, 0, s[26:27]
	v_or_b32_e32 v48, v5, v0
.LBB6_2492:                             ;   in Loop: Header=BB6_136 Depth=3
	s_or_b64 exec, exec, s[34:35]
                                        ; implicit-def: $vgpr0
.LBB6_2493:                             ;   in Loop: Header=BB6_136 Depth=3
	s_andn2_saveexec_b64 s[26:27], s[30:31]
; %bb.2494:                             ;   in Loop: Header=BB6_136 Depth=3
	v_or_b32_e32 v48, 0x7e, v0
; %bb.2495:                             ;   in Loop: Header=BB6_136 Depth=3
	s_or_b64 exec, exec, s[26:27]
                                        ; implicit-def: $vgpr5
.LBB6_2496:                             ;   in Loop: Header=BB6_136 Depth=3
	s_andn2_saveexec_b64 s[26:27], s[94:95]
; %bb.2497:                             ;   in Loop: Header=BB6_136 Depth=3
	v_or_b32_sdwa v48, v5, s86 dst_sel:DWORD dst_unused:UNUSED_PAD src0_sel:BYTE_3 src1_sel:DWORD
; %bb.2498:                             ;   in Loop: Header=BB6_136 Depth=3
	s_or_b64 exec, exec, s[26:27]
	v_cmp_lt_u32_e32 vcc, s57, v10
	v_mov_b32_e32 v0, 0
	s_and_saveexec_b64 s[26:27], vcc
	s_cbranch_execz .LBB6_2504
; %bb.2499:                             ;   in Loop: Header=BB6_136 Depth=3
	v_lshrrev_b32_e32 v8, 24, v10
	v_cmp_ne_u32_e32 vcc, s96, v8
	v_bfrev_b32_e32 v0, 1
	s_and_saveexec_b64 s[94:95], vcc
	s_cbranch_execz .LBB6_2503
; %bb.2500:                             ;   in Loop: Header=BB6_136 Depth=3
	v_bfe_u32 v5, v10, 24, 7
	v_cmp_ne_u32_e32 vcc, s86, v5
	v_mov_b32_e32 v0, 0x7f800001
	s_and_saveexec_b64 s[30:31], vcc
	s_cbranch_execz .LBB6_2502
; %bb.2501:                             ;   in Loop: Header=BB6_136 Depth=3
	v_and_b32_e32 v0, 7, v8
	v_lshrrev_b32_e32 v7, 3, v5
	v_cmp_gt_u32_e32 vcc, 8, v5
	v_ffbh_u32_e32 v5, v0
	v_min_u32_e32 v9, 32, v5
	v_subrev_u32_e32 v5, 28, v9
	v_lshlrev_b64 v[5:6], v5, v[8:9]
	v_sub_u32_e32 v6, 29, v9
	v_and_b32_e32 v5, 7, v5
	v_cndmask_b32_e32 v6, v7, v6, vcc
	v_cndmask_b32_e32 v0, v0, v5, vcc
	v_lshlrev_b32_e32 v5, 24, v8
	v_bfrev_b32_e32 v7, 60
	v_lshlrev_b32_e32 v0, 20, v0
	v_and_b32_e32 v5, 0x80000000, v5
	v_lshl_add_u32 v6, v6, 23, v7
	v_or3_b32 v0, v5, v6, v0
.LBB6_2502:                             ;   in Loop: Header=BB6_136 Depth=3
	s_or_b64 exec, exec, s[30:31]
.LBB6_2503:                             ;   in Loop: Header=BB6_136 Depth=3
	s_or_b64 exec, exec, s[94:95]
.LBB6_2504:                             ;   in Loop: Header=BB6_136 Depth=3
	s_or_b64 exec, exec, s[26:27]
	v_mul_f32_e32 v5, v18, v0
	v_and_b32_e32 v6, 0x7f800000, v5
	v_mov_b32_e32 v7, v51
	v_cmp_ne_u64_e32 vcc, s[76:77], v[6:7]
                                        ; implicit-def: $vgpr49
	s_and_saveexec_b64 s[26:27], vcc
	s_xor_b64 s[94:95], exec, s[26:27]
	s_cbranch_execz .LBB6_2518
; %bb.2505:                             ;   in Loop: Header=BB6_136 Depth=3
	v_and_b32_e32 v6, 0x7fffffff, v5
	v_mov_b32_e32 v7, v51
	v_cmp_gt_u64_e32 vcc, s[78:79], v[6:7]
	v_and_b32_sdwa v0, v5, s96 dst_sel:DWORD dst_unused:UNUSED_PAD src0_sel:BYTE_3 src1_sel:DWORD
                                        ; implicit-def: $vgpr49
	s_and_saveexec_b64 s[26:27], vcc
	s_xor_b64 s[30:31], exec, s[26:27]
	s_cbranch_execz .LBB6_2515
; %bb.2506:                             ;   in Loop: Header=BB6_136 Depth=3
	v_mov_b32_e32 v49, 0
	v_cmp_ne_u32_e32 vcc, 0, v5
	s_and_saveexec_b64 s[34:35], vcc
	s_cbranch_execz .LBB6_2514
; %bb.2507:                             ;   in Loop: Header=BB6_136 Depth=3
	v_and_b32_e32 v7, 0x7fffff, v5
	v_bfe_u32 v5, v5, 23, 8
	v_cmp_gt_u32_e64 s[26:27], s97, v5
	v_sub_u32_e32 v6, 0x79, v5
	v_cmp_eq_u32_e32 vcc, 0, v5
	v_cndmask_b32_e64 v6, 0, v6, s[26:27]
	v_mov_b32_e32 v9, 0x78
	v_cndmask_b32_e32 v6, v6, v9, vcc
	v_or_b32_e32 v8, 0x800000, v7
	v_add_u32_e32 v9, 20, v6
	v_cndmask_b32_e32 v7, v8, v7, vcc
	v_mov_b32_e32 v8, v51
	v_lshlrev_b64 v[14:15], v9, -1
	v_add_u32_e32 v9, 19, v6
	v_lshlrev_b64 v[24:25], v9, 1
	v_lshrrev_b64 v[8:9], v6, v[7:8]
	v_bfi_b32 v15, v15, 0, 0
	v_bfi_b32 v14, v14, 0, v7
	v_cmp_eq_u64_e64 s[26:27], v[14:15], v[24:25]
	v_mov_b32_e32 v15, v9
	v_mov_b32_e32 v14, v8
	s_and_saveexec_b64 s[36:37], s[26:27]
; %bb.2508:                             ;   in Loop: Header=BB6_136 Depth=3
	v_bfe_u32 v7, v8, 20, 1
	v_add_co_u32_e64 v7, s[26:27], v8, v7
	v_add_co_u32_e64 v14, s[26:27], -1, v7
; %bb.2509:                             ;   in Loop: Header=BB6_136 Depth=3
	s_or_b64 exec, exec, s[36:37]
	v_add_u32_e32 v5, 0xffffff81, v5
	v_mov_b32_e32 v7, 0xffffff82
	v_cndmask_b32_e32 v5, v5, v7, vcc
	v_lshrrev_b32_e32 v7, 23, v8
	v_add3_u32 v7, v6, v5, v7
	v_add_u32_e32 v6, 6, v7
	v_and_b32_e32 v5, 0xfffff, v14
	v_add_u32_e32 v8, v5, v8
	v_mov_b32_e32 v9, v51
	v_cmp_ne_u32_e32 vcc, 0, v6
                                        ; implicit-def: $vgpr5
	s_and_saveexec_b64 s[26:27], vcc
	s_xor_b64 s[26:27], exec, s[26:27]
; %bb.2510:                             ;   in Loop: Header=BB6_136 Depth=3
	v_cmp_lt_u64_e32 vcc, s[88:89], v[8:9]
	v_add_u32_e32 v5, 7, v7
	v_cndmask_b32_e32 v5, v6, v5, vcc
	v_cndmask_b32_e64 v6, 0, 1, vcc
	v_lshrrev_b64 v[8:9], v6, v[8:9]
; %bb.2511:                             ;   in Loop: Header=BB6_136 Depth=3
	s_andn2_saveexec_b64 s[26:27], s[26:27]
; %bb.2512:                             ;   in Loop: Header=BB6_136 Depth=3
	v_bfe_u32 v5, v8, 23, 1
; %bb.2513:                             ;   in Loop: Header=BB6_136 Depth=3
	s_or_b64 exec, exec, s[26:27]
	v_lshrrev_b64 v[6:7], 20, v[8:9]
	v_cmp_gt_i32_e32 vcc, 16, v5
	v_cndmask_b32_e32 v7, 0, v7, vcc
	v_cndmask_b32_e32 v6, 7, v6, vcc
	v_cmp_eq_u32_e32 vcc, 0, v5
	v_min_i32_e32 v5, 15, v5
	v_cmp_eq_u64_e64 s[26:27], 0, v[6:7]
	v_lshlrev_b32_e32 v5, 3, v5
	v_and_b32_e32 v5, 0xf8, v5
	v_and_or_b32 v5, v6, 7, v5
	s_and_b64 s[26:27], vcc, s[26:27]
	v_cndmask_b32_e64 v5, v5, 0, s[26:27]
	v_or_b32_e32 v49, v5, v0
.LBB6_2514:                             ;   in Loop: Header=BB6_136 Depth=3
	s_or_b64 exec, exec, s[34:35]
                                        ; implicit-def: $vgpr0
.LBB6_2515:                             ;   in Loop: Header=BB6_136 Depth=3
	s_andn2_saveexec_b64 s[26:27], s[30:31]
; %bb.2516:                             ;   in Loop: Header=BB6_136 Depth=3
	v_or_b32_e32 v49, 0x7e, v0
; %bb.2517:                             ;   in Loop: Header=BB6_136 Depth=3
	s_or_b64 exec, exec, s[26:27]
                                        ; implicit-def: $vgpr5
.LBB6_2518:                             ;   in Loop: Header=BB6_136 Depth=3
	s_andn2_saveexec_b64 s[26:27], s[94:95]
; %bb.2519:                             ;   in Loop: Header=BB6_136 Depth=3
	v_or_b32_sdwa v49, v5, s86 dst_sel:DWORD dst_unused:UNUSED_PAD src0_sel:BYTE_3 src1_sel:DWORD
; %bb.2520:                             ;   in Loop: Header=BB6_136 Depth=3
	s_or_b64 exec, exec, s[26:27]
	v_mov_b32_e32 v8, v11
	v_mov_b32_e32 v9, v51
	v_cmp_ne_u16_sdwa s[94:95], v11, v51 src0_sel:BYTE_0 src1_sel:DWORD
	v_mov_b32_e32 v0, 0
	s_and_saveexec_b64 s[26:27], s[94:95]
	s_cbranch_execz .LBB6_2526
; %bb.2521:                             ;   in Loop: Header=BB6_136 Depth=3
	v_cmp_ne_u16_sdwa vcc, v11, s96 src0_sel:BYTE_0 src1_sel:DWORD
	v_bfrev_b32_e32 v0, 1
	s_and_saveexec_b64 s[94:95], vcc
	s_cbranch_execz .LBB6_2525
; %bb.2522:                             ;   in Loop: Header=BB6_136 Depth=3
	v_and_b32_e32 v5, 0x7f, v11
	v_cmp_ne_u32_e32 vcc, s86, v5
	v_mov_b32_e32 v0, 0x7f800001
	s_and_saveexec_b64 s[30:31], vcc
	s_cbranch_execz .LBB6_2524
; %bb.2523:                             ;   in Loop: Header=BB6_136 Depth=3
	v_and_b32_e32 v0, 7, v11
	v_ffbh_u32_e32 v0, v0
	v_min_u32_e32 v0, 32, v0
	v_lshrrev_b32_e32 v6, 3, v5
	v_cmp_gt_u32_e32 vcc, 8, v5
	v_subrev_u32_e32 v5, 28, v0
	v_sub_u32_e32 v0, 29, v0
	v_cndmask_b32_e32 v5, 0, v5, vcc
	v_cndmask_b32_e32 v0, v6, v0, vcc
	v_lshlrev_b64 v[5:6], v5, v[8:9]
	v_lshlrev_b32_e32 v6, 24, v8
	v_lshlrev_b32_e32 v5, 20, v5
	v_bfrev_b32_e32 v7, 60
	v_and_b32_e32 v5, 0x700000, v5
	v_and_b32_e32 v6, 0x80000000, v6
	v_lshl_add_u32 v0, v0, 23, v7
	v_or3_b32 v0, v6, v0, v5
.LBB6_2524:                             ;   in Loop: Header=BB6_136 Depth=3
	s_or_b64 exec, exec, s[30:31]
.LBB6_2525:                             ;   in Loop: Header=BB6_136 Depth=3
	s_or_b64 exec, exec, s[94:95]
.LBB6_2526:                             ;   in Loop: Header=BB6_136 Depth=3
	s_or_b64 exec, exec, s[26:27]
	v_mul_f32_e32 v5, v18, v0
	v_and_b32_e32 v6, 0x7f800000, v5
	v_mov_b32_e32 v7, v51
	v_cmp_ne_u64_e32 vcc, s[76:77], v[6:7]
                                        ; implicit-def: $vgpr16
	s_and_saveexec_b64 s[26:27], vcc
	s_xor_b64 s[94:95], exec, s[26:27]
	s_cbranch_execz .LBB6_2540
; %bb.2527:                             ;   in Loop: Header=BB6_136 Depth=3
	v_and_b32_e32 v6, 0x7fffffff, v5
	v_mov_b32_e32 v7, v51
	v_cmp_gt_u64_e32 vcc, s[78:79], v[6:7]
	v_and_b32_sdwa v0, v5, s96 dst_sel:DWORD dst_unused:UNUSED_PAD src0_sel:BYTE_3 src1_sel:DWORD
                                        ; implicit-def: $vgpr16
	s_and_saveexec_b64 s[26:27], vcc
	s_xor_b64 s[30:31], exec, s[26:27]
	s_cbranch_execz .LBB6_2537
; %bb.2528:                             ;   in Loop: Header=BB6_136 Depth=3
	v_mov_b32_e32 v16, 0
	v_cmp_ne_u32_e32 vcc, 0, v5
	s_and_saveexec_b64 s[34:35], vcc
	s_cbranch_execz .LBB6_2536
; %bb.2529:                             ;   in Loop: Header=BB6_136 Depth=3
	v_and_b32_e32 v7, 0x7fffff, v5
	v_bfe_u32 v5, v5, 23, 8
	v_cmp_gt_u32_e64 s[26:27], s97, v5
	v_sub_u32_e32 v6, 0x79, v5
	v_cmp_eq_u32_e32 vcc, 0, v5
	v_cndmask_b32_e64 v6, 0, v6, s[26:27]
	v_mov_b32_e32 v14, 0x78
	v_or_b32_e32 v9, 0x800000, v7
	v_cndmask_b32_e32 v6, v6, v14, vcc
	v_cndmask_b32_e32 v14, v9, v7, vcc
	v_add_u32_e32 v7, 20, v6
	v_lshlrev_b64 v[24:25], v7, -1
	v_mov_b32_e32 v15, v51
	v_add_u32_e32 v7, 19, v6
	v_bfi_b32 v24, v24, 0, v14
	v_lshlrev_b64 v[54:55], v7, 1
	v_lshrrev_b64 v[14:15], v6, v[14:15]
	v_bfi_b32 v25, v25, 0, 0
	v_cmp_eq_u64_e64 s[26:27], v[24:25], v[54:55]
	v_mov_b32_e32 v16, v15
	v_mov_b32_e32 v15, v14
	s_and_saveexec_b64 s[36:37], s[26:27]
; %bb.2530:                             ;   in Loop: Header=BB6_136 Depth=3
	v_bfe_u32 v7, v14, 20, 1
	v_add_co_u32_e64 v7, s[26:27], v14, v7
	v_add_co_u32_e64 v15, s[26:27], -1, v7
; %bb.2531:                             ;   in Loop: Header=BB6_136 Depth=3
	s_or_b64 exec, exec, s[36:37]
	v_add_u32_e32 v5, 0xffffff81, v5
	v_mov_b32_e32 v7, 0xffffff82
	v_cndmask_b32_e32 v5, v5, v7, vcc
	v_lshrrev_b32_e32 v7, 23, v14
	v_add3_u32 v7, v6, v5, v7
	v_add_u32_e32 v6, 6, v7
	v_and_b32_e32 v5, 0xfffff, v15
	v_add_u32_e32 v14, v5, v14
	v_mov_b32_e32 v15, v51
	v_cmp_ne_u32_e32 vcc, 0, v6
                                        ; implicit-def: $vgpr5
	s_and_saveexec_b64 s[26:27], vcc
	s_xor_b64 s[26:27], exec, s[26:27]
; %bb.2532:                             ;   in Loop: Header=BB6_136 Depth=3
	v_cmp_lt_u64_e32 vcc, s[88:89], v[14:15]
	v_add_u32_e32 v5, 7, v7
	v_cndmask_b32_e32 v5, v6, v5, vcc
	v_cndmask_b32_e64 v6, 0, 1, vcc
	v_lshrrev_b64 v[14:15], v6, v[14:15]
; %bb.2533:                             ;   in Loop: Header=BB6_136 Depth=3
	s_andn2_saveexec_b64 s[26:27], s[26:27]
; %bb.2534:                             ;   in Loop: Header=BB6_136 Depth=3
	v_bfe_u32 v5, v14, 23, 1
; %bb.2535:                             ;   in Loop: Header=BB6_136 Depth=3
	s_or_b64 exec, exec, s[26:27]
	v_lshrrev_b64 v[6:7], 20, v[14:15]
	v_cmp_gt_i32_e32 vcc, 16, v5
	v_cndmask_b32_e32 v7, 0, v7, vcc
	v_cndmask_b32_e32 v6, 7, v6, vcc
	v_cmp_eq_u32_e32 vcc, 0, v5
	v_min_i32_e32 v5, 15, v5
	v_cmp_eq_u64_e64 s[26:27], 0, v[6:7]
	v_lshlrev_b32_e32 v5, 3, v5
	v_and_b32_e32 v5, 0xf8, v5
	v_and_or_b32 v5, v6, 7, v5
	s_and_b64 s[26:27], vcc, s[26:27]
	v_cndmask_b32_e64 v5, v5, 0, s[26:27]
	v_or_b32_e32 v16, v5, v0
.LBB6_2536:                             ;   in Loop: Header=BB6_136 Depth=3
	s_or_b64 exec, exec, s[34:35]
                                        ; implicit-def: $vgpr0
.LBB6_2537:                             ;   in Loop: Header=BB6_136 Depth=3
	s_andn2_saveexec_b64 s[26:27], s[30:31]
; %bb.2538:                             ;   in Loop: Header=BB6_136 Depth=3
	v_or_b32_e32 v16, 0x7e, v0
; %bb.2539:                             ;   in Loop: Header=BB6_136 Depth=3
	s_or_b64 exec, exec, s[26:27]
                                        ; implicit-def: $vgpr5
.LBB6_2540:                             ;   in Loop: Header=BB6_136 Depth=3
	s_andn2_saveexec_b64 s[26:27], s[94:95]
; %bb.2541:                             ;   in Loop: Header=BB6_136 Depth=3
	v_or_b32_sdwa v16, v5, s86 dst_sel:DWORD dst_unused:UNUSED_PAD src0_sel:BYTE_3 src1_sel:DWORD
; %bb.2542:                             ;   in Loop: Header=BB6_136 Depth=3
	s_or_b64 exec, exec, s[26:27]
	v_lshrrev_b16_e32 v9, 8, v8
	v_cmp_ne_u16_e32 vcc, 0, v9
	v_mov_b32_e32 v0, 0
	s_and_saveexec_b64 s[26:27], vcc
	s_cbranch_execz .LBB6_2548
; %bb.2543:                             ;   in Loop: Header=BB6_136 Depth=3
	v_cmp_ne_u16_e32 vcc, s96, v9
	v_bfrev_b32_e32 v0, 1
	s_and_saveexec_b64 s[94:95], vcc
	s_cbranch_execz .LBB6_2547
; %bb.2544:                             ;   in Loop: Header=BB6_136 Depth=3
	v_and_b32_e32 v5, 0x7f, v9
	v_cmp_ne_u32_e32 vcc, s86, v5
	v_mov_b32_e32 v0, 0x7f800001
	s_and_saveexec_b64 s[30:31], vcc
	s_cbranch_execz .LBB6_2546
; %bb.2545:                             ;   in Loop: Header=BB6_136 Depth=3
	v_and_b32_e32 v0, 7, v9
	v_lshrrev_b32_e32 v7, 3, v5
	v_cmp_gt_u32_e32 vcc, 8, v5
	v_ffbh_u32_e32 v5, v0
	v_min_u32_e32 v14, 32, v5
	v_subrev_u32_e32 v5, 28, v14
	v_lshlrev_b64 v[5:6], v5, v[9:10]
	v_sub_u32_e32 v6, 29, v14
	v_and_b32_e32 v5, 7, v5
	v_cndmask_b32_e32 v6, v7, v6, vcc
	v_cndmask_b32_e32 v0, v0, v5, vcc
	v_lshlrev_b32_e32 v5, 16, v8
	v_bfrev_b32_e32 v7, 60
	v_lshlrev_b32_e32 v0, 20, v0
	v_and_b32_e32 v5, 0x80000000, v5
	v_lshl_add_u32 v6, v6, 23, v7
	v_or3_b32 v0, v5, v6, v0
.LBB6_2546:                             ;   in Loop: Header=BB6_136 Depth=3
	s_or_b64 exec, exec, s[30:31]
.LBB6_2547:                             ;   in Loop: Header=BB6_136 Depth=3
	s_or_b64 exec, exec, s[94:95]
.LBB6_2548:                             ;   in Loop: Header=BB6_136 Depth=3
	s_or_b64 exec, exec, s[26:27]
	v_mul_f32_e32 v5, v18, v0
	v_and_b32_e32 v6, 0x7f800000, v5
	v_mov_b32_e32 v7, v51
	v_cmp_ne_u64_e32 vcc, s[76:77], v[6:7]
                                        ; implicit-def: $vgpr54
	s_and_saveexec_b64 s[26:27], vcc
	s_xor_b64 s[94:95], exec, s[26:27]
	s_cbranch_execz .LBB6_2562
; %bb.2549:                             ;   in Loop: Header=BB6_136 Depth=3
	v_and_b32_e32 v6, 0x7fffffff, v5
	v_mov_b32_e32 v7, v51
	v_cmp_gt_u64_e32 vcc, s[78:79], v[6:7]
	v_and_b32_sdwa v0, v5, s96 dst_sel:DWORD dst_unused:UNUSED_PAD src0_sel:BYTE_3 src1_sel:DWORD
                                        ; implicit-def: $vgpr54
	s_and_saveexec_b64 s[26:27], vcc
	s_xor_b64 s[30:31], exec, s[26:27]
	s_cbranch_execz .LBB6_2559
; %bb.2550:                             ;   in Loop: Header=BB6_136 Depth=3
	v_mov_b32_e32 v54, 0
	v_cmp_ne_u32_e32 vcc, 0, v5
	s_and_saveexec_b64 s[34:35], vcc
	s_cbranch_execz .LBB6_2558
; %bb.2551:                             ;   in Loop: Header=BB6_136 Depth=3
	v_and_b32_e32 v7, 0x7fffff, v5
	v_bfe_u32 v5, v5, 23, 8
	v_cmp_gt_u32_e64 s[26:27], s97, v5
	v_sub_u32_e32 v6, 0x79, v5
	v_cmp_eq_u32_e32 vcc, 0, v5
	v_cndmask_b32_e64 v6, 0, v6, s[26:27]
	v_mov_b32_e32 v9, 0x78
	v_cndmask_b32_e32 v6, v6, v9, vcc
	v_or_b32_e32 v8, 0x800000, v7
	v_add_u32_e32 v9, 20, v6
	v_cndmask_b32_e32 v7, v8, v7, vcc
	v_mov_b32_e32 v8, v51
	v_lshlrev_b64 v[14:15], v9, -1
	v_add_u32_e32 v9, 19, v6
	v_lshlrev_b64 v[24:25], v9, 1
	v_lshrrev_b64 v[8:9], v6, v[7:8]
	v_bfi_b32 v15, v15, 0, 0
	v_bfi_b32 v14, v14, 0, v7
	v_cmp_eq_u64_e64 s[26:27], v[14:15], v[24:25]
	v_mov_b32_e32 v15, v9
	v_mov_b32_e32 v14, v8
	s_and_saveexec_b64 s[36:37], s[26:27]
; %bb.2552:                             ;   in Loop: Header=BB6_136 Depth=3
	v_bfe_u32 v7, v8, 20, 1
	v_add_co_u32_e64 v7, s[26:27], v8, v7
	v_add_co_u32_e64 v14, s[26:27], -1, v7
; %bb.2553:                             ;   in Loop: Header=BB6_136 Depth=3
	s_or_b64 exec, exec, s[36:37]
	v_add_u32_e32 v5, 0xffffff81, v5
	v_mov_b32_e32 v7, 0xffffff82
	v_cndmask_b32_e32 v5, v5, v7, vcc
	v_lshrrev_b32_e32 v7, 23, v8
	v_add3_u32 v7, v6, v5, v7
	v_add_u32_e32 v6, 6, v7
	v_and_b32_e32 v5, 0xfffff, v14
	v_add_u32_e32 v8, v5, v8
	v_mov_b32_e32 v9, v51
	v_cmp_ne_u32_e32 vcc, 0, v6
                                        ; implicit-def: $vgpr5
	s_and_saveexec_b64 s[26:27], vcc
	s_xor_b64 s[26:27], exec, s[26:27]
; %bb.2554:                             ;   in Loop: Header=BB6_136 Depth=3
	v_cmp_lt_u64_e32 vcc, s[88:89], v[8:9]
	v_add_u32_e32 v5, 7, v7
	v_cndmask_b32_e32 v5, v6, v5, vcc
	v_cndmask_b32_e64 v6, 0, 1, vcc
	v_lshrrev_b64 v[8:9], v6, v[8:9]
; %bb.2555:                             ;   in Loop: Header=BB6_136 Depth=3
	s_andn2_saveexec_b64 s[26:27], s[26:27]
; %bb.2556:                             ;   in Loop: Header=BB6_136 Depth=3
	v_bfe_u32 v5, v8, 23, 1
; %bb.2557:                             ;   in Loop: Header=BB6_136 Depth=3
	s_or_b64 exec, exec, s[26:27]
	v_lshrrev_b64 v[6:7], 20, v[8:9]
	v_cmp_gt_i32_e32 vcc, 16, v5
	v_cndmask_b32_e32 v7, 0, v7, vcc
	v_cndmask_b32_e32 v6, 7, v6, vcc
	v_cmp_eq_u32_e32 vcc, 0, v5
	v_min_i32_e32 v5, 15, v5
	v_cmp_eq_u64_e64 s[26:27], 0, v[6:7]
	v_lshlrev_b32_e32 v5, 3, v5
	v_and_b32_e32 v5, 0xf8, v5
	v_and_or_b32 v5, v6, 7, v5
	s_and_b64 s[26:27], vcc, s[26:27]
	v_cndmask_b32_e64 v5, v5, 0, s[26:27]
	v_or_b32_e32 v54, v5, v0
.LBB6_2558:                             ;   in Loop: Header=BB6_136 Depth=3
	s_or_b64 exec, exec, s[34:35]
                                        ; implicit-def: $vgpr0
.LBB6_2559:                             ;   in Loop: Header=BB6_136 Depth=3
	s_andn2_saveexec_b64 s[26:27], s[30:31]
; %bb.2560:                             ;   in Loop: Header=BB6_136 Depth=3
	v_or_b32_e32 v54, 0x7e, v0
; %bb.2561:                             ;   in Loop: Header=BB6_136 Depth=3
	s_or_b64 exec, exec, s[26:27]
                                        ; implicit-def: $vgpr5
.LBB6_2562:                             ;   in Loop: Header=BB6_136 Depth=3
	s_andn2_saveexec_b64 s[26:27], s[94:95]
; %bb.2563:                             ;   in Loop: Header=BB6_136 Depth=3
	v_or_b32_sdwa v54, v5, s86 dst_sel:DWORD dst_unused:UNUSED_PAD src0_sel:BYTE_3 src1_sel:DWORD
; %bb.2564:                             ;   in Loop: Header=BB6_136 Depth=3
	s_or_b64 exec, exec, s[26:27]
	v_lshrrev_b32_e32 v8, 16, v11
	v_cmp_ne_u16_sdwa s[94:95], v8, v51 src0_sel:BYTE_0 src1_sel:DWORD
	v_mov_b32_e32 v0, 0
	s_and_saveexec_b64 s[26:27], s[94:95]
	s_cbranch_execz .LBB6_2570
; %bb.2565:                             ;   in Loop: Header=BB6_136 Depth=3
	v_cmp_ne_u16_sdwa vcc, v8, s96 src0_sel:BYTE_0 src1_sel:DWORD
	v_bfrev_b32_e32 v0, 1
	s_and_saveexec_b64 s[94:95], vcc
	s_cbranch_execz .LBB6_2569
; %bb.2566:                             ;   in Loop: Header=BB6_136 Depth=3
	v_bfe_u32 v5, v11, 16, 7
	v_cmp_ne_u32_e32 vcc, s86, v5
	v_mov_b32_e32 v0, 0x7f800001
	s_and_saveexec_b64 s[30:31], vcc
	s_cbranch_execz .LBB6_2568
; %bb.2567:                             ;   in Loop: Header=BB6_136 Depth=3
	v_and_b32_e32 v0, 7, v8
	v_lshrrev_b32_e32 v7, 3, v5
	v_cmp_gt_u32_e32 vcc, 8, v5
	v_ffbh_u32_e32 v5, v0
	v_min_u32_e32 v9, 32, v5
	v_subrev_u32_e32 v5, 28, v9
	v_lshlrev_b64 v[5:6], v5, v[8:9]
	v_sub_u32_e32 v6, 29, v9
	v_and_b32_e32 v5, 7, v5
	v_cndmask_b32_e32 v6, v7, v6, vcc
	v_cndmask_b32_e32 v0, v0, v5, vcc
	v_lshlrev_b32_e32 v5, 24, v8
	v_bfrev_b32_e32 v7, 60
	v_lshlrev_b32_e32 v0, 20, v0
	v_and_b32_e32 v5, 0x80000000, v5
	v_lshl_add_u32 v6, v6, 23, v7
	v_or3_b32 v0, v5, v6, v0
.LBB6_2568:                             ;   in Loop: Header=BB6_136 Depth=3
	s_or_b64 exec, exec, s[30:31]
.LBB6_2569:                             ;   in Loop: Header=BB6_136 Depth=3
	s_or_b64 exec, exec, s[94:95]
.LBB6_2570:                             ;   in Loop: Header=BB6_136 Depth=3
	s_or_b64 exec, exec, s[26:27]
	v_mul_f32_e32 v5, v18, v0
	v_and_b32_e32 v6, 0x7f800000, v5
	v_mov_b32_e32 v7, v51
	v_cmp_ne_u64_e32 vcc, s[76:77], v[6:7]
                                        ; implicit-def: $vgpr55
	s_and_saveexec_b64 s[26:27], vcc
	s_xor_b64 s[94:95], exec, s[26:27]
	s_cbranch_execz .LBB6_2584
; %bb.2571:                             ;   in Loop: Header=BB6_136 Depth=3
	v_and_b32_e32 v6, 0x7fffffff, v5
	v_mov_b32_e32 v7, v51
	v_cmp_gt_u64_e32 vcc, s[78:79], v[6:7]
	v_and_b32_sdwa v0, v5, s96 dst_sel:DWORD dst_unused:UNUSED_PAD src0_sel:BYTE_3 src1_sel:DWORD
                                        ; implicit-def: $vgpr55
	s_and_saveexec_b64 s[26:27], vcc
	s_xor_b64 s[30:31], exec, s[26:27]
	s_cbranch_execz .LBB6_2581
; %bb.2572:                             ;   in Loop: Header=BB6_136 Depth=3
	v_mov_b32_e32 v55, 0
	v_cmp_ne_u32_e32 vcc, 0, v5
	s_and_saveexec_b64 s[34:35], vcc
	s_cbranch_execz .LBB6_2580
; %bb.2573:                             ;   in Loop: Header=BB6_136 Depth=3
	v_and_b32_e32 v7, 0x7fffff, v5
	v_bfe_u32 v5, v5, 23, 8
	v_cmp_gt_u32_e64 s[26:27], s97, v5
	v_sub_u32_e32 v6, 0x79, v5
	v_cmp_eq_u32_e32 vcc, 0, v5
	v_cndmask_b32_e64 v6, 0, v6, s[26:27]
	v_mov_b32_e32 v9, 0x78
	v_cndmask_b32_e32 v6, v6, v9, vcc
	v_or_b32_e32 v8, 0x800000, v7
	v_add_u32_e32 v9, 20, v6
	v_cndmask_b32_e32 v7, v8, v7, vcc
	v_mov_b32_e32 v8, v51
	v_lshlrev_b64 v[14:15], v9, -1
	v_add_u32_e32 v9, 19, v6
	v_lshlrev_b64 v[24:25], v9, 1
	v_lshrrev_b64 v[8:9], v6, v[7:8]
	v_bfi_b32 v15, v15, 0, 0
	v_bfi_b32 v14, v14, 0, v7
	v_cmp_eq_u64_e64 s[26:27], v[14:15], v[24:25]
	v_mov_b32_e32 v15, v9
	v_mov_b32_e32 v14, v8
	s_and_saveexec_b64 s[36:37], s[26:27]
; %bb.2574:                             ;   in Loop: Header=BB6_136 Depth=3
	v_bfe_u32 v7, v8, 20, 1
	v_add_co_u32_e64 v7, s[26:27], v8, v7
	v_add_co_u32_e64 v14, s[26:27], -1, v7
; %bb.2575:                             ;   in Loop: Header=BB6_136 Depth=3
	s_or_b64 exec, exec, s[36:37]
	v_add_u32_e32 v5, 0xffffff81, v5
	v_mov_b32_e32 v7, 0xffffff82
	v_cndmask_b32_e32 v5, v5, v7, vcc
	v_lshrrev_b32_e32 v7, 23, v8
	v_add3_u32 v7, v6, v5, v7
	v_add_u32_e32 v6, 6, v7
	v_and_b32_e32 v5, 0xfffff, v14
	v_add_u32_e32 v8, v5, v8
	v_mov_b32_e32 v9, v51
	v_cmp_ne_u32_e32 vcc, 0, v6
                                        ; implicit-def: $vgpr5
	s_and_saveexec_b64 s[26:27], vcc
	s_xor_b64 s[26:27], exec, s[26:27]
; %bb.2576:                             ;   in Loop: Header=BB6_136 Depth=3
	v_cmp_lt_u64_e32 vcc, s[88:89], v[8:9]
	v_add_u32_e32 v5, 7, v7
	v_cndmask_b32_e32 v5, v6, v5, vcc
	v_cndmask_b32_e64 v6, 0, 1, vcc
	v_lshrrev_b64 v[8:9], v6, v[8:9]
; %bb.2577:                             ;   in Loop: Header=BB6_136 Depth=3
	s_andn2_saveexec_b64 s[26:27], s[26:27]
; %bb.2578:                             ;   in Loop: Header=BB6_136 Depth=3
	v_bfe_u32 v5, v8, 23, 1
; %bb.2579:                             ;   in Loop: Header=BB6_136 Depth=3
	s_or_b64 exec, exec, s[26:27]
	v_lshrrev_b64 v[6:7], 20, v[8:9]
	v_cmp_gt_i32_e32 vcc, 16, v5
	v_cndmask_b32_e32 v7, 0, v7, vcc
	v_cndmask_b32_e32 v6, 7, v6, vcc
	v_cmp_eq_u32_e32 vcc, 0, v5
	v_min_i32_e32 v5, 15, v5
	v_cmp_eq_u64_e64 s[26:27], 0, v[6:7]
	v_lshlrev_b32_e32 v5, 3, v5
	v_and_b32_e32 v5, 0xf8, v5
	v_and_or_b32 v5, v6, 7, v5
	s_and_b64 s[26:27], vcc, s[26:27]
	v_cndmask_b32_e64 v5, v5, 0, s[26:27]
	v_or_b32_e32 v55, v5, v0
.LBB6_2580:                             ;   in Loop: Header=BB6_136 Depth=3
	s_or_b64 exec, exec, s[34:35]
                                        ; implicit-def: $vgpr0
.LBB6_2581:                             ;   in Loop: Header=BB6_136 Depth=3
	s_andn2_saveexec_b64 s[26:27], s[30:31]
; %bb.2582:                             ;   in Loop: Header=BB6_136 Depth=3
	v_or_b32_e32 v55, 0x7e, v0
; %bb.2583:                             ;   in Loop: Header=BB6_136 Depth=3
	s_or_b64 exec, exec, s[26:27]
                                        ; implicit-def: $vgpr5
.LBB6_2584:                             ;   in Loop: Header=BB6_136 Depth=3
	s_andn2_saveexec_b64 s[26:27], s[94:95]
; %bb.2585:                             ;   in Loop: Header=BB6_136 Depth=3
	v_or_b32_sdwa v55, v5, s86 dst_sel:DWORD dst_unused:UNUSED_PAD src0_sel:BYTE_3 src1_sel:DWORD
; %bb.2586:                             ;   in Loop: Header=BB6_136 Depth=3
	s_or_b64 exec, exec, s[26:27]
	v_cmp_lt_u64_e32 vcc, s[56:57], v[10:11]
	v_mov_b32_e32 v0, 0
	s_and_saveexec_b64 s[26:27], vcc
	s_cbranch_execz .LBB6_2592
; %bb.2587:                             ;   in Loop: Header=BB6_136 Depth=3
	v_lshrrev_b32_e32 v8, 24, v11
	v_cmp_ne_u32_e32 vcc, s96, v8
	v_bfrev_b32_e32 v0, 1
	s_and_saveexec_b64 s[94:95], vcc
	s_cbranch_execz .LBB6_2591
; %bb.2588:                             ;   in Loop: Header=BB6_136 Depth=3
	v_bfe_u32 v5, v11, 24, 7
	v_cmp_ne_u32_e32 vcc, s86, v5
	v_mov_b32_e32 v0, 0x7f800001
	s_and_saveexec_b64 s[30:31], vcc
	s_cbranch_execz .LBB6_2590
; %bb.2589:                             ;   in Loop: Header=BB6_136 Depth=3
	v_and_b32_e32 v0, 7, v8
	v_lshrrev_b32_e32 v7, 3, v5
	v_cmp_gt_u32_e32 vcc, 8, v5
	v_ffbh_u32_e32 v5, v0
	v_min_u32_e32 v9, 32, v5
	v_subrev_u32_e32 v5, 28, v9
	v_lshlrev_b64 v[5:6], v5, v[8:9]
	v_sub_u32_e32 v6, 29, v9
	v_and_b32_e32 v5, 7, v5
	v_cndmask_b32_e32 v6, v7, v6, vcc
	v_cndmask_b32_e32 v0, v0, v5, vcc
	v_lshlrev_b32_e32 v5, 24, v8
	v_bfrev_b32_e32 v7, 60
	v_lshlrev_b32_e32 v0, 20, v0
	v_and_b32_e32 v5, 0x80000000, v5
	v_lshl_add_u32 v6, v6, 23, v7
	v_or3_b32 v0, v5, v6, v0
.LBB6_2590:                             ;   in Loop: Header=BB6_136 Depth=3
	s_or_b64 exec, exec, s[30:31]
.LBB6_2591:                             ;   in Loop: Header=BB6_136 Depth=3
	s_or_b64 exec, exec, s[94:95]
.LBB6_2592:                             ;   in Loop: Header=BB6_136 Depth=3
	s_or_b64 exec, exec, s[26:27]
	v_mul_f32_e32 v5, v18, v0
	v_and_b32_e32 v6, 0x7f800000, v5
	v_mov_b32_e32 v7, v51
	v_cmp_ne_u64_e32 vcc, s[76:77], v[6:7]
                                        ; implicit-def: $vgpr25
	s_and_saveexec_b64 s[26:27], vcc
	s_xor_b64 s[94:95], exec, s[26:27]
	s_cbranch_execz .LBB6_2606
; %bb.2593:                             ;   in Loop: Header=BB6_136 Depth=3
	v_and_b32_e32 v6, 0x7fffffff, v5
	v_mov_b32_e32 v7, v51
	v_cmp_gt_u64_e32 vcc, s[78:79], v[6:7]
	v_and_b32_sdwa v0, v5, s96 dst_sel:DWORD dst_unused:UNUSED_PAD src0_sel:BYTE_3 src1_sel:DWORD
                                        ; implicit-def: $vgpr25
	s_and_saveexec_b64 s[26:27], vcc
	s_xor_b64 s[30:31], exec, s[26:27]
	s_cbranch_execz .LBB6_2603
; %bb.2594:                             ;   in Loop: Header=BB6_136 Depth=3
	v_mov_b32_e32 v25, 0
	v_cmp_ne_u32_e32 vcc, 0, v5
	s_and_saveexec_b64 s[34:35], vcc
	s_cbranch_execz .LBB6_2602
; %bb.2595:                             ;   in Loop: Header=BB6_136 Depth=3
	v_and_b32_e32 v7, 0x7fffff, v5
	v_bfe_u32 v5, v5, 23, 8
	v_cmp_gt_u32_e64 s[26:27], s97, v5
	v_sub_u32_e32 v6, 0x79, v5
	v_cmp_eq_u32_e32 vcc, 0, v5
	v_cndmask_b32_e64 v6, 0, v6, s[26:27]
	v_mov_b32_e32 v9, 0x78
	v_cndmask_b32_e32 v6, v6, v9, vcc
	v_add_u32_e32 v9, 20, v6
	v_or_b32_e32 v8, 0x800000, v7
	v_lshlrev_b64 v[9:10], v9, -1
	v_add_u32_e32 v11, 19, v6
	v_cndmask_b32_e32 v7, v8, v7, vcc
	v_lshlrev_b64 v[14:15], v11, 1
	v_mov_b32_e32 v8, v51
	v_bfi_b32 v10, v10, 0, 0
	v_bfi_b32 v9, v9, 0, v7
	v_cmp_eq_u64_e64 s[26:27], v[9:10], v[14:15]
	v_lshrrev_b64 v[8:9], v6, v[7:8]
	v_mov_b32_e32 v10, v9
	v_mov_b32_e32 v9, v8
	s_and_saveexec_b64 s[36:37], s[26:27]
; %bb.2596:                             ;   in Loop: Header=BB6_136 Depth=3
	v_bfe_u32 v7, v8, 20, 1
	v_add_co_u32_e64 v7, s[26:27], v8, v7
	v_add_co_u32_e64 v9, s[26:27], -1, v7
; %bb.2597:                             ;   in Loop: Header=BB6_136 Depth=3
	s_or_b64 exec, exec, s[36:37]
	v_add_u32_e32 v5, 0xffffff81, v5
	v_mov_b32_e32 v7, 0xffffff82
	v_cndmask_b32_e32 v5, v5, v7, vcc
	v_lshrrev_b32_e32 v7, 23, v8
	v_add3_u32 v7, v6, v5, v7
	v_add_u32_e32 v6, 6, v7
	v_and_b32_e32 v5, 0xfffff, v9
	v_add_u32_e32 v8, v5, v8
	v_mov_b32_e32 v9, v51
	v_cmp_ne_u32_e32 vcc, 0, v6
                                        ; implicit-def: $vgpr5
	s_and_saveexec_b64 s[26:27], vcc
	s_xor_b64 s[26:27], exec, s[26:27]
; %bb.2598:                             ;   in Loop: Header=BB6_136 Depth=3
	v_cmp_lt_u64_e32 vcc, s[88:89], v[8:9]
	v_add_u32_e32 v5, 7, v7
	v_cndmask_b32_e32 v5, v6, v5, vcc
	v_cndmask_b32_e64 v6, 0, 1, vcc
	v_lshrrev_b64 v[8:9], v6, v[8:9]
; %bb.2599:                             ;   in Loop: Header=BB6_136 Depth=3
	s_andn2_saveexec_b64 s[26:27], s[26:27]
; %bb.2600:                             ;   in Loop: Header=BB6_136 Depth=3
	v_bfe_u32 v5, v8, 23, 1
; %bb.2601:                             ;   in Loop: Header=BB6_136 Depth=3
	s_or_b64 exec, exec, s[26:27]
	v_lshrrev_b64 v[6:7], 20, v[8:9]
	v_cmp_gt_i32_e32 vcc, 16, v5
	v_cndmask_b32_e32 v7, 0, v7, vcc
	v_cndmask_b32_e32 v6, 7, v6, vcc
	v_cmp_eq_u32_e32 vcc, 0, v5
	v_min_i32_e32 v5, 15, v5
	v_cmp_eq_u64_e64 s[26:27], 0, v[6:7]
	v_lshlrev_b32_e32 v5, 3, v5
	v_and_b32_e32 v5, 0xf8, v5
	v_and_or_b32 v5, v6, 7, v5
	s_and_b64 s[26:27], vcc, s[26:27]
	v_cndmask_b32_e64 v5, v5, 0, s[26:27]
	v_or_b32_e32 v25, v5, v0
.LBB6_2602:                             ;   in Loop: Header=BB6_136 Depth=3
	s_or_b64 exec, exec, s[34:35]
                                        ; implicit-def: $vgpr0
.LBB6_2603:                             ;   in Loop: Header=BB6_136 Depth=3
	s_andn2_saveexec_b64 s[26:27], s[30:31]
; %bb.2604:                             ;   in Loop: Header=BB6_136 Depth=3
	v_or_b32_e32 v25, 0x7e, v0
; %bb.2605:                             ;   in Loop: Header=BB6_136 Depth=3
	s_or_b64 exec, exec, s[26:27]
                                        ; implicit-def: $vgpr5
.LBB6_2606:                             ;   in Loop: Header=BB6_136 Depth=3
	s_andn2_saveexec_b64 s[26:27], s[94:95]
; %bb.2607:                             ;   in Loop: Header=BB6_136 Depth=3
	v_or_b32_sdwa v25, v5, s86 dst_sel:DWORD dst_unused:UNUSED_PAD src0_sel:BYTE_3 src1_sel:DWORD
; %bb.2608:                             ;   in Loop: Header=BB6_136 Depth=3
	s_or_b64 exec, exec, s[26:27]
	v_add_co_u32_e32 v5, vcc, 0x1000, v12
	v_addc_co_u32_e32 v6, vcc, 0, v13, vcc
	global_load_dwordx4 v[8:11], v[5:6], off offset:3072 glc slc
	v_mov_b32_e32 v0, 0
	s_waitcnt vmcnt(0)
	v_cmp_ne_u16_sdwa s[94:95], v8, v51 src0_sel:BYTE_0 src1_sel:DWORD
	s_and_saveexec_b64 s[26:27], s[94:95]
	s_cbranch_execz .LBB6_2614
; %bb.2609:                             ;   in Loop: Header=BB6_136 Depth=3
	v_cmp_ne_u16_sdwa vcc, v8, s96 src0_sel:BYTE_0 src1_sel:DWORD
	v_bfrev_b32_e32 v0, 1
	s_and_saveexec_b64 s[94:95], vcc
	s_cbranch_execz .LBB6_2613
; %bb.2610:                             ;   in Loop: Header=BB6_136 Depth=3
	v_and_b32_e32 v5, 0x7f, v8
	v_cmp_ne_u32_e32 vcc, s86, v5
	v_mov_b32_e32 v0, 0x7f800001
	s_and_saveexec_b64 s[30:31], vcc
	s_cbranch_execz .LBB6_2612
; %bb.2611:                             ;   in Loop: Header=BB6_136 Depth=3
	v_and_b32_e32 v0, 7, v8
	v_ffbh_u32_e32 v0, v0
	v_min_u32_e32 v0, 32, v0
	v_lshrrev_b32_e32 v6, 3, v5
	v_cmp_gt_u32_e32 vcc, 8, v5
	v_subrev_u32_e32 v5, 28, v0
	v_sub_u32_e32 v0, 29, v0
	v_cndmask_b32_e32 v5, 0, v5, vcc
	v_cndmask_b32_e32 v0, v6, v0, vcc
	v_lshlrev_b64 v[5:6], v5, v[8:9]
	v_lshlrev_b32_e32 v6, 24, v8
	v_lshlrev_b32_e32 v5, 20, v5
	v_bfrev_b32_e32 v7, 60
	v_and_b32_e32 v5, 0x700000, v5
	v_and_b32_e32 v6, 0x80000000, v6
	v_lshl_add_u32 v0, v0, 23, v7
	v_or3_b32 v0, v6, v0, v5
.LBB6_2612:                             ;   in Loop: Header=BB6_136 Depth=3
	s_or_b64 exec, exec, s[30:31]
.LBB6_2613:                             ;   in Loop: Header=BB6_136 Depth=3
	s_or_b64 exec, exec, s[94:95]
.LBB6_2614:                             ;   in Loop: Header=BB6_136 Depth=3
	s_or_b64 exec, exec, s[26:27]
	v_mul_f32_e32 v5, v18, v0
	v_and_b32_e32 v6, 0x7f800000, v5
	v_mov_b32_e32 v7, v51
	v_cmp_ne_u64_e32 vcc, s[76:77], v[6:7]
                                        ; implicit-def: $vgpr40
	s_and_saveexec_b64 s[26:27], vcc
	s_xor_b64 s[94:95], exec, s[26:27]
	s_cbranch_execz .LBB6_2628
; %bb.2615:                             ;   in Loop: Header=BB6_136 Depth=3
	v_and_b32_e32 v6, 0x7fffffff, v5
	v_mov_b32_e32 v7, v51
	v_cmp_gt_u64_e32 vcc, s[78:79], v[6:7]
	v_and_b32_sdwa v0, v5, s96 dst_sel:DWORD dst_unused:UNUSED_PAD src0_sel:BYTE_3 src1_sel:DWORD
                                        ; implicit-def: $vgpr40
	s_and_saveexec_b64 s[26:27], vcc
	s_xor_b64 s[30:31], exec, s[26:27]
	s_cbranch_execz .LBB6_2625
; %bb.2616:                             ;   in Loop: Header=BB6_136 Depth=3
	v_mov_b32_e32 v40, 0
	v_cmp_ne_u32_e32 vcc, 0, v5
	s_and_saveexec_b64 s[34:35], vcc
	s_cbranch_execz .LBB6_2624
; %bb.2617:                             ;   in Loop: Header=BB6_136 Depth=3
	v_and_b32_e32 v7, 0x7fffff, v5
	v_bfe_u32 v5, v5, 23, 8
	v_cmp_gt_u32_e64 s[26:27], s97, v5
	v_sub_u32_e32 v6, 0x79, v5
	v_cmp_eq_u32_e32 vcc, 0, v5
	v_cndmask_b32_e64 v6, 0, v6, s[26:27]
	v_mov_b32_e32 v13, 0x78
	v_or_b32_e32 v12, 0x800000, v7
	v_cndmask_b32_e32 v6, v6, v13, vcc
	v_cndmask_b32_e32 v12, v12, v7, vcc
	v_add_u32_e32 v7, 20, v6
	v_lshlrev_b64 v[14:15], v7, -1
	v_mov_b32_e32 v13, v51
	v_add_u32_e32 v7, 19, v6
	v_bfi_b32 v14, v14, 0, v12
	v_lshlrev_b64 v[40:41], v7, 1
	v_lshrrev_b64 v[12:13], v6, v[12:13]
	v_bfi_b32 v15, v15, 0, 0
	v_cmp_eq_u64_e64 s[26:27], v[14:15], v[40:41]
	v_mov_b32_e32 v14, v13
	v_mov_b32_e32 v13, v12
	s_and_saveexec_b64 s[36:37], s[26:27]
; %bb.2618:                             ;   in Loop: Header=BB6_136 Depth=3
	v_bfe_u32 v7, v12, 20, 1
	v_add_co_u32_e64 v7, s[26:27], v12, v7
	v_add_co_u32_e64 v13, s[26:27], -1, v7
; %bb.2619:                             ;   in Loop: Header=BB6_136 Depth=3
	s_or_b64 exec, exec, s[36:37]
	v_add_u32_e32 v5, 0xffffff81, v5
	v_mov_b32_e32 v7, 0xffffff82
	v_cndmask_b32_e32 v5, v5, v7, vcc
	v_lshrrev_b32_e32 v7, 23, v12
	v_add3_u32 v7, v6, v5, v7
	v_add_u32_e32 v6, 6, v7
	v_and_b32_e32 v5, 0xfffff, v13
	v_add_u32_e32 v12, v5, v12
	v_mov_b32_e32 v13, v51
	v_cmp_ne_u32_e32 vcc, 0, v6
                                        ; implicit-def: $vgpr5
	s_and_saveexec_b64 s[26:27], vcc
	s_xor_b64 s[26:27], exec, s[26:27]
; %bb.2620:                             ;   in Loop: Header=BB6_136 Depth=3
	v_cmp_lt_u64_e32 vcc, s[88:89], v[12:13]
	v_add_u32_e32 v5, 7, v7
	v_cndmask_b32_e32 v5, v6, v5, vcc
	v_cndmask_b32_e64 v6, 0, 1, vcc
	v_lshrrev_b64 v[12:13], v6, v[12:13]
; %bb.2621:                             ;   in Loop: Header=BB6_136 Depth=3
	s_andn2_saveexec_b64 s[26:27], s[26:27]
; %bb.2622:                             ;   in Loop: Header=BB6_136 Depth=3
	v_bfe_u32 v5, v12, 23, 1
; %bb.2623:                             ;   in Loop: Header=BB6_136 Depth=3
	s_or_b64 exec, exec, s[26:27]
	v_lshrrev_b64 v[6:7], 20, v[12:13]
	v_cmp_gt_i32_e32 vcc, 16, v5
	v_cndmask_b32_e32 v7, 0, v7, vcc
	v_cndmask_b32_e32 v6, 7, v6, vcc
	v_cmp_eq_u32_e32 vcc, 0, v5
	v_min_i32_e32 v5, 15, v5
	v_cmp_eq_u64_e64 s[26:27], 0, v[6:7]
	v_lshlrev_b32_e32 v5, 3, v5
	v_and_b32_e32 v5, 0xf8, v5
	v_and_or_b32 v5, v6, 7, v5
	s_and_b64 s[26:27], vcc, s[26:27]
	v_cndmask_b32_e64 v5, v5, 0, s[26:27]
	v_or_b32_e32 v40, v5, v0
.LBB6_2624:                             ;   in Loop: Header=BB6_136 Depth=3
	s_or_b64 exec, exec, s[34:35]
                                        ; implicit-def: $vgpr0
.LBB6_2625:                             ;   in Loop: Header=BB6_136 Depth=3
	s_andn2_saveexec_b64 s[26:27], s[30:31]
; %bb.2626:                             ;   in Loop: Header=BB6_136 Depth=3
	v_or_b32_e32 v40, 0x7e, v0
; %bb.2627:                             ;   in Loop: Header=BB6_136 Depth=3
	s_or_b64 exec, exec, s[26:27]
                                        ; implicit-def: $vgpr5
.LBB6_2628:                             ;   in Loop: Header=BB6_136 Depth=3
	s_andn2_saveexec_b64 s[26:27], s[94:95]
; %bb.2629:                             ;   in Loop: Header=BB6_136 Depth=3
	v_or_b32_sdwa v40, v5, s86 dst_sel:DWORD dst_unused:UNUSED_PAD src0_sel:BYTE_3 src1_sel:DWORD
; %bb.2630:                             ;   in Loop: Header=BB6_136 Depth=3
	s_or_b64 exec, exec, s[26:27]
	v_lshrrev_b16_e32 v12, 8, v8
	v_cmp_ne_u16_e32 vcc, 0, v12
	v_mov_b32_e32 v0, 0
	s_and_saveexec_b64 s[26:27], vcc
	s_cbranch_execz .LBB6_2636
; %bb.2631:                             ;   in Loop: Header=BB6_136 Depth=3
	v_cmp_ne_u16_e32 vcc, s96, v12
	v_bfrev_b32_e32 v0, 1
	s_and_saveexec_b64 s[94:95], vcc
	s_cbranch_execz .LBB6_2635
; %bb.2632:                             ;   in Loop: Header=BB6_136 Depth=3
	v_and_b32_e32 v5, 0x7f, v12
	v_cmp_ne_u32_e32 vcc, s86, v5
	v_mov_b32_e32 v0, 0x7f800001
	s_and_saveexec_b64 s[30:31], vcc
	s_cbranch_execz .LBB6_2634
; %bb.2633:                             ;   in Loop: Header=BB6_136 Depth=3
	v_and_b32_e32 v0, 7, v12
	v_lshrrev_b32_e32 v7, 3, v5
	v_cmp_gt_u32_e32 vcc, 8, v5
	v_ffbh_u32_e32 v5, v0
	v_min_u32_e32 v13, 32, v5
	v_subrev_u32_e32 v5, 28, v13
	v_lshlrev_b64 v[5:6], v5, v[12:13]
	v_sub_u32_e32 v6, 29, v13
	v_and_b32_e32 v5, 7, v5
	v_cndmask_b32_e32 v6, v7, v6, vcc
	v_cndmask_b32_e32 v0, v0, v5, vcc
	v_lshlrev_b32_e32 v5, 16, v8
	v_bfrev_b32_e32 v7, 60
	v_lshlrev_b32_e32 v0, 20, v0
	v_and_b32_e32 v5, 0x80000000, v5
	v_lshl_add_u32 v6, v6, 23, v7
	v_or3_b32 v0, v5, v6, v0
.LBB6_2634:                             ;   in Loop: Header=BB6_136 Depth=3
	s_or_b64 exec, exec, s[30:31]
.LBB6_2635:                             ;   in Loop: Header=BB6_136 Depth=3
	s_or_b64 exec, exec, s[94:95]
.LBB6_2636:                             ;   in Loop: Header=BB6_136 Depth=3
	s_or_b64 exec, exec, s[26:27]
	v_mul_f32_e32 v5, v18, v0
	v_and_b32_e32 v6, 0x7f800000, v5
	v_mov_b32_e32 v7, v51
	v_cmp_ne_u64_e32 vcc, s[76:77], v[6:7]
                                        ; implicit-def: $vgpr41
	s_and_saveexec_b64 s[26:27], vcc
	s_xor_b64 s[94:95], exec, s[26:27]
	s_cbranch_execz .LBB6_2650
; %bb.2637:                             ;   in Loop: Header=BB6_136 Depth=3
	v_and_b32_e32 v6, 0x7fffffff, v5
	v_mov_b32_e32 v7, v51
	v_cmp_gt_u64_e32 vcc, s[78:79], v[6:7]
	v_and_b32_sdwa v0, v5, s96 dst_sel:DWORD dst_unused:UNUSED_PAD src0_sel:BYTE_3 src1_sel:DWORD
                                        ; implicit-def: $vgpr41
	s_and_saveexec_b64 s[26:27], vcc
	s_xor_b64 s[30:31], exec, s[26:27]
	s_cbranch_execz .LBB6_2647
; %bb.2638:                             ;   in Loop: Header=BB6_136 Depth=3
	v_mov_b32_e32 v41, 0
	v_cmp_ne_u32_e32 vcc, 0, v5
	s_and_saveexec_b64 s[34:35], vcc
	s_cbranch_execz .LBB6_2646
; %bb.2639:                             ;   in Loop: Header=BB6_136 Depth=3
	v_and_b32_e32 v7, 0x7fffff, v5
	v_bfe_u32 v5, v5, 23, 8
	v_cmp_gt_u32_e64 s[26:27], s97, v5
	v_sub_u32_e32 v6, 0x79, v5
	v_cmp_eq_u32_e32 vcc, 0, v5
	v_cndmask_b32_e64 v6, 0, v6, s[26:27]
	v_mov_b32_e32 v13, 0x78
	v_or_b32_e32 v12, 0x800000, v7
	v_cndmask_b32_e32 v6, v6, v13, vcc
	v_cndmask_b32_e32 v12, v12, v7, vcc
	v_add_u32_e32 v7, 20, v6
	v_lshlrev_b64 v[14:15], v7, -1
	v_mov_b32_e32 v13, v51
	v_add_u32_e32 v7, 19, v6
	v_bfi_b32 v14, v14, 0, v12
	v_lshlrev_b64 v[41:42], v7, 1
	v_lshrrev_b64 v[12:13], v6, v[12:13]
	v_bfi_b32 v15, v15, 0, 0
	v_cmp_eq_u64_e64 s[26:27], v[14:15], v[41:42]
	v_mov_b32_e32 v14, v13
	v_mov_b32_e32 v13, v12
	s_and_saveexec_b64 s[36:37], s[26:27]
; %bb.2640:                             ;   in Loop: Header=BB6_136 Depth=3
	v_bfe_u32 v7, v12, 20, 1
	v_add_co_u32_e64 v7, s[26:27], v12, v7
	v_add_co_u32_e64 v13, s[26:27], -1, v7
; %bb.2641:                             ;   in Loop: Header=BB6_136 Depth=3
	s_or_b64 exec, exec, s[36:37]
	v_add_u32_e32 v5, 0xffffff81, v5
	v_mov_b32_e32 v7, 0xffffff82
	v_cndmask_b32_e32 v5, v5, v7, vcc
	v_lshrrev_b32_e32 v7, 23, v12
	v_add3_u32 v7, v6, v5, v7
	v_add_u32_e32 v6, 6, v7
	v_and_b32_e32 v5, 0xfffff, v13
	v_add_u32_e32 v12, v5, v12
	v_mov_b32_e32 v13, v51
	v_cmp_ne_u32_e32 vcc, 0, v6
                                        ; implicit-def: $vgpr5
	s_and_saveexec_b64 s[26:27], vcc
	s_xor_b64 s[26:27], exec, s[26:27]
; %bb.2642:                             ;   in Loop: Header=BB6_136 Depth=3
	v_cmp_lt_u64_e32 vcc, s[88:89], v[12:13]
	v_add_u32_e32 v5, 7, v7
	v_cndmask_b32_e32 v5, v6, v5, vcc
	v_cndmask_b32_e64 v6, 0, 1, vcc
	v_lshrrev_b64 v[12:13], v6, v[12:13]
; %bb.2643:                             ;   in Loop: Header=BB6_136 Depth=3
	s_andn2_saveexec_b64 s[26:27], s[26:27]
; %bb.2644:                             ;   in Loop: Header=BB6_136 Depth=3
	v_bfe_u32 v5, v12, 23, 1
; %bb.2645:                             ;   in Loop: Header=BB6_136 Depth=3
	s_or_b64 exec, exec, s[26:27]
	v_lshrrev_b64 v[6:7], 20, v[12:13]
	v_cmp_gt_i32_e32 vcc, 16, v5
	v_cndmask_b32_e32 v7, 0, v7, vcc
	v_cndmask_b32_e32 v6, 7, v6, vcc
	v_cmp_eq_u32_e32 vcc, 0, v5
	v_min_i32_e32 v5, 15, v5
	v_cmp_eq_u64_e64 s[26:27], 0, v[6:7]
	v_lshlrev_b32_e32 v5, 3, v5
	v_and_b32_e32 v5, 0xf8, v5
	v_and_or_b32 v5, v6, 7, v5
	s_and_b64 s[26:27], vcc, s[26:27]
	v_cndmask_b32_e64 v5, v5, 0, s[26:27]
	v_or_b32_e32 v41, v5, v0
.LBB6_2646:                             ;   in Loop: Header=BB6_136 Depth=3
	s_or_b64 exec, exec, s[34:35]
                                        ; implicit-def: $vgpr0
.LBB6_2647:                             ;   in Loop: Header=BB6_136 Depth=3
	s_andn2_saveexec_b64 s[26:27], s[30:31]
; %bb.2648:                             ;   in Loop: Header=BB6_136 Depth=3
	v_or_b32_e32 v41, 0x7e, v0
; %bb.2649:                             ;   in Loop: Header=BB6_136 Depth=3
	s_or_b64 exec, exec, s[26:27]
                                        ; implicit-def: $vgpr5
.LBB6_2650:                             ;   in Loop: Header=BB6_136 Depth=3
	s_andn2_saveexec_b64 s[26:27], s[94:95]
; %bb.2651:                             ;   in Loop: Header=BB6_136 Depth=3
	v_or_b32_sdwa v41, v5, s86 dst_sel:DWORD dst_unused:UNUSED_PAD src0_sel:BYTE_3 src1_sel:DWORD
; %bb.2652:                             ;   in Loop: Header=BB6_136 Depth=3
	s_or_b64 exec, exec, s[26:27]
	v_lshrrev_b32_e32 v12, 16, v8
	v_cmp_ne_u16_sdwa s[94:95], v12, v51 src0_sel:BYTE_0 src1_sel:DWORD
	v_mov_b32_e32 v0, 0
	s_and_saveexec_b64 s[26:27], s[94:95]
	s_cbranch_execz .LBB6_2658
; %bb.2653:                             ;   in Loop: Header=BB6_136 Depth=3
	v_cmp_ne_u16_sdwa vcc, v12, s96 src0_sel:BYTE_0 src1_sel:DWORD
	v_bfrev_b32_e32 v0, 1
	s_and_saveexec_b64 s[94:95], vcc
	s_cbranch_execz .LBB6_2657
; %bb.2654:                             ;   in Loop: Header=BB6_136 Depth=3
	v_bfe_u32 v5, v8, 16, 7
	v_cmp_ne_u32_e32 vcc, s86, v5
	v_mov_b32_e32 v0, 0x7f800001
	s_and_saveexec_b64 s[30:31], vcc
	s_cbranch_execz .LBB6_2656
; %bb.2655:                             ;   in Loop: Header=BB6_136 Depth=3
	v_and_b32_e32 v0, 7, v12
	v_lshrrev_b32_e32 v7, 3, v5
	v_cmp_gt_u32_e32 vcc, 8, v5
	v_ffbh_u32_e32 v5, v0
	v_min_u32_e32 v13, 32, v5
	v_subrev_u32_e32 v5, 28, v13
	v_lshlrev_b64 v[5:6], v5, v[12:13]
	v_sub_u32_e32 v6, 29, v13
	v_and_b32_e32 v5, 7, v5
	v_cndmask_b32_e32 v6, v7, v6, vcc
	v_cndmask_b32_e32 v0, v0, v5, vcc
	v_lshlrev_b32_e32 v5, 24, v12
	v_bfrev_b32_e32 v7, 60
	v_lshlrev_b32_e32 v0, 20, v0
	v_and_b32_e32 v5, 0x80000000, v5
	v_lshl_add_u32 v6, v6, 23, v7
	v_or3_b32 v0, v5, v6, v0
.LBB6_2656:                             ;   in Loop: Header=BB6_136 Depth=3
	s_or_b64 exec, exec, s[30:31]
.LBB6_2657:                             ;   in Loop: Header=BB6_136 Depth=3
	s_or_b64 exec, exec, s[94:95]
.LBB6_2658:                             ;   in Loop: Header=BB6_136 Depth=3
	s_or_b64 exec, exec, s[26:27]
	v_mul_f32_e32 v5, v18, v0
	v_and_b32_e32 v6, 0x7f800000, v5
	v_mov_b32_e32 v7, v51
	v_cmp_ne_u64_e32 vcc, s[76:77], v[6:7]
                                        ; implicit-def: $vgpr42
	s_and_saveexec_b64 s[26:27], vcc
	s_xor_b64 s[94:95], exec, s[26:27]
	s_cbranch_execz .LBB6_2672
; %bb.2659:                             ;   in Loop: Header=BB6_136 Depth=3
	v_and_b32_e32 v6, 0x7fffffff, v5
	v_mov_b32_e32 v7, v51
	v_cmp_gt_u64_e32 vcc, s[78:79], v[6:7]
	v_and_b32_sdwa v0, v5, s96 dst_sel:DWORD dst_unused:UNUSED_PAD src0_sel:BYTE_3 src1_sel:DWORD
                                        ; implicit-def: $vgpr42
	s_and_saveexec_b64 s[26:27], vcc
	s_xor_b64 s[30:31], exec, s[26:27]
	s_cbranch_execz .LBB6_2669
; %bb.2660:                             ;   in Loop: Header=BB6_136 Depth=3
	v_mov_b32_e32 v42, 0
	v_cmp_ne_u32_e32 vcc, 0, v5
	s_and_saveexec_b64 s[34:35], vcc
	s_cbranch_execz .LBB6_2668
; %bb.2661:                             ;   in Loop: Header=BB6_136 Depth=3
	v_and_b32_e32 v7, 0x7fffff, v5
	v_bfe_u32 v5, v5, 23, 8
	v_cmp_gt_u32_e64 s[26:27], s97, v5
	v_sub_u32_e32 v6, 0x79, v5
	v_cmp_eq_u32_e32 vcc, 0, v5
	v_cndmask_b32_e64 v6, 0, v6, s[26:27]
	v_mov_b32_e32 v13, 0x78
	v_or_b32_e32 v12, 0x800000, v7
	v_cndmask_b32_e32 v6, v6, v13, vcc
	v_cndmask_b32_e32 v12, v12, v7, vcc
	v_add_u32_e32 v7, 20, v6
	v_lshlrev_b64 v[14:15], v7, -1
	v_mov_b32_e32 v13, v51
	v_add_u32_e32 v7, 19, v6
	v_bfi_b32 v14, v14, 0, v12
	v_lshlrev_b64 v[42:43], v7, 1
	v_lshrrev_b64 v[12:13], v6, v[12:13]
	v_bfi_b32 v15, v15, 0, 0
	v_cmp_eq_u64_e64 s[26:27], v[14:15], v[42:43]
	v_mov_b32_e32 v14, v13
	v_mov_b32_e32 v13, v12
	s_and_saveexec_b64 s[36:37], s[26:27]
; %bb.2662:                             ;   in Loop: Header=BB6_136 Depth=3
	v_bfe_u32 v7, v12, 20, 1
	v_add_co_u32_e64 v7, s[26:27], v12, v7
	v_add_co_u32_e64 v13, s[26:27], -1, v7
; %bb.2663:                             ;   in Loop: Header=BB6_136 Depth=3
	s_or_b64 exec, exec, s[36:37]
	v_add_u32_e32 v5, 0xffffff81, v5
	v_mov_b32_e32 v7, 0xffffff82
	v_cndmask_b32_e32 v5, v5, v7, vcc
	v_lshrrev_b32_e32 v7, 23, v12
	v_add3_u32 v7, v6, v5, v7
	v_add_u32_e32 v6, 6, v7
	v_and_b32_e32 v5, 0xfffff, v13
	v_add_u32_e32 v12, v5, v12
	v_mov_b32_e32 v13, v51
	v_cmp_ne_u32_e32 vcc, 0, v6
                                        ; implicit-def: $vgpr5
	s_and_saveexec_b64 s[26:27], vcc
	s_xor_b64 s[26:27], exec, s[26:27]
; %bb.2664:                             ;   in Loop: Header=BB6_136 Depth=3
	v_cmp_lt_u64_e32 vcc, s[88:89], v[12:13]
	v_add_u32_e32 v5, 7, v7
	v_cndmask_b32_e32 v5, v6, v5, vcc
	v_cndmask_b32_e64 v6, 0, 1, vcc
	v_lshrrev_b64 v[12:13], v6, v[12:13]
; %bb.2665:                             ;   in Loop: Header=BB6_136 Depth=3
	s_andn2_saveexec_b64 s[26:27], s[26:27]
; %bb.2666:                             ;   in Loop: Header=BB6_136 Depth=3
	v_bfe_u32 v5, v12, 23, 1
; %bb.2667:                             ;   in Loop: Header=BB6_136 Depth=3
	s_or_b64 exec, exec, s[26:27]
	v_lshrrev_b64 v[6:7], 20, v[12:13]
	v_cmp_gt_i32_e32 vcc, 16, v5
	v_cndmask_b32_e32 v7, 0, v7, vcc
	v_cndmask_b32_e32 v6, 7, v6, vcc
	v_cmp_eq_u32_e32 vcc, 0, v5
	v_min_i32_e32 v5, 15, v5
	v_cmp_eq_u64_e64 s[26:27], 0, v[6:7]
	v_lshlrev_b32_e32 v5, 3, v5
	v_and_b32_e32 v5, 0xf8, v5
	v_and_or_b32 v5, v6, 7, v5
	s_and_b64 s[26:27], vcc, s[26:27]
	v_cndmask_b32_e64 v5, v5, 0, s[26:27]
	v_or_b32_e32 v42, v5, v0
.LBB6_2668:                             ;   in Loop: Header=BB6_136 Depth=3
	s_or_b64 exec, exec, s[34:35]
                                        ; implicit-def: $vgpr0
.LBB6_2669:                             ;   in Loop: Header=BB6_136 Depth=3
	s_andn2_saveexec_b64 s[26:27], s[30:31]
; %bb.2670:                             ;   in Loop: Header=BB6_136 Depth=3
	v_or_b32_e32 v42, 0x7e, v0
; %bb.2671:                             ;   in Loop: Header=BB6_136 Depth=3
	s_or_b64 exec, exec, s[26:27]
                                        ; implicit-def: $vgpr5
.LBB6_2672:                             ;   in Loop: Header=BB6_136 Depth=3
	s_andn2_saveexec_b64 s[26:27], s[94:95]
; %bb.2673:                             ;   in Loop: Header=BB6_136 Depth=3
	v_or_b32_sdwa v42, v5, s86 dst_sel:DWORD dst_unused:UNUSED_PAD src0_sel:BYTE_3 src1_sel:DWORD
; %bb.2674:                             ;   in Loop: Header=BB6_136 Depth=3
	s_or_b64 exec, exec, s[26:27]
	v_cmp_lt_u32_e32 vcc, s57, v8
	v_mov_b32_e32 v0, 0
	s_and_saveexec_b64 s[26:27], vcc
	s_cbranch_execz .LBB6_2680
; %bb.2675:                             ;   in Loop: Header=BB6_136 Depth=3
	v_lshrrev_b32_e32 v12, 24, v8
	v_cmp_ne_u32_e32 vcc, s96, v12
	v_bfrev_b32_e32 v0, 1
	s_and_saveexec_b64 s[94:95], vcc
	s_cbranch_execz .LBB6_2679
; %bb.2676:                             ;   in Loop: Header=BB6_136 Depth=3
	v_bfe_u32 v5, v8, 24, 7
	v_cmp_ne_u32_e32 vcc, s86, v5
	v_mov_b32_e32 v0, 0x7f800001
	s_and_saveexec_b64 s[30:31], vcc
	s_cbranch_execz .LBB6_2678
; %bb.2677:                             ;   in Loop: Header=BB6_136 Depth=3
	v_and_b32_e32 v0, 7, v12
	v_lshrrev_b32_e32 v7, 3, v5
	v_cmp_gt_u32_e32 vcc, 8, v5
	v_ffbh_u32_e32 v5, v0
	v_min_u32_e32 v13, 32, v5
	v_subrev_u32_e32 v5, 28, v13
	v_lshlrev_b64 v[5:6], v5, v[12:13]
	v_sub_u32_e32 v6, 29, v13
	v_and_b32_e32 v5, 7, v5
	v_cndmask_b32_e32 v6, v7, v6, vcc
	v_cndmask_b32_e32 v0, v0, v5, vcc
	v_lshlrev_b32_e32 v5, 24, v12
	v_bfrev_b32_e32 v7, 60
	v_lshlrev_b32_e32 v0, 20, v0
	v_and_b32_e32 v5, 0x80000000, v5
	v_lshl_add_u32 v6, v6, 23, v7
	v_or3_b32 v0, v5, v6, v0
.LBB6_2678:                             ;   in Loop: Header=BB6_136 Depth=3
	s_or_b64 exec, exec, s[30:31]
.LBB6_2679:                             ;   in Loop: Header=BB6_136 Depth=3
	s_or_b64 exec, exec, s[94:95]
.LBB6_2680:                             ;   in Loop: Header=BB6_136 Depth=3
	s_or_b64 exec, exec, s[26:27]
	v_mul_f32_e32 v5, v18, v0
	v_and_b32_e32 v6, 0x7f800000, v5
	v_mov_b32_e32 v7, v51
	v_cmp_ne_u64_e32 vcc, s[76:77], v[6:7]
                                        ; implicit-def: $vgpr43
	s_and_saveexec_b64 s[26:27], vcc
	s_xor_b64 s[94:95], exec, s[26:27]
	s_cbranch_execz .LBB6_2694
; %bb.2681:                             ;   in Loop: Header=BB6_136 Depth=3
	v_and_b32_e32 v6, 0x7fffffff, v5
	v_mov_b32_e32 v7, v51
	v_cmp_gt_u64_e32 vcc, s[78:79], v[6:7]
	v_and_b32_sdwa v0, v5, s96 dst_sel:DWORD dst_unused:UNUSED_PAD src0_sel:BYTE_3 src1_sel:DWORD
                                        ; implicit-def: $vgpr43
	s_and_saveexec_b64 s[26:27], vcc
	s_xor_b64 s[30:31], exec, s[26:27]
	s_cbranch_execz .LBB6_2691
; %bb.2682:                             ;   in Loop: Header=BB6_136 Depth=3
	v_mov_b32_e32 v43, 0
	v_cmp_ne_u32_e32 vcc, 0, v5
	s_and_saveexec_b64 s[34:35], vcc
	s_cbranch_execz .LBB6_2690
; %bb.2683:                             ;   in Loop: Header=BB6_136 Depth=3
	v_and_b32_e32 v7, 0x7fffff, v5
	v_bfe_u32 v5, v5, 23, 8
	v_cmp_gt_u32_e64 s[26:27], s97, v5
	v_sub_u32_e32 v6, 0x79, v5
	v_cmp_eq_u32_e32 vcc, 0, v5
	v_cndmask_b32_e64 v6, 0, v6, s[26:27]
	v_mov_b32_e32 v13, 0x78
	v_or_b32_e32 v12, 0x800000, v7
	v_cndmask_b32_e32 v6, v6, v13, vcc
	v_cndmask_b32_e32 v12, v12, v7, vcc
	v_add_u32_e32 v7, 20, v6
	v_lshlrev_b64 v[14:15], v7, -1
	v_mov_b32_e32 v13, v51
	v_add_u32_e32 v7, 19, v6
	v_bfi_b32 v14, v14, 0, v12
	v_lshlrev_b64 v[43:44], v7, 1
	v_lshrrev_b64 v[12:13], v6, v[12:13]
	v_bfi_b32 v15, v15, 0, 0
	v_cmp_eq_u64_e64 s[26:27], v[14:15], v[43:44]
	v_mov_b32_e32 v14, v13
	v_mov_b32_e32 v13, v12
	s_and_saveexec_b64 s[36:37], s[26:27]
; %bb.2684:                             ;   in Loop: Header=BB6_136 Depth=3
	v_bfe_u32 v7, v12, 20, 1
	v_add_co_u32_e64 v7, s[26:27], v12, v7
	v_add_co_u32_e64 v13, s[26:27], -1, v7
; %bb.2685:                             ;   in Loop: Header=BB6_136 Depth=3
	s_or_b64 exec, exec, s[36:37]
	v_add_u32_e32 v5, 0xffffff81, v5
	v_mov_b32_e32 v7, 0xffffff82
	v_cndmask_b32_e32 v5, v5, v7, vcc
	v_lshrrev_b32_e32 v7, 23, v12
	v_add3_u32 v7, v6, v5, v7
	v_add_u32_e32 v6, 6, v7
	v_and_b32_e32 v5, 0xfffff, v13
	v_add_u32_e32 v12, v5, v12
	v_mov_b32_e32 v13, v51
	v_cmp_ne_u32_e32 vcc, 0, v6
                                        ; implicit-def: $vgpr5
	s_and_saveexec_b64 s[26:27], vcc
	s_xor_b64 s[26:27], exec, s[26:27]
; %bb.2686:                             ;   in Loop: Header=BB6_136 Depth=3
	v_cmp_lt_u64_e32 vcc, s[88:89], v[12:13]
	v_add_u32_e32 v5, 7, v7
	v_cndmask_b32_e32 v5, v6, v5, vcc
	v_cndmask_b32_e64 v6, 0, 1, vcc
	v_lshrrev_b64 v[12:13], v6, v[12:13]
; %bb.2687:                             ;   in Loop: Header=BB6_136 Depth=3
	s_andn2_saveexec_b64 s[26:27], s[26:27]
; %bb.2688:                             ;   in Loop: Header=BB6_136 Depth=3
	v_bfe_u32 v5, v12, 23, 1
; %bb.2689:                             ;   in Loop: Header=BB6_136 Depth=3
	s_or_b64 exec, exec, s[26:27]
	v_lshrrev_b64 v[6:7], 20, v[12:13]
	v_cmp_gt_i32_e32 vcc, 16, v5
	v_cndmask_b32_e32 v7, 0, v7, vcc
	v_cndmask_b32_e32 v6, 7, v6, vcc
	v_cmp_eq_u32_e32 vcc, 0, v5
	v_min_i32_e32 v5, 15, v5
	v_cmp_eq_u64_e64 s[26:27], 0, v[6:7]
	v_lshlrev_b32_e32 v5, 3, v5
	v_and_b32_e32 v5, 0xf8, v5
	v_and_or_b32 v5, v6, 7, v5
	s_and_b64 s[26:27], vcc, s[26:27]
	v_cndmask_b32_e64 v5, v5, 0, s[26:27]
	v_or_b32_e32 v43, v5, v0
.LBB6_2690:                             ;   in Loop: Header=BB6_136 Depth=3
	s_or_b64 exec, exec, s[34:35]
                                        ; implicit-def: $vgpr0
.LBB6_2691:                             ;   in Loop: Header=BB6_136 Depth=3
	s_andn2_saveexec_b64 s[26:27], s[30:31]
; %bb.2692:                             ;   in Loop: Header=BB6_136 Depth=3
	v_or_b32_e32 v43, 0x7e, v0
; %bb.2693:                             ;   in Loop: Header=BB6_136 Depth=3
	s_or_b64 exec, exec, s[26:27]
                                        ; implicit-def: $vgpr5
.LBB6_2694:                             ;   in Loop: Header=BB6_136 Depth=3
	s_andn2_saveexec_b64 s[26:27], s[94:95]
; %bb.2695:                             ;   in Loop: Header=BB6_136 Depth=3
	v_or_b32_sdwa v43, v5, s86 dst_sel:DWORD dst_unused:UNUSED_PAD src0_sel:BYTE_3 src1_sel:DWORD
; %bb.2696:                             ;   in Loop: Header=BB6_136 Depth=3
	s_or_b64 exec, exec, s[26:27]
	v_mov_b32_e32 v12, v9
	v_mov_b32_e32 v13, v51
	v_cmp_ne_u16_sdwa s[94:95], v9, v51 src0_sel:BYTE_0 src1_sel:DWORD
	v_mov_b32_e32 v0, 0
	s_and_saveexec_b64 s[26:27], s[94:95]
	s_cbranch_execz .LBB6_2702
; %bb.2697:                             ;   in Loop: Header=BB6_136 Depth=3
	v_cmp_ne_u16_sdwa vcc, v9, s96 src0_sel:BYTE_0 src1_sel:DWORD
	v_bfrev_b32_e32 v0, 1
	s_and_saveexec_b64 s[94:95], vcc
	s_cbranch_execz .LBB6_2701
; %bb.2698:                             ;   in Loop: Header=BB6_136 Depth=3
	v_and_b32_e32 v5, 0x7f, v9
	v_cmp_ne_u32_e32 vcc, s86, v5
	v_mov_b32_e32 v0, 0x7f800001
	s_and_saveexec_b64 s[30:31], vcc
	s_cbranch_execz .LBB6_2700
; %bb.2699:                             ;   in Loop: Header=BB6_136 Depth=3
	v_and_b32_e32 v0, 7, v9
	v_ffbh_u32_e32 v0, v0
	v_min_u32_e32 v0, 32, v0
	v_lshrrev_b32_e32 v6, 3, v5
	v_cmp_gt_u32_e32 vcc, 8, v5
	v_subrev_u32_e32 v5, 28, v0
	v_sub_u32_e32 v0, 29, v0
	v_cndmask_b32_e32 v5, 0, v5, vcc
	v_cndmask_b32_e32 v0, v6, v0, vcc
	v_lshlrev_b64 v[5:6], v5, v[12:13]
	v_lshlrev_b32_e32 v6, 24, v12
	v_lshlrev_b32_e32 v5, 20, v5
	v_bfrev_b32_e32 v7, 60
	v_and_b32_e32 v5, 0x700000, v5
	v_and_b32_e32 v6, 0x80000000, v6
	v_lshl_add_u32 v0, v0, 23, v7
	v_or3_b32 v0, v6, v0, v5
.LBB6_2700:                             ;   in Loop: Header=BB6_136 Depth=3
	s_or_b64 exec, exec, s[30:31]
.LBB6_2701:                             ;   in Loop: Header=BB6_136 Depth=3
	s_or_b64 exec, exec, s[94:95]
.LBB6_2702:                             ;   in Loop: Header=BB6_136 Depth=3
	s_or_b64 exec, exec, s[26:27]
	v_mul_f32_e32 v6, v18, v0
	v_and_b32_e32 v13, 0x7f800000, v6
	v_mov_b32_e32 v14, v51
	v_cmp_ne_u64_e32 vcc, s[76:77], v[13:14]
                                        ; implicit-def: $vgpr0
	s_and_saveexec_b64 s[26:27], vcc
	s_xor_b64 s[94:95], exec, s[26:27]
	s_cbranch_execz .LBB6_2716
; %bb.2703:                             ;   in Loop: Header=BB6_136 Depth=3
	v_and_b32_e32 v13, 0x7fffffff, v6
	v_mov_b32_e32 v14, v51
	v_cmp_gt_u64_e32 vcc, s[78:79], v[13:14]
	v_and_b32_sdwa v5, v6, s96 dst_sel:DWORD dst_unused:UNUSED_PAD src0_sel:BYTE_3 src1_sel:DWORD
                                        ; implicit-def: $vgpr0
	s_and_saveexec_b64 s[26:27], vcc
	s_xor_b64 s[30:31], exec, s[26:27]
	s_cbranch_execz .LBB6_2713
; %bb.2704:                             ;   in Loop: Header=BB6_136 Depth=3
	v_mov_b32_e32 v0, 0
	v_cmp_ne_u32_e32 vcc, 0, v6
	s_and_saveexec_b64 s[34:35], vcc
	s_cbranch_execz .LBB6_2712
; %bb.2705:                             ;   in Loop: Header=BB6_136 Depth=3
	v_bfe_u32 v0, v6, 23, 8
	v_and_b32_e32 v7, 0x7fffff, v6
	v_cmp_gt_u32_e64 s[26:27], s97, v0
	v_sub_u32_e32 v6, 0x79, v0
	v_cmp_eq_u32_e32 vcc, 0, v0
	v_cndmask_b32_e64 v6, 0, v6, s[26:27]
	v_mov_b32_e32 v14, 0x78
	v_or_b32_e32 v13, 0x800000, v7
	v_cndmask_b32_e32 v6, v6, v14, vcc
	v_cndmask_b32_e32 v13, v13, v7, vcc
	v_add_u32_e32 v7, 20, v6
	v_lshlrev_b64 v[46:47], v7, -1
	v_mov_b32_e32 v14, v51
	v_add_u32_e32 v7, 19, v6
	v_bfi_b32 v46, v46, 0, v13
	v_lshlrev_b64 v[44:45], v7, 1
	v_lshrrev_b64 v[13:14], v6, v[13:14]
	v_bfi_b32 v47, v47, 0, 0
	v_cmp_eq_u64_e64 s[26:27], v[46:47], v[44:45]
	v_mov_b32_e32 v15, v14
	v_mov_b32_e32 v14, v13
	s_and_saveexec_b64 s[36:37], s[26:27]
; %bb.2706:                             ;   in Loop: Header=BB6_136 Depth=3
	v_bfe_u32 v7, v13, 20, 1
	v_add_co_u32_e64 v7, s[26:27], v13, v7
	v_add_co_u32_e64 v14, s[26:27], -1, v7
; %bb.2707:                             ;   in Loop: Header=BB6_136 Depth=3
	s_or_b64 exec, exec, s[36:37]
	v_add_u32_e32 v0, 0xffffff81, v0
	v_mov_b32_e32 v7, 0xffffff82
	v_cndmask_b32_e32 v0, v0, v7, vcc
	v_lshrrev_b32_e32 v7, 23, v13
	v_add3_u32 v7, v6, v0, v7
	v_add_u32_e32 v6, 6, v7
	v_and_b32_e32 v0, 0xfffff, v14
	v_add_u32_e32 v13, v0, v13
	v_mov_b32_e32 v14, v51
	v_cmp_ne_u32_e32 vcc, 0, v6
                                        ; implicit-def: $vgpr0
	s_and_saveexec_b64 s[26:27], vcc
	s_xor_b64 s[26:27], exec, s[26:27]
; %bb.2708:                             ;   in Loop: Header=BB6_136 Depth=3
	v_cmp_lt_u64_e32 vcc, s[88:89], v[13:14]
	v_add_u32_e32 v0, 7, v7
	v_cndmask_b32_e32 v0, v6, v0, vcc
	v_cndmask_b32_e64 v6, 0, 1, vcc
	v_lshrrev_b64 v[13:14], v6, v[13:14]
; %bb.2709:                             ;   in Loop: Header=BB6_136 Depth=3
	s_andn2_saveexec_b64 s[26:27], s[26:27]
; %bb.2710:                             ;   in Loop: Header=BB6_136 Depth=3
	v_bfe_u32 v0, v13, 23, 1
; %bb.2711:                             ;   in Loop: Header=BB6_136 Depth=3
	s_or_b64 exec, exec, s[26:27]
	v_lshrrev_b64 v[6:7], 20, v[13:14]
	v_cmp_gt_i32_e32 vcc, 16, v0
	v_cndmask_b32_e32 v7, 0, v7, vcc
	v_cndmask_b32_e32 v6, 7, v6, vcc
	v_cmp_eq_u32_e32 vcc, 0, v0
	v_min_i32_e32 v0, 15, v0
	v_cmp_eq_u64_e64 s[26:27], 0, v[6:7]
	v_lshlrev_b32_e32 v0, 3, v0
	v_and_b32_e32 v0, 0xf8, v0
	v_and_or_b32 v0, v6, 7, v0
	s_and_b64 s[26:27], vcc, s[26:27]
	v_cndmask_b32_e64 v0, v0, 0, s[26:27]
	v_or_b32_e32 v0, v0, v5
.LBB6_2712:                             ;   in Loop: Header=BB6_136 Depth=3
	s_or_b64 exec, exec, s[34:35]
                                        ; implicit-def: $vgpr5
.LBB6_2713:                             ;   in Loop: Header=BB6_136 Depth=3
	s_andn2_saveexec_b64 s[26:27], s[30:31]
; %bb.2714:                             ;   in Loop: Header=BB6_136 Depth=3
	v_or_b32_e32 v0, 0x7e, v5
; %bb.2715:                             ;   in Loop: Header=BB6_136 Depth=3
	s_or_b64 exec, exec, s[26:27]
                                        ; implicit-def: $vgpr6
.LBB6_2716:                             ;   in Loop: Header=BB6_136 Depth=3
	s_andn2_saveexec_b64 s[26:27], s[94:95]
; %bb.2717:                             ;   in Loop: Header=BB6_136 Depth=3
	v_or_b32_sdwa v0, v6, s86 dst_sel:DWORD dst_unused:UNUSED_PAD src0_sel:BYTE_3 src1_sel:DWORD
; %bb.2718:                             ;   in Loop: Header=BB6_136 Depth=3
	s_or_b64 exec, exec, s[26:27]
	v_lshrrev_b16_e32 v13, 8, v12
	v_cmp_ne_u16_e32 vcc, 0, v13
	v_mov_b32_e32 v5, 0
	s_and_saveexec_b64 s[26:27], vcc
	s_cbranch_execz .LBB6_2724
; %bb.2719:                             ;   in Loop: Header=BB6_136 Depth=3
	v_cmp_ne_u16_e32 vcc, s96, v13
	v_bfrev_b32_e32 v5, 1
	s_and_saveexec_b64 s[94:95], vcc
	s_cbranch_execz .LBB6_2723
; %bb.2720:                             ;   in Loop: Header=BB6_136 Depth=3
	v_and_b32_e32 v6, 0x7f, v13
	v_cmp_ne_u32_e32 vcc, s86, v6
	v_mov_b32_e32 v5, 0x7f800001
	s_and_saveexec_b64 s[30:31], vcc
	s_cbranch_execz .LBB6_2722
; %bb.2721:                             ;   in Loop: Header=BB6_136 Depth=3
	v_and_b32_e32 v7, 7, v13
	v_ffbh_u32_e32 v5, v7
	v_min_u32_e32 v15, 32, v5
	v_lshrrev_b32_e32 v14, 3, v6
	v_subrev_u32_e32 v5, 28, v15
	v_cmp_gt_u32_e32 vcc, 8, v6
	v_lshlrev_b64 v[5:6], v5, v[13:14]
	v_sub_u32_e32 v6, 29, v15
	v_and_b32_e32 v5, 7, v5
	v_cndmask_b32_e32 v6, v14, v6, vcc
	v_cndmask_b32_e32 v5, v7, v5, vcc
	v_lshlrev_b32_e32 v7, 16, v12
	v_bfrev_b32_e32 v12, 60
	v_lshlrev_b32_e32 v5, 20, v5
	v_and_b32_e32 v7, 0x80000000, v7
	v_lshl_add_u32 v6, v6, 23, v12
	v_or3_b32 v5, v7, v6, v5
.LBB6_2722:                             ;   in Loop: Header=BB6_136 Depth=3
	s_or_b64 exec, exec, s[30:31]
.LBB6_2723:                             ;   in Loop: Header=BB6_136 Depth=3
	s_or_b64 exec, exec, s[94:95]
.LBB6_2724:                             ;   in Loop: Header=BB6_136 Depth=3
	s_or_b64 exec, exec, s[26:27]
	v_mul_f32_e32 v6, v18, v5
	v_and_b32_e32 v12, 0x7f800000, v6
	v_mov_b32_e32 v13, v51
	v_cmp_ne_u64_e32 vcc, s[76:77], v[12:13]
                                        ; implicit-def: $vgpr61
	s_and_saveexec_b64 s[26:27], vcc
	s_xor_b64 s[94:95], exec, s[26:27]
	s_cbranch_execz .LBB6_2738
; %bb.2725:                             ;   in Loop: Header=BB6_136 Depth=3
	v_and_b32_e32 v12, 0x7fffffff, v6
	v_mov_b32_e32 v13, v51
	v_cmp_gt_u64_e32 vcc, s[78:79], v[12:13]
	v_and_b32_sdwa v5, v6, s96 dst_sel:DWORD dst_unused:UNUSED_PAD src0_sel:BYTE_3 src1_sel:DWORD
                                        ; implicit-def: $vgpr61
	s_and_saveexec_b64 s[26:27], vcc
	s_xor_b64 s[30:31], exec, s[26:27]
	s_cbranch_execz .LBB6_2735
; %bb.2726:                             ;   in Loop: Header=BB6_136 Depth=3
	v_mov_b32_e32 v61, 0
	v_cmp_ne_u32_e32 vcc, 0, v6
	s_and_saveexec_b64 s[34:35], vcc
	s_cbranch_execz .LBB6_2734
; %bb.2727:                             ;   in Loop: Header=BB6_136 Depth=3
	v_and_b32_e32 v12, 0x7fffff, v6
	v_bfe_u32 v6, v6, 23, 8
	v_cmp_gt_u32_e64 s[26:27], s97, v6
	v_sub_u32_e32 v7, 0x79, v6
	v_cmp_eq_u32_e32 vcc, 0, v6
	v_cndmask_b32_e64 v7, 0, v7, s[26:27]
	v_mov_b32_e32 v14, 0x78
	v_cndmask_b32_e32 v7, v7, v14, vcc
	v_add_u32_e32 v14, 20, v7
	v_or_b32_e32 v13, 0x800000, v12
	v_lshlrev_b64 v[14:15], v14, -1
	v_cndmask_b32_e32 v12, v13, v12, vcc
	v_mov_b32_e32 v13, v51
	v_add_u32_e32 v24, 19, v7
	v_bfi_b32 v14, v14, 0, v12
	v_lshlrev_b64 v[44:45], v24, 1
	v_lshrrev_b64 v[12:13], v7, v[12:13]
	v_bfi_b32 v15, v15, 0, 0
	v_cmp_eq_u64_e64 s[26:27], v[14:15], v[44:45]
	v_mov_b32_e32 v14, v13
	v_mov_b32_e32 v13, v12
	s_and_saveexec_b64 s[36:37], s[26:27]
; %bb.2728:                             ;   in Loop: Header=BB6_136 Depth=3
	v_bfe_u32 v13, v12, 20, 1
	v_add_co_u32_e64 v13, s[26:27], v12, v13
	v_add_co_u32_e64 v13, s[26:27], -1, v13
; %bb.2729:                             ;   in Loop: Header=BB6_136 Depth=3
	s_or_b64 exec, exec, s[36:37]
	v_add_u32_e32 v6, 0xffffff81, v6
	v_mov_b32_e32 v14, 0xffffff82
	v_cndmask_b32_e32 v6, v6, v14, vcc
	v_lshrrev_b32_e32 v14, 23, v12
	v_add3_u32 v14, v7, v6, v14
	v_add_u32_e32 v7, 6, v14
	v_and_b32_e32 v6, 0xfffff, v13
	v_add_u32_e32 v12, v6, v12
	v_mov_b32_e32 v13, v51
	v_cmp_ne_u32_e32 vcc, 0, v7
                                        ; implicit-def: $vgpr6
	s_and_saveexec_b64 s[26:27], vcc
	s_xor_b64 s[26:27], exec, s[26:27]
; %bb.2730:                             ;   in Loop: Header=BB6_136 Depth=3
	v_cmp_lt_u64_e32 vcc, s[88:89], v[12:13]
	v_add_u32_e32 v6, 7, v14
	v_cndmask_b32_e32 v6, v7, v6, vcc
	v_cndmask_b32_e64 v7, 0, 1, vcc
	v_lshrrev_b64 v[12:13], v7, v[12:13]
; %bb.2731:                             ;   in Loop: Header=BB6_136 Depth=3
	s_andn2_saveexec_b64 s[26:27], s[26:27]
; %bb.2732:                             ;   in Loop: Header=BB6_136 Depth=3
	v_bfe_u32 v6, v12, 23, 1
; %bb.2733:                             ;   in Loop: Header=BB6_136 Depth=3
	s_or_b64 exec, exec, s[26:27]
	v_lshrrev_b64 v[12:13], 20, v[12:13]
	v_cmp_gt_i32_e32 vcc, 16, v6
	v_cndmask_b32_e32 v13, 0, v13, vcc
	v_cndmask_b32_e32 v12, 7, v12, vcc
	v_cmp_eq_u32_e32 vcc, 0, v6
	v_min_i32_e32 v6, 15, v6
	v_cmp_eq_u64_e64 s[26:27], 0, v[12:13]
	v_lshlrev_b32_e32 v6, 3, v6
	v_and_b32_e32 v6, 0xf8, v6
	v_and_or_b32 v6, v12, 7, v6
	s_and_b64 s[26:27], vcc, s[26:27]
	v_cndmask_b32_e64 v6, v6, 0, s[26:27]
	v_or_b32_e32 v61, v6, v5
.LBB6_2734:                             ;   in Loop: Header=BB6_136 Depth=3
	s_or_b64 exec, exec, s[34:35]
                                        ; implicit-def: $vgpr5
.LBB6_2735:                             ;   in Loop: Header=BB6_136 Depth=3
	s_andn2_saveexec_b64 s[26:27], s[30:31]
; %bb.2736:                             ;   in Loop: Header=BB6_136 Depth=3
	v_or_b32_e32 v61, 0x7e, v5
; %bb.2737:                             ;   in Loop: Header=BB6_136 Depth=3
	s_or_b64 exec, exec, s[26:27]
                                        ; implicit-def: $vgpr6
.LBB6_2738:                             ;   in Loop: Header=BB6_136 Depth=3
	s_andn2_saveexec_b64 s[26:27], s[94:95]
; %bb.2739:                             ;   in Loop: Header=BB6_136 Depth=3
	v_or_b32_sdwa v61, v6, s86 dst_sel:DWORD dst_unused:UNUSED_PAD src0_sel:BYTE_3 src1_sel:DWORD
; %bb.2740:                             ;   in Loop: Header=BB6_136 Depth=3
	s_or_b64 exec, exec, s[26:27]
	v_lshrrev_b32_e32 v12, 16, v9
	v_cmp_ne_u16_sdwa s[94:95], v12, v51 src0_sel:BYTE_0 src1_sel:DWORD
	v_mov_b32_e32 v5, 0
	s_and_saveexec_b64 s[26:27], s[94:95]
	s_cbranch_execz .LBB6_2746
; %bb.2741:                             ;   in Loop: Header=BB6_136 Depth=3
	v_cmp_ne_u16_sdwa vcc, v12, s96 src0_sel:BYTE_0 src1_sel:DWORD
	v_bfrev_b32_e32 v5, 1
	s_and_saveexec_b64 s[94:95], vcc
	s_cbranch_execz .LBB6_2745
; %bb.2742:                             ;   in Loop: Header=BB6_136 Depth=3
	v_bfe_u32 v6, v9, 16, 7
	v_cmp_ne_u32_e32 vcc, s86, v6
	v_mov_b32_e32 v5, 0x7f800001
	s_and_saveexec_b64 s[30:31], vcc
	s_cbranch_execz .LBB6_2744
; %bb.2743:                             ;   in Loop: Header=BB6_136 Depth=3
	v_and_b32_e32 v7, 7, v12
	v_ffbh_u32_e32 v5, v7
	v_min_u32_e32 v14, 32, v5
	v_lshrrev_b32_e32 v13, 3, v6
	v_subrev_u32_e32 v5, 28, v14
	v_cmp_gt_u32_e32 vcc, 8, v6
	v_lshlrev_b64 v[5:6], v5, v[12:13]
	v_sub_u32_e32 v6, 29, v14
	v_and_b32_e32 v5, 7, v5
	v_cndmask_b32_e32 v6, v13, v6, vcc
	v_cndmask_b32_e32 v5, v7, v5, vcc
	v_lshlrev_b32_e32 v7, 24, v12
	v_bfrev_b32_e32 v12, 60
	v_lshlrev_b32_e32 v5, 20, v5
	v_and_b32_e32 v7, 0x80000000, v7
	v_lshl_add_u32 v6, v6, 23, v12
	v_or3_b32 v5, v7, v6, v5
.LBB6_2744:                             ;   in Loop: Header=BB6_136 Depth=3
	s_or_b64 exec, exec, s[30:31]
.LBB6_2745:                             ;   in Loop: Header=BB6_136 Depth=3
	s_or_b64 exec, exec, s[94:95]
.LBB6_2746:                             ;   in Loop: Header=BB6_136 Depth=3
	s_or_b64 exec, exec, s[26:27]
	v_mul_f32_e32 v7, v18, v5
	v_and_b32_e32 v5, 0x7f800000, v7
	v_mov_b32_e32 v6, v51
	v_cmp_ne_u64_e32 vcc, s[76:77], v[5:6]
                                        ; implicit-def: $vgpr5
	s_and_saveexec_b64 s[26:27], vcc
	s_xor_b64 s[94:95], exec, s[26:27]
	s_cbranch_execz .LBB6_2760
; %bb.2747:                             ;   in Loop: Header=BB6_136 Depth=3
	v_and_b32_e32 v5, 0x7fffffff, v7
	v_mov_b32_e32 v6, v51
	v_cmp_gt_u64_e32 vcc, s[78:79], v[5:6]
	v_and_b32_sdwa v6, v7, s96 dst_sel:DWORD dst_unused:UNUSED_PAD src0_sel:BYTE_3 src1_sel:DWORD
                                        ; implicit-def: $vgpr5
	s_and_saveexec_b64 s[26:27], vcc
	s_xor_b64 s[30:31], exec, s[26:27]
	s_cbranch_execz .LBB6_2757
; %bb.2748:                             ;   in Loop: Header=BB6_136 Depth=3
	v_mov_b32_e32 v5, 0
	v_cmp_ne_u32_e32 vcc, 0, v7
	s_and_saveexec_b64 s[34:35], vcc
	s_cbranch_execz .LBB6_2756
; %bb.2749:                             ;   in Loop: Header=BB6_136 Depth=3
	v_bfe_u32 v5, v7, 23, 8
	v_and_b32_e32 v12, 0x7fffff, v7
	v_cmp_gt_u32_e64 s[26:27], s97, v5
	v_sub_u32_e32 v7, 0x79, v5
	v_cmp_eq_u32_e32 vcc, 0, v5
	v_cndmask_b32_e64 v7, 0, v7, s[26:27]
	v_mov_b32_e32 v14, 0x78
	v_cndmask_b32_e32 v7, v7, v14, vcc
	v_add_u32_e32 v14, 20, v7
	v_or_b32_e32 v13, 0x800000, v12
	v_lshlrev_b64 v[14:15], v14, -1
	v_cndmask_b32_e32 v12, v13, v12, vcc
	v_mov_b32_e32 v13, v51
	v_add_u32_e32 v24, 19, v7
	v_bfi_b32 v14, v14, 0, v12
	v_lshlrev_b64 v[44:45], v24, 1
	v_lshrrev_b64 v[12:13], v7, v[12:13]
	v_bfi_b32 v15, v15, 0, 0
	v_cmp_eq_u64_e64 s[26:27], v[14:15], v[44:45]
	v_mov_b32_e32 v14, v13
	v_mov_b32_e32 v13, v12
	s_and_saveexec_b64 s[36:37], s[26:27]
; %bb.2750:                             ;   in Loop: Header=BB6_136 Depth=3
	v_bfe_u32 v13, v12, 20, 1
	v_add_co_u32_e64 v13, s[26:27], v12, v13
	v_add_co_u32_e64 v13, s[26:27], -1, v13
; %bb.2751:                             ;   in Loop: Header=BB6_136 Depth=3
	s_or_b64 exec, exec, s[36:37]
	v_add_u32_e32 v5, 0xffffff81, v5
	v_mov_b32_e32 v14, 0xffffff82
	v_cndmask_b32_e32 v5, v5, v14, vcc
	v_lshrrev_b32_e32 v14, 23, v12
	v_add3_u32 v14, v7, v5, v14
	v_add_u32_e32 v7, 6, v14
	v_and_b32_e32 v5, 0xfffff, v13
	v_add_u32_e32 v12, v5, v12
	v_mov_b32_e32 v13, v51
	v_cmp_ne_u32_e32 vcc, 0, v7
                                        ; implicit-def: $vgpr5
	s_and_saveexec_b64 s[26:27], vcc
	s_xor_b64 s[26:27], exec, s[26:27]
; %bb.2752:                             ;   in Loop: Header=BB6_136 Depth=3
	v_cmp_lt_u64_e32 vcc, s[88:89], v[12:13]
	v_add_u32_e32 v5, 7, v14
	v_cndmask_b32_e32 v5, v7, v5, vcc
	v_cndmask_b32_e64 v7, 0, 1, vcc
	v_lshrrev_b64 v[12:13], v7, v[12:13]
; %bb.2753:                             ;   in Loop: Header=BB6_136 Depth=3
	s_andn2_saveexec_b64 s[26:27], s[26:27]
; %bb.2754:                             ;   in Loop: Header=BB6_136 Depth=3
	v_bfe_u32 v5, v12, 23, 1
; %bb.2755:                             ;   in Loop: Header=BB6_136 Depth=3
	s_or_b64 exec, exec, s[26:27]
	v_lshrrev_b64 v[12:13], 20, v[12:13]
	v_cmp_gt_i32_e32 vcc, 16, v5
	v_cndmask_b32_e32 v13, 0, v13, vcc
	v_cndmask_b32_e32 v12, 7, v12, vcc
	v_cmp_eq_u32_e32 vcc, 0, v5
	v_min_i32_e32 v5, 15, v5
	v_cmp_eq_u64_e64 s[26:27], 0, v[12:13]
	v_lshlrev_b32_e32 v5, 3, v5
	v_and_b32_e32 v5, 0xf8, v5
	v_and_or_b32 v5, v12, 7, v5
	s_and_b64 s[26:27], vcc, s[26:27]
	v_cndmask_b32_e64 v5, v5, 0, s[26:27]
	v_or_b32_e32 v5, v5, v6
.LBB6_2756:                             ;   in Loop: Header=BB6_136 Depth=3
	s_or_b64 exec, exec, s[34:35]
                                        ; implicit-def: $vgpr6
.LBB6_2757:                             ;   in Loop: Header=BB6_136 Depth=3
	s_andn2_saveexec_b64 s[26:27], s[30:31]
; %bb.2758:                             ;   in Loop: Header=BB6_136 Depth=3
	v_or_b32_e32 v5, 0x7e, v6
; %bb.2759:                             ;   in Loop: Header=BB6_136 Depth=3
	s_or_b64 exec, exec, s[26:27]
                                        ; implicit-def: $vgpr7
.LBB6_2760:                             ;   in Loop: Header=BB6_136 Depth=3
	s_andn2_saveexec_b64 s[26:27], s[94:95]
; %bb.2761:                             ;   in Loop: Header=BB6_136 Depth=3
	v_or_b32_sdwa v5, v7, s86 dst_sel:DWORD dst_unused:UNUSED_PAD src0_sel:BYTE_3 src1_sel:DWORD
; %bb.2762:                             ;   in Loop: Header=BB6_136 Depth=3
	s_or_b64 exec, exec, s[26:27]
	v_cmp_lt_u64_e32 vcc, s[56:57], v[8:9]
	v_mov_b32_e32 v6, 0
	s_and_saveexec_b64 s[26:27], vcc
	s_cbranch_execz .LBB6_2768
; %bb.2763:                             ;   in Loop: Header=BB6_136 Depth=3
	v_lshrrev_b32_e32 v8, 24, v9
	v_cmp_ne_u32_e32 vcc, s96, v8
	v_bfrev_b32_e32 v6, 1
	s_and_saveexec_b64 s[94:95], vcc
	s_cbranch_execz .LBB6_2767
; %bb.2764:                             ;   in Loop: Header=BB6_136 Depth=3
	v_bfe_u32 v7, v9, 24, 7
	v_cmp_ne_u32_e32 vcc, s86, v7
	v_mov_b32_e32 v6, 0x7f800001
	s_and_saveexec_b64 s[30:31], vcc
	s_cbranch_execz .LBB6_2766
; %bb.2765:                             ;   in Loop: Header=BB6_136 Depth=3
	v_and_b32_e32 v9, 7, v8
	v_ffbh_u32_e32 v6, v9
	v_min_u32_e32 v13, 32, v6
	v_subrev_u32_e32 v6, 28, v13
	v_lshrrev_b32_e32 v12, 3, v7
	v_cmp_gt_u32_e32 vcc, 8, v7
	v_lshlrev_b64 v[6:7], v6, v[8:9]
	v_sub_u32_e32 v7, 29, v13
	v_and_b32_e32 v6, 7, v6
	v_cndmask_b32_e32 v7, v12, v7, vcc
	v_cndmask_b32_e32 v6, v9, v6, vcc
	v_lshlrev_b32_e32 v8, 24, v8
	v_bfrev_b32_e32 v9, 60
	v_lshlrev_b32_e32 v6, 20, v6
	v_and_b32_e32 v8, 0x80000000, v8
	v_lshl_add_u32 v7, v7, 23, v9
	v_or3_b32 v6, v8, v7, v6
.LBB6_2766:                             ;   in Loop: Header=BB6_136 Depth=3
	s_or_b64 exec, exec, s[30:31]
.LBB6_2767:                             ;   in Loop: Header=BB6_136 Depth=3
	s_or_b64 exec, exec, s[94:95]
.LBB6_2768:                             ;   in Loop: Header=BB6_136 Depth=3
	s_or_b64 exec, exec, s[26:27]
	v_mul_f32_e32 v7, v18, v6
	v_and_b32_e32 v8, 0x7f800000, v7
	v_mov_b32_e32 v9, v51
	v_cmp_ne_u64_e32 vcc, s[76:77], v[8:9]
                                        ; implicit-def: $vgpr46
	s_and_saveexec_b64 s[26:27], vcc
	s_xor_b64 s[94:95], exec, s[26:27]
	s_cbranch_execz .LBB6_2782
; %bb.2769:                             ;   in Loop: Header=BB6_136 Depth=3
	v_and_b32_e32 v8, 0x7fffffff, v7
	v_mov_b32_e32 v9, v51
	v_cmp_gt_u64_e32 vcc, s[78:79], v[8:9]
	v_and_b32_sdwa v6, v7, s96 dst_sel:DWORD dst_unused:UNUSED_PAD src0_sel:BYTE_3 src1_sel:DWORD
                                        ; implicit-def: $vgpr46
	s_and_saveexec_b64 s[26:27], vcc
	s_xor_b64 s[30:31], exec, s[26:27]
	s_cbranch_execz .LBB6_2779
; %bb.2770:                             ;   in Loop: Header=BB6_136 Depth=3
	v_mov_b32_e32 v46, 0
	v_cmp_ne_u32_e32 vcc, 0, v7
	s_and_saveexec_b64 s[34:35], vcc
	s_cbranch_execz .LBB6_2778
; %bb.2771:                             ;   in Loop: Header=BB6_136 Depth=3
	v_and_b32_e32 v8, 0x7fffff, v7
	v_bfe_u32 v7, v7, 23, 8
	v_cmp_gt_u32_e64 s[26:27], s97, v7
	v_sub_u32_e32 v9, 0x79, v7
	v_cmp_eq_u32_e32 vcc, 0, v7
	v_cndmask_b32_e64 v9, 0, v9, s[26:27]
	v_mov_b32_e32 v13, 0x78
	v_or_b32_e32 v12, 0x800000, v8
	v_cndmask_b32_e32 v14, v9, v13, vcc
	v_cndmask_b32_e32 v8, v12, v8, vcc
	v_add_u32_e32 v12, 20, v14
	v_lshlrev_b64 v[12:13], v12, -1
	v_mov_b32_e32 v9, v51
	v_add_u32_e32 v15, 19, v14
	v_bfi_b32 v12, v12, 0, v8
	v_lshlrev_b64 v[44:45], v15, 1
	v_lshrrev_b64 v[8:9], v14, v[8:9]
	v_bfi_b32 v13, v13, 0, 0
	v_cmp_eq_u64_e64 s[26:27], v[12:13], v[44:45]
	v_mov_b32_e32 v13, v9
	v_mov_b32_e32 v12, v8
	s_and_saveexec_b64 s[36:37], s[26:27]
; %bb.2772:                             ;   in Loop: Header=BB6_136 Depth=3
	v_bfe_u32 v9, v8, 20, 1
	v_add_co_u32_e64 v9, s[26:27], v8, v9
	v_add_co_u32_e64 v12, s[26:27], -1, v9
; %bb.2773:                             ;   in Loop: Header=BB6_136 Depth=3
	s_or_b64 exec, exec, s[36:37]
	v_add_u32_e32 v7, 0xffffff81, v7
	v_mov_b32_e32 v9, 0xffffff82
	v_cndmask_b32_e32 v7, v7, v9, vcc
	v_lshrrev_b32_e32 v9, 23, v8
	v_add3_u32 v14, v14, v7, v9
	v_add_u32_e32 v13, 6, v14
	v_and_b32_e32 v7, 0xfffff, v12
	v_add_u32_e32 v8, v7, v8
	v_mov_b32_e32 v9, v51
	v_cmp_ne_u32_e32 vcc, 0, v13
                                        ; implicit-def: $vgpr7
	s_and_saveexec_b64 s[26:27], vcc
	s_xor_b64 s[26:27], exec, s[26:27]
; %bb.2774:                             ;   in Loop: Header=BB6_136 Depth=3
	v_cmp_lt_u64_e32 vcc, s[88:89], v[8:9]
	v_add_u32_e32 v7, 7, v14
	v_cndmask_b32_e64 v12, 0, 1, vcc
	v_lshrrev_b64 v[8:9], v12, v[8:9]
	v_cndmask_b32_e32 v7, v13, v7, vcc
; %bb.2775:                             ;   in Loop: Header=BB6_136 Depth=3
	s_andn2_saveexec_b64 s[26:27], s[26:27]
; %bb.2776:                             ;   in Loop: Header=BB6_136 Depth=3
	v_bfe_u32 v7, v8, 23, 1
; %bb.2777:                             ;   in Loop: Header=BB6_136 Depth=3
	s_or_b64 exec, exec, s[26:27]
	v_lshrrev_b64 v[8:9], 20, v[8:9]
	v_cmp_gt_i32_e32 vcc, 16, v7
	v_cndmask_b32_e32 v9, 0, v9, vcc
	v_cndmask_b32_e32 v8, 7, v8, vcc
	v_cmp_eq_u32_e32 vcc, 0, v7
	v_min_i32_e32 v7, 15, v7
	v_cmp_eq_u64_e64 s[26:27], 0, v[8:9]
	v_lshlrev_b32_e32 v7, 3, v7
	v_and_b32_e32 v7, 0xf8, v7
	v_and_or_b32 v7, v8, 7, v7
	s_and_b64 s[26:27], vcc, s[26:27]
	v_cndmask_b32_e64 v7, v7, 0, s[26:27]
	v_or_b32_e32 v46, v7, v6
.LBB6_2778:                             ;   in Loop: Header=BB6_136 Depth=3
	s_or_b64 exec, exec, s[34:35]
                                        ; implicit-def: $vgpr6
.LBB6_2779:                             ;   in Loop: Header=BB6_136 Depth=3
	s_andn2_saveexec_b64 s[26:27], s[30:31]
; %bb.2780:                             ;   in Loop: Header=BB6_136 Depth=3
	v_or_b32_e32 v46, 0x7e, v6
; %bb.2781:                             ;   in Loop: Header=BB6_136 Depth=3
	s_or_b64 exec, exec, s[26:27]
                                        ; implicit-def: $vgpr7
.LBB6_2782:                             ;   in Loop: Header=BB6_136 Depth=3
	s_andn2_saveexec_b64 s[26:27], s[94:95]
; %bb.2783:                             ;   in Loop: Header=BB6_136 Depth=3
	v_or_b32_sdwa v46, v7, s86 dst_sel:DWORD dst_unused:UNUSED_PAD src0_sel:BYTE_3 src1_sel:DWORD
; %bb.2784:                             ;   in Loop: Header=BB6_136 Depth=3
	s_or_b64 exec, exec, s[26:27]
	v_cmp_ne_u16_sdwa s[94:95], v10, v51 src0_sel:BYTE_0 src1_sel:DWORD
	v_mov_b32_e32 v6, 0
	s_and_saveexec_b64 s[26:27], s[94:95]
	s_cbranch_execz .LBB6_2790
; %bb.2785:                             ;   in Loop: Header=BB6_136 Depth=3
	v_cmp_ne_u16_sdwa vcc, v10, s96 src0_sel:BYTE_0 src1_sel:DWORD
	v_bfrev_b32_e32 v6, 1
	s_and_saveexec_b64 s[94:95], vcc
	s_cbranch_execz .LBB6_2789
; %bb.2786:                             ;   in Loop: Header=BB6_136 Depth=3
	v_and_b32_e32 v7, 0x7f, v10
	v_cmp_ne_u32_e32 vcc, s86, v7
	v_mov_b32_e32 v6, 0x7f800001
	s_and_saveexec_b64 s[30:31], vcc
	s_cbranch_execz .LBB6_2788
; %bb.2787:                             ;   in Loop: Header=BB6_136 Depth=3
	v_and_b32_e32 v6, 7, v10
	v_ffbh_u32_e32 v6, v6
	v_min_u32_e32 v6, 32, v6
	v_lshrrev_b32_e32 v8, 3, v7
	v_cmp_gt_u32_e32 vcc, 8, v7
	v_subrev_u32_e32 v7, 28, v6
	v_sub_u32_e32 v6, 29, v6
	v_cndmask_b32_e32 v8, v8, v6, vcc
	v_cndmask_b32_e32 v6, 0, v7, vcc
	v_lshlrev_b64 v[6:7], v6, v[10:11]
	v_lshlrev_b32_e32 v7, 24, v10
	v_lshlrev_b32_e32 v6, 20, v6
	v_bfrev_b32_e32 v9, 60
	v_and_b32_e32 v6, 0x700000, v6
	v_and_b32_e32 v7, 0x80000000, v7
	v_lshl_add_u32 v8, v8, 23, v9
	v_or3_b32 v6, v7, v8, v6
.LBB6_2788:                             ;   in Loop: Header=BB6_136 Depth=3
	s_or_b64 exec, exec, s[30:31]
.LBB6_2789:                             ;   in Loop: Header=BB6_136 Depth=3
	s_or_b64 exec, exec, s[94:95]
.LBB6_2790:                             ;   in Loop: Header=BB6_136 Depth=3
	s_or_b64 exec, exec, s[26:27]
	v_mul_f32_e32 v7, v18, v6
	v_and_b32_e32 v8, 0x7f800000, v7
	v_mov_b32_e32 v9, v51
	v_cmp_ne_u64_e32 vcc, s[76:77], v[8:9]
                                        ; implicit-def: $vgpr47
	s_and_saveexec_b64 s[26:27], vcc
	s_xor_b64 s[94:95], exec, s[26:27]
	s_cbranch_execz .LBB6_2804
; %bb.2791:                             ;   in Loop: Header=BB6_136 Depth=3
	v_and_b32_e32 v8, 0x7fffffff, v7
	v_mov_b32_e32 v9, v51
	v_cmp_gt_u64_e32 vcc, s[78:79], v[8:9]
	v_and_b32_sdwa v6, v7, s96 dst_sel:DWORD dst_unused:UNUSED_PAD src0_sel:BYTE_3 src1_sel:DWORD
                                        ; implicit-def: $vgpr47
	s_and_saveexec_b64 s[26:27], vcc
	s_xor_b64 s[30:31], exec, s[26:27]
	s_cbranch_execz .LBB6_2801
; %bb.2792:                             ;   in Loop: Header=BB6_136 Depth=3
	v_mov_b32_e32 v47, 0
	v_cmp_ne_u32_e32 vcc, 0, v7
	s_and_saveexec_b64 s[34:35], vcc
	s_cbranch_execz .LBB6_2800
; %bb.2793:                             ;   in Loop: Header=BB6_136 Depth=3
	v_and_b32_e32 v8, 0x7fffff, v7
	v_bfe_u32 v7, v7, 23, 8
	v_cmp_gt_u32_e64 s[26:27], s97, v7
	v_sub_u32_e32 v9, 0x79, v7
	v_cmp_eq_u32_e32 vcc, 0, v7
	v_cndmask_b32_e64 v9, 0, v9, s[26:27]
	v_mov_b32_e32 v13, 0x78
	v_or_b32_e32 v12, 0x800000, v8
	v_cndmask_b32_e32 v14, v9, v13, vcc
	v_cndmask_b32_e32 v8, v12, v8, vcc
	v_add_u32_e32 v12, 20, v14
	v_lshlrev_b64 v[12:13], v12, -1
	v_mov_b32_e32 v9, v51
	v_add_u32_e32 v15, 19, v14
	v_bfi_b32 v12, v12, 0, v8
	v_lshlrev_b64 v[44:45], v15, 1
	v_lshrrev_b64 v[8:9], v14, v[8:9]
	v_bfi_b32 v13, v13, 0, 0
	v_cmp_eq_u64_e64 s[26:27], v[12:13], v[44:45]
	v_mov_b32_e32 v13, v9
	v_mov_b32_e32 v12, v8
	s_and_saveexec_b64 s[36:37], s[26:27]
; %bb.2794:                             ;   in Loop: Header=BB6_136 Depth=3
	v_bfe_u32 v9, v8, 20, 1
	v_add_co_u32_e64 v9, s[26:27], v8, v9
	v_add_co_u32_e64 v12, s[26:27], -1, v9
; %bb.2795:                             ;   in Loop: Header=BB6_136 Depth=3
	s_or_b64 exec, exec, s[36:37]
	v_add_u32_e32 v7, 0xffffff81, v7
	v_mov_b32_e32 v9, 0xffffff82
	v_cndmask_b32_e32 v7, v7, v9, vcc
	v_lshrrev_b32_e32 v9, 23, v8
	v_add3_u32 v14, v14, v7, v9
	v_add_u32_e32 v13, 6, v14
	v_and_b32_e32 v7, 0xfffff, v12
	v_add_u32_e32 v8, v7, v8
	v_mov_b32_e32 v9, v51
	v_cmp_ne_u32_e32 vcc, 0, v13
                                        ; implicit-def: $vgpr7
	s_and_saveexec_b64 s[26:27], vcc
	s_xor_b64 s[26:27], exec, s[26:27]
; %bb.2796:                             ;   in Loop: Header=BB6_136 Depth=3
	v_cmp_lt_u64_e32 vcc, s[88:89], v[8:9]
	v_add_u32_e32 v7, 7, v14
	v_cndmask_b32_e64 v12, 0, 1, vcc
	v_lshrrev_b64 v[8:9], v12, v[8:9]
	v_cndmask_b32_e32 v7, v13, v7, vcc
; %bb.2797:                             ;   in Loop: Header=BB6_136 Depth=3
	s_andn2_saveexec_b64 s[26:27], s[26:27]
; %bb.2798:                             ;   in Loop: Header=BB6_136 Depth=3
	v_bfe_u32 v7, v8, 23, 1
; %bb.2799:                             ;   in Loop: Header=BB6_136 Depth=3
	s_or_b64 exec, exec, s[26:27]
	v_lshrrev_b64 v[8:9], 20, v[8:9]
	v_cmp_gt_i32_e32 vcc, 16, v7
	v_cndmask_b32_e32 v9, 0, v9, vcc
	v_cndmask_b32_e32 v8, 7, v8, vcc
	v_cmp_eq_u32_e32 vcc, 0, v7
	v_min_i32_e32 v7, 15, v7
	v_cmp_eq_u64_e64 s[26:27], 0, v[8:9]
	v_lshlrev_b32_e32 v7, 3, v7
	v_and_b32_e32 v7, 0xf8, v7
	v_and_or_b32 v7, v8, 7, v7
	s_and_b64 s[26:27], vcc, s[26:27]
	v_cndmask_b32_e64 v7, v7, 0, s[26:27]
	v_or_b32_e32 v47, v7, v6
.LBB6_2800:                             ;   in Loop: Header=BB6_136 Depth=3
	s_or_b64 exec, exec, s[34:35]
                                        ; implicit-def: $vgpr6
.LBB6_2801:                             ;   in Loop: Header=BB6_136 Depth=3
	s_andn2_saveexec_b64 s[26:27], s[30:31]
; %bb.2802:                             ;   in Loop: Header=BB6_136 Depth=3
	v_or_b32_e32 v47, 0x7e, v6
; %bb.2803:                             ;   in Loop: Header=BB6_136 Depth=3
	s_or_b64 exec, exec, s[26:27]
                                        ; implicit-def: $vgpr7
.LBB6_2804:                             ;   in Loop: Header=BB6_136 Depth=3
	s_andn2_saveexec_b64 s[26:27], s[94:95]
; %bb.2805:                             ;   in Loop: Header=BB6_136 Depth=3
	v_or_b32_sdwa v47, v7, s86 dst_sel:DWORD dst_unused:UNUSED_PAD src0_sel:BYTE_3 src1_sel:DWORD
; %bb.2806:                             ;   in Loop: Header=BB6_136 Depth=3
	s_or_b64 exec, exec, s[26:27]
	v_lshrrev_b16_e32 v8, 8, v10
	v_cmp_ne_u16_e32 vcc, 0, v8
	v_mov_b32_e32 v6, 0
	s_and_saveexec_b64 s[26:27], vcc
	s_cbranch_execz .LBB6_2812
; %bb.2807:                             ;   in Loop: Header=BB6_136 Depth=3
	v_cmp_ne_u16_e32 vcc, s96, v8
	v_bfrev_b32_e32 v6, 1
	s_and_saveexec_b64 s[94:95], vcc
	s_cbranch_execz .LBB6_2811
; %bb.2808:                             ;   in Loop: Header=BB6_136 Depth=3
	v_and_b32_e32 v7, 0x7f, v8
	v_cmp_ne_u32_e32 vcc, s86, v7
	v_mov_b32_e32 v6, 0x7f800001
	s_and_saveexec_b64 s[30:31], vcc
	s_cbranch_execz .LBB6_2810
; %bb.2809:                             ;   in Loop: Header=BB6_136 Depth=3
	v_and_b32_e32 v9, 7, v8
	v_ffbh_u32_e32 v6, v9
	v_min_u32_e32 v13, 32, v6
	v_subrev_u32_e32 v6, 28, v13
	v_lshrrev_b32_e32 v12, 3, v7
	v_cmp_gt_u32_e32 vcc, 8, v7
	v_lshlrev_b64 v[6:7], v6, v[8:9]
	v_sub_u32_e32 v7, 29, v13
	v_and_b32_e32 v6, 7, v6
	v_cndmask_b32_e32 v7, v12, v7, vcc
	v_cndmask_b32_e32 v6, v9, v6, vcc
	v_lshlrev_b32_e32 v8, 16, v10
	v_bfrev_b32_e32 v9, 60
	v_lshlrev_b32_e32 v6, 20, v6
	v_and_b32_e32 v8, 0x80000000, v8
	v_lshl_add_u32 v7, v7, 23, v9
	v_or3_b32 v6, v8, v7, v6
.LBB6_2810:                             ;   in Loop: Header=BB6_136 Depth=3
	s_or_b64 exec, exec, s[30:31]
.LBB6_2811:                             ;   in Loop: Header=BB6_136 Depth=3
	s_or_b64 exec, exec, s[94:95]
.LBB6_2812:                             ;   in Loop: Header=BB6_136 Depth=3
	s_or_b64 exec, exec, s[26:27]
	v_mul_f32_e32 v7, v18, v6
	v_and_b32_e32 v8, 0x7f800000, v7
	v_mov_b32_e32 v9, v51
	v_cmp_ne_u64_e32 vcc, s[76:77], v[8:9]
                                        ; implicit-def: $vgpr50
	s_and_saveexec_b64 s[26:27], vcc
	s_xor_b64 s[94:95], exec, s[26:27]
	s_cbranch_execz .LBB6_2826
; %bb.2813:                             ;   in Loop: Header=BB6_136 Depth=3
	v_and_b32_e32 v8, 0x7fffffff, v7
	v_mov_b32_e32 v9, v51
	v_cmp_gt_u64_e32 vcc, s[78:79], v[8:9]
	v_and_b32_sdwa v6, v7, s96 dst_sel:DWORD dst_unused:UNUSED_PAD src0_sel:BYTE_3 src1_sel:DWORD
                                        ; implicit-def: $vgpr50
	s_and_saveexec_b64 s[26:27], vcc
	s_xor_b64 s[30:31], exec, s[26:27]
	s_cbranch_execz .LBB6_2823
; %bb.2814:                             ;   in Loop: Header=BB6_136 Depth=3
	v_mov_b32_e32 v50, 0
	v_cmp_ne_u32_e32 vcc, 0, v7
	s_and_saveexec_b64 s[34:35], vcc
	s_cbranch_execz .LBB6_2822
; %bb.2815:                             ;   in Loop: Header=BB6_136 Depth=3
	v_and_b32_e32 v8, 0x7fffff, v7
	v_bfe_u32 v7, v7, 23, 8
	v_cmp_gt_u32_e64 s[26:27], s97, v7
	v_sub_u32_e32 v9, 0x79, v7
	v_cmp_eq_u32_e32 vcc, 0, v7
	v_cndmask_b32_e64 v9, 0, v9, s[26:27]
	v_mov_b32_e32 v13, 0x78
	v_or_b32_e32 v12, 0x800000, v8
	v_cndmask_b32_e32 v14, v9, v13, vcc
	v_cndmask_b32_e32 v8, v12, v8, vcc
	v_add_u32_e32 v12, 20, v14
	v_lshlrev_b64 v[12:13], v12, -1
	v_mov_b32_e32 v9, v51
	v_add_u32_e32 v15, 19, v14
	v_bfi_b32 v12, v12, 0, v8
	v_lshlrev_b64 v[44:45], v15, 1
	v_lshrrev_b64 v[8:9], v14, v[8:9]
	v_bfi_b32 v13, v13, 0, 0
	v_cmp_eq_u64_e64 s[26:27], v[12:13], v[44:45]
	v_mov_b32_e32 v13, v9
	v_mov_b32_e32 v12, v8
	s_and_saveexec_b64 s[36:37], s[26:27]
; %bb.2816:                             ;   in Loop: Header=BB6_136 Depth=3
	v_bfe_u32 v9, v8, 20, 1
	v_add_co_u32_e64 v9, s[26:27], v8, v9
	v_add_co_u32_e64 v12, s[26:27], -1, v9
; %bb.2817:                             ;   in Loop: Header=BB6_136 Depth=3
	s_or_b64 exec, exec, s[36:37]
	v_add_u32_e32 v7, 0xffffff81, v7
	v_mov_b32_e32 v9, 0xffffff82
	v_cndmask_b32_e32 v7, v7, v9, vcc
	v_lshrrev_b32_e32 v9, 23, v8
	v_add3_u32 v14, v14, v7, v9
	v_add_u32_e32 v13, 6, v14
	v_and_b32_e32 v7, 0xfffff, v12
	v_add_u32_e32 v8, v7, v8
	v_mov_b32_e32 v9, v51
	v_cmp_ne_u32_e32 vcc, 0, v13
                                        ; implicit-def: $vgpr7
	s_and_saveexec_b64 s[26:27], vcc
	s_xor_b64 s[26:27], exec, s[26:27]
; %bb.2818:                             ;   in Loop: Header=BB6_136 Depth=3
	v_cmp_lt_u64_e32 vcc, s[88:89], v[8:9]
	v_add_u32_e32 v7, 7, v14
	v_cndmask_b32_e64 v12, 0, 1, vcc
	v_lshrrev_b64 v[8:9], v12, v[8:9]
	v_cndmask_b32_e32 v7, v13, v7, vcc
; %bb.2819:                             ;   in Loop: Header=BB6_136 Depth=3
	s_andn2_saveexec_b64 s[26:27], s[26:27]
; %bb.2820:                             ;   in Loop: Header=BB6_136 Depth=3
	v_bfe_u32 v7, v8, 23, 1
; %bb.2821:                             ;   in Loop: Header=BB6_136 Depth=3
	s_or_b64 exec, exec, s[26:27]
	v_lshrrev_b64 v[8:9], 20, v[8:9]
	v_cmp_gt_i32_e32 vcc, 16, v7
	v_cndmask_b32_e32 v9, 0, v9, vcc
	v_cndmask_b32_e32 v8, 7, v8, vcc
	v_cmp_eq_u32_e32 vcc, 0, v7
	v_min_i32_e32 v7, 15, v7
	v_cmp_eq_u64_e64 s[26:27], 0, v[8:9]
	v_lshlrev_b32_e32 v7, 3, v7
	v_and_b32_e32 v7, 0xf8, v7
	v_and_or_b32 v7, v8, 7, v7
	s_and_b64 s[26:27], vcc, s[26:27]
	v_cndmask_b32_e64 v7, v7, 0, s[26:27]
	v_or_b32_e32 v50, v7, v6
.LBB6_2822:                             ;   in Loop: Header=BB6_136 Depth=3
	s_or_b64 exec, exec, s[34:35]
                                        ; implicit-def: $vgpr6
.LBB6_2823:                             ;   in Loop: Header=BB6_136 Depth=3
	s_andn2_saveexec_b64 s[26:27], s[30:31]
; %bb.2824:                             ;   in Loop: Header=BB6_136 Depth=3
	v_or_b32_e32 v50, 0x7e, v6
; %bb.2825:                             ;   in Loop: Header=BB6_136 Depth=3
	s_or_b64 exec, exec, s[26:27]
                                        ; implicit-def: $vgpr7
.LBB6_2826:                             ;   in Loop: Header=BB6_136 Depth=3
	s_andn2_saveexec_b64 s[26:27], s[94:95]
; %bb.2827:                             ;   in Loop: Header=BB6_136 Depth=3
	v_or_b32_sdwa v50, v7, s86 dst_sel:DWORD dst_unused:UNUSED_PAD src0_sel:BYTE_3 src1_sel:DWORD
; %bb.2828:                             ;   in Loop: Header=BB6_136 Depth=3
	s_or_b64 exec, exec, s[26:27]
	v_lshrrev_b32_e32 v8, 16, v10
	v_cmp_ne_u16_sdwa s[94:95], v8, v51 src0_sel:BYTE_0 src1_sel:DWORD
	v_mov_b32_e32 v6, 0
	s_and_saveexec_b64 s[26:27], s[94:95]
	s_cbranch_execz .LBB6_2834
; %bb.2829:                             ;   in Loop: Header=BB6_136 Depth=3
	v_cmp_ne_u16_sdwa vcc, v8, s96 src0_sel:BYTE_0 src1_sel:DWORD
	v_bfrev_b32_e32 v6, 1
	s_and_saveexec_b64 s[94:95], vcc
	s_cbranch_execz .LBB6_2833
; %bb.2830:                             ;   in Loop: Header=BB6_136 Depth=3
	v_bfe_u32 v7, v10, 16, 7
	v_cmp_ne_u32_e32 vcc, s86, v7
	v_mov_b32_e32 v6, 0x7f800001
	s_and_saveexec_b64 s[30:31], vcc
	s_cbranch_execz .LBB6_2832
; %bb.2831:                             ;   in Loop: Header=BB6_136 Depth=3
	v_and_b32_e32 v9, 7, v8
	v_ffbh_u32_e32 v6, v9
	v_min_u32_e32 v13, 32, v6
	v_subrev_u32_e32 v6, 28, v13
	v_lshrrev_b32_e32 v12, 3, v7
	v_cmp_gt_u32_e32 vcc, 8, v7
	v_lshlrev_b64 v[6:7], v6, v[8:9]
	v_sub_u32_e32 v7, 29, v13
	v_and_b32_e32 v6, 7, v6
	v_cndmask_b32_e32 v7, v12, v7, vcc
	v_cndmask_b32_e32 v6, v9, v6, vcc
	v_lshlrev_b32_e32 v8, 24, v8
	v_bfrev_b32_e32 v9, 60
	v_lshlrev_b32_e32 v6, 20, v6
	v_and_b32_e32 v8, 0x80000000, v8
	v_lshl_add_u32 v7, v7, 23, v9
	v_or3_b32 v6, v8, v7, v6
.LBB6_2832:                             ;   in Loop: Header=BB6_136 Depth=3
	s_or_b64 exec, exec, s[30:31]
.LBB6_2833:                             ;   in Loop: Header=BB6_136 Depth=3
	s_or_b64 exec, exec, s[94:95]
.LBB6_2834:                             ;   in Loop: Header=BB6_136 Depth=3
	s_or_b64 exec, exec, s[26:27]
	v_mul_f32_e32 v8, v18, v6
	v_and_b32_e32 v6, 0x7f800000, v8
	v_mov_b32_e32 v7, v51
	v_cmp_ne_u64_e32 vcc, s[76:77], v[6:7]
                                        ; implicit-def: $vgpr6
	s_and_saveexec_b64 s[26:27], vcc
	s_xor_b64 s[94:95], exec, s[26:27]
	s_cbranch_execz .LBB6_2848
; %bb.2835:                             ;   in Loop: Header=BB6_136 Depth=3
	v_and_b32_e32 v6, 0x7fffffff, v8
	v_mov_b32_e32 v7, v51
	v_cmp_gt_u64_e32 vcc, s[78:79], v[6:7]
	v_and_b32_sdwa v7, v8, s96 dst_sel:DWORD dst_unused:UNUSED_PAD src0_sel:BYTE_3 src1_sel:DWORD
                                        ; implicit-def: $vgpr6
	s_and_saveexec_b64 s[26:27], vcc
	s_xor_b64 s[30:31], exec, s[26:27]
	s_cbranch_execz .LBB6_2845
; %bb.2836:                             ;   in Loop: Header=BB6_136 Depth=3
	v_mov_b32_e32 v6, 0
	v_cmp_ne_u32_e32 vcc, 0, v8
	s_and_saveexec_b64 s[34:35], vcc
	s_cbranch_execz .LBB6_2844
; %bb.2837:                             ;   in Loop: Header=BB6_136 Depth=3
	v_bfe_u32 v6, v8, 23, 8
	v_and_b32_e32 v9, 0x7fffff, v8
	v_cmp_gt_u32_e64 s[26:27], s97, v6
	v_sub_u32_e32 v8, 0x79, v6
	v_cmp_eq_u32_e32 vcc, 0, v6
	v_cndmask_b32_e64 v8, 0, v8, s[26:27]
	v_mov_b32_e32 v13, 0x78
	v_or_b32_e32 v12, 0x800000, v9
	v_cndmask_b32_e32 v14, v8, v13, vcc
	v_cndmask_b32_e32 v8, v12, v9, vcc
	v_add_u32_e32 v12, 20, v14
	v_lshlrev_b64 v[12:13], v12, -1
	v_mov_b32_e32 v9, v51
	v_add_u32_e32 v15, 19, v14
	v_bfi_b32 v12, v12, 0, v8
	v_lshlrev_b64 v[44:45], v15, 1
	v_lshrrev_b64 v[8:9], v14, v[8:9]
	v_bfi_b32 v13, v13, 0, 0
	v_cmp_eq_u64_e64 s[26:27], v[12:13], v[44:45]
	v_mov_b32_e32 v13, v9
	v_mov_b32_e32 v12, v8
	s_and_saveexec_b64 s[36:37], s[26:27]
; %bb.2838:                             ;   in Loop: Header=BB6_136 Depth=3
	v_bfe_u32 v9, v8, 20, 1
	v_add_co_u32_e64 v9, s[26:27], v8, v9
	v_add_co_u32_e64 v12, s[26:27], -1, v9
; %bb.2839:                             ;   in Loop: Header=BB6_136 Depth=3
	s_or_b64 exec, exec, s[36:37]
	v_add_u32_e32 v6, 0xffffff81, v6
	v_mov_b32_e32 v9, 0xffffff82
	v_cndmask_b32_e32 v6, v6, v9, vcc
	v_lshrrev_b32_e32 v9, 23, v8
	v_add3_u32 v14, v14, v6, v9
	v_add_u32_e32 v13, 6, v14
	v_and_b32_e32 v6, 0xfffff, v12
	v_add_u32_e32 v8, v6, v8
	v_mov_b32_e32 v9, v51
	v_cmp_ne_u32_e32 vcc, 0, v13
                                        ; implicit-def: $vgpr6
	s_and_saveexec_b64 s[26:27], vcc
	s_xor_b64 s[26:27], exec, s[26:27]
; %bb.2840:                             ;   in Loop: Header=BB6_136 Depth=3
	v_cmp_lt_u64_e32 vcc, s[88:89], v[8:9]
	v_add_u32_e32 v6, 7, v14
	v_cndmask_b32_e64 v12, 0, 1, vcc
	v_lshrrev_b64 v[8:9], v12, v[8:9]
	v_cndmask_b32_e32 v6, v13, v6, vcc
; %bb.2841:                             ;   in Loop: Header=BB6_136 Depth=3
	s_andn2_saveexec_b64 s[26:27], s[26:27]
; %bb.2842:                             ;   in Loop: Header=BB6_136 Depth=3
	v_bfe_u32 v6, v8, 23, 1
; %bb.2843:                             ;   in Loop: Header=BB6_136 Depth=3
	s_or_b64 exec, exec, s[26:27]
	v_lshrrev_b64 v[8:9], 20, v[8:9]
	v_cmp_gt_i32_e32 vcc, 16, v6
	v_cndmask_b32_e32 v9, 0, v9, vcc
	v_cndmask_b32_e32 v8, 7, v8, vcc
	v_cmp_eq_u32_e32 vcc, 0, v6
	v_min_i32_e32 v6, 15, v6
	v_cmp_eq_u64_e64 s[26:27], 0, v[8:9]
	v_lshlrev_b32_e32 v6, 3, v6
	v_and_b32_e32 v6, 0xf8, v6
	v_and_or_b32 v6, v8, 7, v6
	s_and_b64 s[26:27], vcc, s[26:27]
	v_cndmask_b32_e64 v6, v6, 0, s[26:27]
	v_or_b32_e32 v6, v6, v7
.LBB6_2844:                             ;   in Loop: Header=BB6_136 Depth=3
	s_or_b64 exec, exec, s[34:35]
                                        ; implicit-def: $vgpr7
.LBB6_2845:                             ;   in Loop: Header=BB6_136 Depth=3
	s_andn2_saveexec_b64 s[26:27], s[30:31]
; %bb.2846:                             ;   in Loop: Header=BB6_136 Depth=3
	v_or_b32_e32 v6, 0x7e, v7
; %bb.2847:                             ;   in Loop: Header=BB6_136 Depth=3
	s_or_b64 exec, exec, s[26:27]
                                        ; implicit-def: $vgpr8
.LBB6_2848:                             ;   in Loop: Header=BB6_136 Depth=3
	s_andn2_saveexec_b64 s[26:27], s[94:95]
; %bb.2849:                             ;   in Loop: Header=BB6_136 Depth=3
	v_or_b32_sdwa v6, v8, s86 dst_sel:DWORD dst_unused:UNUSED_PAD src0_sel:BYTE_3 src1_sel:DWORD
; %bb.2850:                             ;   in Loop: Header=BB6_136 Depth=3
	s_or_b64 exec, exec, s[26:27]
	v_cmp_lt_u32_e32 vcc, s57, v10
	v_mov_b32_e32 v7, 0
	s_and_saveexec_b64 s[26:27], vcc
	s_cbranch_execz .LBB6_2856
; %bb.2851:                             ;   in Loop: Header=BB6_136 Depth=3
	v_lshrrev_b32_e32 v8, 24, v10
	v_cmp_ne_u32_e32 vcc, s96, v8
	v_bfrev_b32_e32 v7, 1
	s_and_saveexec_b64 s[94:95], vcc
	s_cbranch_execz .LBB6_2855
; %bb.2852:                             ;   in Loop: Header=BB6_136 Depth=3
	v_bfe_u32 v9, v10, 24, 7
	v_cmp_ne_u32_e32 vcc, s86, v9
	v_mov_b32_e32 v7, 0x7f800001
	s_and_saveexec_b64 s[30:31], vcc
	s_cbranch_execz .LBB6_2854
; %bb.2853:                             ;   in Loop: Header=BB6_136 Depth=3
	v_and_b32_e32 v7, 7, v8
	v_lshrrev_b32_e32 v14, 3, v9
	v_cmp_gt_u32_e32 vcc, 8, v9
	v_ffbh_u32_e32 v9, v7
	v_min_u32_e32 v9, 32, v9
	v_subrev_u32_e32 v12, 28, v9
	v_lshlrev_b64 v[12:13], v12, v[8:9]
	v_sub_u32_e32 v9, 29, v9
	v_and_b32_e32 v12, 7, v12
	v_cndmask_b32_e32 v9, v14, v9, vcc
	v_cndmask_b32_e32 v7, v7, v12, vcc
	v_lshlrev_b32_e32 v8, 24, v8
	v_bfrev_b32_e32 v12, 60
	v_lshlrev_b32_e32 v7, 20, v7
	v_and_b32_e32 v8, 0x80000000, v8
	v_lshl_add_u32 v9, v9, 23, v12
	v_or3_b32 v7, v8, v9, v7
.LBB6_2854:                             ;   in Loop: Header=BB6_136 Depth=3
	s_or_b64 exec, exec, s[30:31]
.LBB6_2855:                             ;   in Loop: Header=BB6_136 Depth=3
	s_or_b64 exec, exec, s[94:95]
.LBB6_2856:                             ;   in Loop: Header=BB6_136 Depth=3
	s_or_b64 exec, exec, s[26:27]
	v_mul_f32_e32 v8, v18, v7
	v_and_b32_e32 v12, 0x7f800000, v8
	v_mov_b32_e32 v13, v51
	v_cmp_ne_u64_e32 vcc, s[76:77], v[12:13]
                                        ; implicit-def: $vgpr24
	s_and_saveexec_b64 s[26:27], vcc
	s_xor_b64 s[94:95], exec, s[26:27]
	s_cbranch_execz .LBB6_2870
; %bb.2857:                             ;   in Loop: Header=BB6_136 Depth=3
	v_and_b32_e32 v12, 0x7fffffff, v8
	v_mov_b32_e32 v13, v51
	v_cmp_gt_u64_e32 vcc, s[78:79], v[12:13]
	v_and_b32_sdwa v7, v8, s96 dst_sel:DWORD dst_unused:UNUSED_PAD src0_sel:BYTE_3 src1_sel:DWORD
                                        ; implicit-def: $vgpr24
	s_and_saveexec_b64 s[26:27], vcc
	s_xor_b64 s[30:31], exec, s[26:27]
	s_cbranch_execz .LBB6_2867
; %bb.2858:                             ;   in Loop: Header=BB6_136 Depth=3
	v_mov_b32_e32 v24, 0
	v_cmp_ne_u32_e32 vcc, 0, v8
	s_and_saveexec_b64 s[34:35], vcc
	s_cbranch_execz .LBB6_2866
; %bb.2859:                             ;   in Loop: Header=BB6_136 Depth=3
	v_bfe_u32 v14, v8, 23, 8
	v_and_b32_e32 v9, 0x7fffff, v8
	v_cmp_gt_u32_e64 s[26:27], s97, v14
	v_sub_u32_e32 v8, 0x79, v14
	v_cmp_eq_u32_e32 vcc, 0, v14
	v_cndmask_b32_e64 v8, 0, v8, s[26:27]
	v_mov_b32_e32 v13, 0x78
	v_or_b32_e32 v12, 0x800000, v9
	v_cndmask_b32_e32 v15, v8, v13, vcc
	v_cndmask_b32_e32 v8, v12, v9, vcc
	v_add_u32_e32 v12, 20, v15
	v_lshlrev_b64 v[12:13], v12, -1
	v_mov_b32_e32 v9, v51
	v_add_u32_e32 v24, 19, v15
	v_bfi_b32 v12, v12, 0, v8
	v_lshlrev_b64 v[44:45], v24, 1
	v_lshrrev_b64 v[8:9], v15, v[8:9]
	v_bfi_b32 v13, v13, 0, 0
	v_cmp_eq_u64_e64 s[26:27], v[12:13], v[44:45]
	v_mov_b32_e32 v13, v9
	v_mov_b32_e32 v12, v8
	s_and_saveexec_b64 s[36:37], s[26:27]
; %bb.2860:                             ;   in Loop: Header=BB6_136 Depth=3
	v_bfe_u32 v9, v8, 20, 1
	v_add_co_u32_e64 v9, s[26:27], v8, v9
	v_add_co_u32_e64 v12, s[26:27], -1, v9
; %bb.2861:                             ;   in Loop: Header=BB6_136 Depth=3
	s_or_b64 exec, exec, s[36:37]
	v_add_u32_e32 v9, 0xffffff81, v14
	v_mov_b32_e32 v13, 0xffffff82
	v_cndmask_b32_e32 v9, v9, v13, vcc
	v_lshrrev_b32_e32 v13, 23, v8
	v_add3_u32 v14, v15, v9, v13
	v_add_u32_e32 v13, 6, v14
	v_and_b32_e32 v9, 0xfffff, v12
	v_add_u32_e32 v8, v9, v8
	v_mov_b32_e32 v9, v51
	v_cmp_ne_u32_e32 vcc, 0, v13
                                        ; implicit-def: $vgpr12
	s_and_saveexec_b64 s[26:27], vcc
	s_xor_b64 s[26:27], exec, s[26:27]
; %bb.2862:                             ;   in Loop: Header=BB6_136 Depth=3
	v_cmp_lt_u64_e32 vcc, s[88:89], v[8:9]
	v_add_u32_e32 v12, 7, v14
	v_cndmask_b32_e32 v12, v13, v12, vcc
	v_cndmask_b32_e64 v13, 0, 1, vcc
	v_lshrrev_b64 v[8:9], v13, v[8:9]
; %bb.2863:                             ;   in Loop: Header=BB6_136 Depth=3
	s_andn2_saveexec_b64 s[26:27], s[26:27]
; %bb.2864:                             ;   in Loop: Header=BB6_136 Depth=3
	v_bfe_u32 v12, v8, 23, 1
; %bb.2865:                             ;   in Loop: Header=BB6_136 Depth=3
	s_or_b64 exec, exec, s[26:27]
	v_lshrrev_b64 v[8:9], 20, v[8:9]
	v_cmp_gt_i32_e32 vcc, 16, v12
	v_cndmask_b32_e32 v9, 0, v9, vcc
	v_cndmask_b32_e32 v8, 7, v8, vcc
	v_cmp_eq_u64_e64 s[26:27], 0, v[8:9]
	v_min_i32_e32 v9, 15, v12
	v_lshlrev_b32_e32 v9, 3, v9
	v_cmp_eq_u32_e32 vcc, 0, v12
	v_and_b32_e32 v9, 0xf8, v9
	v_and_or_b32 v8, v8, 7, v9
	s_and_b64 s[26:27], vcc, s[26:27]
	v_cndmask_b32_e64 v8, v8, 0, s[26:27]
	v_or_b32_e32 v24, v8, v7
.LBB6_2866:                             ;   in Loop: Header=BB6_136 Depth=3
	s_or_b64 exec, exec, s[34:35]
                                        ; implicit-def: $vgpr7
.LBB6_2867:                             ;   in Loop: Header=BB6_136 Depth=3
	s_andn2_saveexec_b64 s[26:27], s[30:31]
; %bb.2868:                             ;   in Loop: Header=BB6_136 Depth=3
	v_or_b32_e32 v24, 0x7e, v7
; %bb.2869:                             ;   in Loop: Header=BB6_136 Depth=3
	s_or_b64 exec, exec, s[26:27]
                                        ; implicit-def: $vgpr8
.LBB6_2870:                             ;   in Loop: Header=BB6_136 Depth=3
	s_andn2_saveexec_b64 s[26:27], s[94:95]
; %bb.2871:                             ;   in Loop: Header=BB6_136 Depth=3
	v_or_b32_sdwa v24, v8, s86 dst_sel:DWORD dst_unused:UNUSED_PAD src0_sel:BYTE_3 src1_sel:DWORD
; %bb.2872:                             ;   in Loop: Header=BB6_136 Depth=3
	s_or_b64 exec, exec, s[26:27]
	v_mov_b32_e32 v8, v11
	v_mov_b32_e32 v9, v51
	v_cmp_ne_u16_sdwa s[94:95], v11, v51 src0_sel:BYTE_0 src1_sel:DWORD
	v_mov_b32_e32 v7, 0
	s_and_saveexec_b64 s[26:27], s[94:95]
	s_cbranch_execz .LBB6_2878
; %bb.2873:                             ;   in Loop: Header=BB6_136 Depth=3
	v_cmp_ne_u16_sdwa vcc, v11, s96 src0_sel:BYTE_0 src1_sel:DWORD
	v_bfrev_b32_e32 v7, 1
	s_and_saveexec_b64 s[94:95], vcc
	s_cbranch_execz .LBB6_2877
; %bb.2874:                             ;   in Loop: Header=BB6_136 Depth=3
	v_and_b32_e32 v12, 0x7f, v11
	v_cmp_ne_u32_e32 vcc, s86, v12
	v_mov_b32_e32 v7, 0x7f800001
	s_and_saveexec_b64 s[30:31], vcc
	s_cbranch_execz .LBB6_2876
; %bb.2875:                             ;   in Loop: Header=BB6_136 Depth=3
	v_and_b32_e32 v7, 7, v11
	v_ffbh_u32_e32 v7, v7
	v_min_u32_e32 v7, 32, v7
	v_lshrrev_b32_e32 v13, 3, v12
	v_cmp_gt_u32_e32 vcc, 8, v12
	v_subrev_u32_e32 v12, 28, v7
	v_sub_u32_e32 v7, 29, v7
	v_cndmask_b32_e32 v12, 0, v12, vcc
	v_cndmask_b32_e32 v7, v13, v7, vcc
	v_lshlrev_b64 v[12:13], v12, v[8:9]
	v_bfrev_b32_e32 v13, 60
	v_lshlrev_b32_e32 v9, 20, v12
	v_lshlrev_b32_e32 v12, 24, v8
	v_and_b32_e32 v9, 0x700000, v9
	v_and_b32_e32 v12, 0x80000000, v12
	v_lshl_add_u32 v7, v7, 23, v13
	v_or3_b32 v7, v12, v7, v9
.LBB6_2876:                             ;   in Loop: Header=BB6_136 Depth=3
	s_or_b64 exec, exec, s[30:31]
.LBB6_2877:                             ;   in Loop: Header=BB6_136 Depth=3
	s_or_b64 exec, exec, s[94:95]
.LBB6_2878:                             ;   in Loop: Header=BB6_136 Depth=3
	s_or_b64 exec, exec, s[26:27]
	v_mul_f32_e32 v12, v18, v7
	v_and_b32_e32 v13, 0x7f800000, v12
	v_mov_b32_e32 v14, v51
	v_cmp_ne_u64_e32 vcc, s[76:77], v[13:14]
                                        ; implicit-def: $vgpr7
	s_and_saveexec_b64 s[26:27], vcc
	s_xor_b64 s[94:95], exec, s[26:27]
	s_cbranch_execz .LBB6_2892
; %bb.2879:                             ;   in Loop: Header=BB6_136 Depth=3
	v_and_b32_e32 v13, 0x7fffffff, v12
	v_mov_b32_e32 v14, v51
	v_cmp_gt_u64_e32 vcc, s[78:79], v[13:14]
	v_and_b32_sdwa v9, v12, s96 dst_sel:DWORD dst_unused:UNUSED_PAD src0_sel:BYTE_3 src1_sel:DWORD
                                        ; implicit-def: $vgpr7
	s_and_saveexec_b64 s[26:27], vcc
	s_xor_b64 s[30:31], exec, s[26:27]
	s_cbranch_execz .LBB6_2889
; %bb.2880:                             ;   in Loop: Header=BB6_136 Depth=3
	v_mov_b32_e32 v7, 0
	v_cmp_ne_u32_e32 vcc, 0, v12
	s_and_saveexec_b64 s[34:35], vcc
	s_cbranch_execz .LBB6_2888
; %bb.2881:                             ;   in Loop: Header=BB6_136 Depth=3
	v_bfe_u32 v7, v12, 23, 8
	v_and_b32_e32 v13, 0x7fffff, v12
	v_cmp_gt_u32_e64 s[26:27], s97, v7
	v_sub_u32_e32 v12, 0x79, v7
	v_cmp_eq_u32_e32 vcc, 0, v7
	v_cndmask_b32_e64 v12, 0, v12, s[26:27]
	v_mov_b32_e32 v15, 0x78
	v_or_b32_e32 v14, 0x800000, v13
	v_cndmask_b32_e32 v15, v12, v15, vcc
	v_cndmask_b32_e32 v12, v14, v13, vcc
	v_add_u32_e32 v14, 20, v15
	v_lshlrev_b64 v[44:45], v14, -1
	v_mov_b32_e32 v13, v51
	v_add_u32_e32 v14, 19, v15
	v_mov_b32_e32 v31, v53
	v_bfi_b32 v44, v44, 0, v12
	v_lshlrev_b64 v[52:53], v14, 1
	v_lshrrev_b64 v[12:13], v15, v[12:13]
	v_bfi_b32 v45, v45, 0, 0
	v_cmp_eq_u64_e64 s[26:27], v[44:45], v[52:53]
	v_mov_b32_e32 v14, v13
	v_mov_b32_e32 v13, v12
	s_and_saveexec_b64 s[36:37], s[26:27]
; %bb.2882:                             ;   in Loop: Header=BB6_136 Depth=3
	v_bfe_u32 v13, v12, 20, 1
	v_add_co_u32_e64 v13, s[26:27], v12, v13
	v_add_co_u32_e64 v13, s[26:27], -1, v13
; %bb.2883:                             ;   in Loop: Header=BB6_136 Depth=3
	s_or_b64 exec, exec, s[36:37]
	v_add_u32_e32 v7, 0xffffff81, v7
	v_mov_b32_e32 v14, 0xffffff82
	v_cndmask_b32_e32 v7, v7, v14, vcc
	v_lshrrev_b32_e32 v14, 23, v12
	v_add3_u32 v15, v15, v7, v14
	v_add_u32_e32 v14, 6, v15
	v_and_b32_e32 v7, 0xfffff, v13
	v_add_u32_e32 v12, v7, v12
	v_mov_b32_e32 v13, v51
	v_cmp_ne_u32_e32 vcc, 0, v14
                                        ; implicit-def: $vgpr7
	s_and_saveexec_b64 s[26:27], vcc
	s_xor_b64 s[26:27], exec, s[26:27]
; %bb.2884:                             ;   in Loop: Header=BB6_136 Depth=3
	v_cmp_lt_u64_e32 vcc, s[88:89], v[12:13]
	v_add_u32_e32 v7, 7, v15
	v_cndmask_b32_e32 v7, v14, v7, vcc
	v_cndmask_b32_e64 v14, 0, 1, vcc
	v_lshrrev_b64 v[12:13], v14, v[12:13]
; %bb.2885:                             ;   in Loop: Header=BB6_136 Depth=3
	s_or_saveexec_b64 s[26:27], s[26:27]
	v_mov_b32_e32 v53, v31
	s_xor_b64 exec, exec, s[26:27]
; %bb.2886:                             ;   in Loop: Header=BB6_136 Depth=3
	v_bfe_u32 v7, v12, 23, 1
; %bb.2887:                             ;   in Loop: Header=BB6_136 Depth=3
	s_or_b64 exec, exec, s[26:27]
	v_lshrrev_b64 v[12:13], 20, v[12:13]
	v_cmp_gt_i32_e32 vcc, 16, v7
	v_cndmask_b32_e32 v13, 0, v13, vcc
	v_cndmask_b32_e32 v12, 7, v12, vcc
	v_cmp_eq_u32_e32 vcc, 0, v7
	v_min_i32_e32 v7, 15, v7
	v_cmp_eq_u64_e64 s[26:27], 0, v[12:13]
	v_lshlrev_b32_e32 v7, 3, v7
	v_and_b32_e32 v7, 0xf8, v7
	v_and_or_b32 v7, v12, 7, v7
	s_and_b64 s[26:27], vcc, s[26:27]
	v_cndmask_b32_e64 v7, v7, 0, s[26:27]
	v_or_b32_e32 v7, v7, v9
.LBB6_2888:                             ;   in Loop: Header=BB6_136 Depth=3
	s_or_b64 exec, exec, s[34:35]
                                        ; implicit-def: $vgpr9
.LBB6_2889:                             ;   in Loop: Header=BB6_136 Depth=3
	s_andn2_saveexec_b64 s[26:27], s[30:31]
; %bb.2890:                             ;   in Loop: Header=BB6_136 Depth=3
	v_or_b32_e32 v7, 0x7e, v9
; %bb.2891:                             ;   in Loop: Header=BB6_136 Depth=3
	s_or_b64 exec, exec, s[26:27]
                                        ; implicit-def: $vgpr12
.LBB6_2892:                             ;   in Loop: Header=BB6_136 Depth=3
	s_andn2_saveexec_b64 s[26:27], s[94:95]
; %bb.2893:                             ;   in Loop: Header=BB6_136 Depth=3
	v_or_b32_sdwa v7, v12, s86 dst_sel:DWORD dst_unused:UNUSED_PAD src0_sel:BYTE_3 src1_sel:DWORD
; %bb.2894:                             ;   in Loop: Header=BB6_136 Depth=3
	s_or_b64 exec, exec, s[26:27]
	v_lshrrev_b16_e32 v9, 8, v8
	v_cmp_ne_u16_e32 vcc, 0, v9
	v_mov_b32_e32 v12, 0
	s_and_saveexec_b64 s[26:27], vcc
	s_cbranch_execz .LBB6_2900
; %bb.2895:                             ;   in Loop: Header=BB6_136 Depth=3
	v_cmp_ne_u16_e32 vcc, s96, v9
	v_bfrev_b32_e32 v12, 1
	s_and_saveexec_b64 s[94:95], vcc
	s_cbranch_execz .LBB6_2899
; %bb.2896:                             ;   in Loop: Header=BB6_136 Depth=3
	v_and_b32_e32 v13, 0x7f, v9
	v_cmp_ne_u32_e32 vcc, s86, v13
	v_mov_b32_e32 v12, 0x7f800001
	s_and_saveexec_b64 s[30:31], vcc
	s_cbranch_execz .LBB6_2898
; %bb.2897:                             ;   in Loop: Header=BB6_136 Depth=3
	v_and_b32_e32 v14, 7, v9
	v_ffbh_u32_e32 v12, v14
	v_min_u32_e32 v31, 32, v12
	v_subrev_u32_e32 v12, 28, v31
	v_lshrrev_b32_e32 v15, 3, v13
	v_cmp_gt_u32_e32 vcc, 8, v13
	v_lshlrev_b64 v[12:13], v12, v[9:10]
	v_sub_u32_e32 v9, 29, v31
	v_and_b32_e32 v12, 7, v12
	v_cndmask_b32_e32 v9, v15, v9, vcc
	v_cndmask_b32_e32 v12, v14, v12, vcc
	v_lshlrev_b32_e32 v8, 16, v8
	v_bfrev_b32_e32 v13, 60
	v_lshlrev_b32_e32 v12, 20, v12
	v_and_b32_e32 v8, 0x80000000, v8
	v_lshl_add_u32 v9, v9, 23, v13
	v_or3_b32 v12, v8, v9, v12
.LBB6_2898:                             ;   in Loop: Header=BB6_136 Depth=3
	s_or_b64 exec, exec, s[30:31]
.LBB6_2899:                             ;   in Loop: Header=BB6_136 Depth=3
	s_or_b64 exec, exec, s[94:95]
.LBB6_2900:                             ;   in Loop: Header=BB6_136 Depth=3
	s_or_b64 exec, exec, s[26:27]
	v_mul_f32_e32 v8, v18, v12
	v_and_b32_e32 v12, 0x7f800000, v8
	v_mov_b32_e32 v13, v51
	v_cmp_ne_u64_e32 vcc, s[76:77], v[12:13]
                                        ; implicit-def: $vgpr31
	s_and_saveexec_b64 s[26:27], vcc
	s_xor_b64 s[94:95], exec, s[26:27]
	s_cbranch_execz .LBB6_2914
; %bb.2901:                             ;   in Loop: Header=BB6_136 Depth=3
	v_and_b32_e32 v12, 0x7fffffff, v8
	v_mov_b32_e32 v13, v51
	v_cmp_gt_u64_e32 vcc, s[78:79], v[12:13]
	v_and_b32_sdwa v14, v8, s96 dst_sel:DWORD dst_unused:UNUSED_PAD src0_sel:BYTE_3 src1_sel:DWORD
                                        ; implicit-def: $vgpr31
	s_and_saveexec_b64 s[26:27], vcc
	s_xor_b64 s[30:31], exec, s[26:27]
	s_cbranch_execz .LBB6_2911
; %bb.2902:                             ;   in Loop: Header=BB6_136 Depth=3
	v_mov_b32_e32 v31, 0
	v_cmp_ne_u32_e32 vcc, 0, v8
	s_and_saveexec_b64 s[34:35], vcc
	s_cbranch_execz .LBB6_2910
; %bb.2903:                             ;   in Loop: Header=BB6_136 Depth=3
	v_bfe_u32 v15, v8, 23, 8
	v_and_b32_e32 v9, 0x7fffff, v8
	v_cmp_gt_u32_e64 s[26:27], s97, v15
	v_sub_u32_e32 v8, 0x79, v15
	v_cmp_eq_u32_e32 vcc, 0, v15
	v_cndmask_b32_e64 v8, 0, v8, s[26:27]
	v_mov_b32_e32 v13, 0x78
	v_or_b32_e32 v12, 0x800000, v9
	v_cndmask_b32_e32 v31, v8, v13, vcc
	v_cndmask_b32_e32 v8, v12, v9, vcc
	v_add_u32_e32 v12, 20, v31
	v_lshlrev_b64 v[12:13], v12, -1
	v_mov_b32_e32 v9, v51
	v_add_u32_e32 v52, 19, v31
	v_mov_b32_e32 v44, v53
	v_bfi_b32 v12, v12, 0, v8
	v_lshlrev_b64 v[52:53], v52, 1
	v_lshrrev_b64 v[8:9], v31, v[8:9]
	v_bfi_b32 v13, v13, 0, 0
	v_cmp_eq_u64_e64 s[26:27], v[12:13], v[52:53]
	v_mov_b32_e32 v13, v9
	v_mov_b32_e32 v12, v8
	s_and_saveexec_b64 s[36:37], s[26:27]
; %bb.2904:                             ;   in Loop: Header=BB6_136 Depth=3
	v_bfe_u32 v9, v8, 20, 1
	v_add_co_u32_e64 v9, s[26:27], v8, v9
	v_add_co_u32_e64 v12, s[26:27], -1, v9
; %bb.2905:                             ;   in Loop: Header=BB6_136 Depth=3
	s_or_b64 exec, exec, s[36:37]
	v_add_u32_e32 v9, 0xffffff81, v15
	v_mov_b32_e32 v13, 0xffffff82
	v_cndmask_b32_e32 v9, v9, v13, vcc
	v_lshrrev_b32_e32 v13, 23, v8
	v_add3_u32 v15, v31, v9, v13
	v_add_u32_e32 v13, 6, v15
	v_and_b32_e32 v9, 0xfffff, v12
	v_add_u32_e32 v8, v9, v8
	v_mov_b32_e32 v9, v51
	v_cmp_ne_u32_e32 vcc, 0, v13
                                        ; implicit-def: $vgpr12
	s_and_saveexec_b64 s[26:27], vcc
	s_xor_b64 s[26:27], exec, s[26:27]
; %bb.2906:                             ;   in Loop: Header=BB6_136 Depth=3
	v_cmp_lt_u64_e32 vcc, s[88:89], v[8:9]
	v_add_u32_e32 v12, 7, v15
	v_cndmask_b32_e32 v12, v13, v12, vcc
	v_cndmask_b32_e64 v13, 0, 1, vcc
	v_lshrrev_b64 v[8:9], v13, v[8:9]
; %bb.2907:                             ;   in Loop: Header=BB6_136 Depth=3
	s_or_saveexec_b64 s[26:27], s[26:27]
	v_mov_b32_e32 v53, v44
	s_xor_b64 exec, exec, s[26:27]
; %bb.2908:                             ;   in Loop: Header=BB6_136 Depth=3
	v_bfe_u32 v12, v8, 23, 1
; %bb.2909:                             ;   in Loop: Header=BB6_136 Depth=3
	s_or_b64 exec, exec, s[26:27]
	v_lshrrev_b64 v[8:9], 20, v[8:9]
	v_cmp_gt_i32_e32 vcc, 16, v12
	v_cndmask_b32_e32 v9, 0, v9, vcc
	v_cndmask_b32_e32 v8, 7, v8, vcc
	v_cmp_eq_u64_e64 s[26:27], 0, v[8:9]
	v_min_i32_e32 v9, 15, v12
	v_lshlrev_b32_e32 v9, 3, v9
	v_cmp_eq_u32_e32 vcc, 0, v12
	v_and_b32_e32 v9, 0xf8, v9
	v_and_or_b32 v8, v8, 7, v9
	s_and_b64 s[26:27], vcc, s[26:27]
	v_cndmask_b32_e64 v8, v8, 0, s[26:27]
	v_or_b32_e32 v31, v8, v14
.LBB6_2910:                             ;   in Loop: Header=BB6_136 Depth=3
	s_or_b64 exec, exec, s[34:35]
                                        ; implicit-def: $vgpr14
.LBB6_2911:                             ;   in Loop: Header=BB6_136 Depth=3
	s_andn2_saveexec_b64 s[26:27], s[30:31]
; %bb.2912:                             ;   in Loop: Header=BB6_136 Depth=3
	v_or_b32_e32 v31, 0x7e, v14
; %bb.2913:                             ;   in Loop: Header=BB6_136 Depth=3
	s_or_b64 exec, exec, s[26:27]
                                        ; implicit-def: $vgpr8
.LBB6_2914:                             ;   in Loop: Header=BB6_136 Depth=3
	s_andn2_saveexec_b64 s[26:27], s[94:95]
; %bb.2915:                             ;   in Loop: Header=BB6_136 Depth=3
	v_or_b32_sdwa v31, v8, s86 dst_sel:DWORD dst_unused:UNUSED_PAD src0_sel:BYTE_3 src1_sel:DWORD
; %bb.2916:                             ;   in Loop: Header=BB6_136 Depth=3
	s_or_b64 exec, exec, s[26:27]
	v_lshrrev_b32_e32 v8, 16, v11
	v_cmp_ne_u16_sdwa s[94:95], v8, v51 src0_sel:BYTE_0 src1_sel:DWORD
	v_mov_b32_e32 v9, 0
	s_and_saveexec_b64 s[26:27], s[94:95]
	s_cbranch_execz .LBB6_2922
; %bb.2917:                             ;   in Loop: Header=BB6_136 Depth=3
	v_cmp_ne_u16_sdwa vcc, v8, s96 src0_sel:BYTE_0 src1_sel:DWORD
	v_bfrev_b32_e32 v9, 1
	s_and_saveexec_b64 s[94:95], vcc
	s_cbranch_execz .LBB6_2921
; %bb.2918:                             ;   in Loop: Header=BB6_136 Depth=3
	v_bfe_u32 v12, v11, 16, 7
	v_cmp_ne_u32_e32 vcc, s86, v12
	v_mov_b32_e32 v9, 0x7f800001
	s_and_saveexec_b64 s[30:31], vcc
	s_cbranch_execz .LBB6_2920
; %bb.2919:                             ;   in Loop: Header=BB6_136 Depth=3
	v_and_b32_e32 v9, 7, v8
	v_lshrrev_b32_e32 v14, 3, v12
	v_cmp_gt_u32_e32 vcc, 8, v12
	v_ffbh_u32_e32 v12, v9
	v_min_u32_e32 v15, 32, v12
	v_subrev_u32_e32 v12, 28, v15
	v_lshlrev_b64 v[12:13], v12, v[8:9]
	v_sub_u32_e32 v13, 29, v15
	v_and_b32_e32 v12, 7, v12
	v_cndmask_b32_e32 v13, v14, v13, vcc
	v_cndmask_b32_e32 v9, v9, v12, vcc
	v_lshlrev_b32_e32 v8, 24, v8
	v_bfrev_b32_e32 v12, 60
	v_lshlrev_b32_e32 v9, 20, v9
	v_and_b32_e32 v8, 0x80000000, v8
	v_lshl_add_u32 v12, v13, 23, v12
	v_or3_b32 v9, v8, v12, v9
.LBB6_2920:                             ;   in Loop: Header=BB6_136 Depth=3
	s_or_b64 exec, exec, s[30:31]
.LBB6_2921:                             ;   in Loop: Header=BB6_136 Depth=3
	s_or_b64 exec, exec, s[94:95]
.LBB6_2922:                             ;   in Loop: Header=BB6_136 Depth=3
	s_or_b64 exec, exec, s[26:27]
	v_mul_f32_e32 v8, v18, v9
	v_and_b32_e32 v12, 0x7f800000, v8
	v_mov_b32_e32 v13, v51
	v_cmp_ne_u64_e32 vcc, s[76:77], v[12:13]
                                        ; implicit-def: $vgpr52
	s_and_saveexec_b64 s[26:27], vcc
	s_xor_b64 s[94:95], exec, s[26:27]
	s_cbranch_execz .LBB6_2936
; %bb.2923:                             ;   in Loop: Header=BB6_136 Depth=3
	v_and_b32_e32 v12, 0x7fffffff, v8
	v_mov_b32_e32 v13, v51
	v_cmp_gt_u64_e32 vcc, s[78:79], v[12:13]
	v_and_b32_sdwa v14, v8, s96 dst_sel:DWORD dst_unused:UNUSED_PAD src0_sel:BYTE_3 src1_sel:DWORD
                                        ; implicit-def: $vgpr52
	s_and_saveexec_b64 s[26:27], vcc
	s_xor_b64 s[30:31], exec, s[26:27]
	s_cbranch_execz .LBB6_2933
; %bb.2924:                             ;   in Loop: Header=BB6_136 Depth=3
	v_mov_b32_e32 v52, 0
	v_cmp_ne_u32_e32 vcc, 0, v8
	s_and_saveexec_b64 s[34:35], vcc
	s_cbranch_execz .LBB6_2932
; %bb.2925:                             ;   in Loop: Header=BB6_136 Depth=3
	v_bfe_u32 v15, v8, 23, 8
	v_and_b32_e32 v9, 0x7fffff, v8
	v_cmp_gt_u32_e64 s[26:27], s97, v15
	v_sub_u32_e32 v8, 0x79, v15
	v_cmp_eq_u32_e32 vcc, 0, v15
	v_cndmask_b32_e64 v8, 0, v8, s[26:27]
	v_mov_b32_e32 v13, 0x78
	v_or_b32_e32 v12, 0x800000, v9
	v_cndmask_b32_e32 v52, v8, v13, vcc
	v_cndmask_b32_e32 v8, v12, v9, vcc
	v_add_u32_e32 v12, 20, v52
	v_lshlrev_b64 v[12:13], v12, -1
	v_mov_b32_e32 v4, v53
	v_mov_b32_e32 v9, v51
	v_add_u32_e32 v53, 19, v52
	v_bfi_b32 v12, v12, 0, v8
	v_lshlrev_b64 v[44:45], v53, 1
	v_lshrrev_b64 v[8:9], v52, v[8:9]
	v_bfi_b32 v13, v13, 0, 0
	v_cmp_eq_u64_e64 s[26:27], v[12:13], v[44:45]
	v_mov_b32_e32 v13, v9
	v_mov_b32_e32 v12, v8
	s_and_saveexec_b64 s[36:37], s[26:27]
; %bb.2926:                             ;   in Loop: Header=BB6_136 Depth=3
	v_bfe_u32 v9, v8, 20, 1
	v_add_co_u32_e64 v9, s[26:27], v8, v9
	v_add_co_u32_e64 v12, s[26:27], -1, v9
; %bb.2927:                             ;   in Loop: Header=BB6_136 Depth=3
	s_or_b64 exec, exec, s[36:37]
	v_add_u32_e32 v9, 0xffffff81, v15
	v_mov_b32_e32 v13, 0xffffff82
	v_cndmask_b32_e32 v9, v9, v13, vcc
	v_lshrrev_b32_e32 v13, 23, v8
	v_add3_u32 v15, v52, v9, v13
	v_add_u32_e32 v13, 6, v15
	v_and_b32_e32 v9, 0xfffff, v12
	v_add_u32_e32 v8, v9, v8
	v_mov_b32_e32 v9, v51
	v_cmp_ne_u32_e32 vcc, 0, v13
                                        ; implicit-def: $vgpr12
	s_and_saveexec_b64 s[26:27], vcc
	s_xor_b64 s[26:27], exec, s[26:27]
; %bb.2928:                             ;   in Loop: Header=BB6_136 Depth=3
	v_cmp_lt_u64_e32 vcc, s[88:89], v[8:9]
	v_add_u32_e32 v12, 7, v15
	v_cndmask_b32_e32 v12, v13, v12, vcc
	v_cndmask_b32_e64 v13, 0, 1, vcc
	v_lshrrev_b64 v[8:9], v13, v[8:9]
; %bb.2929:                             ;   in Loop: Header=BB6_136 Depth=3
	s_or_saveexec_b64 s[26:27], s[26:27]
	v_mov_b32_e32 v53, v4
	s_xor_b64 exec, exec, s[26:27]
; %bb.2930:                             ;   in Loop: Header=BB6_136 Depth=3
	v_bfe_u32 v12, v8, 23, 1
; %bb.2931:                             ;   in Loop: Header=BB6_136 Depth=3
	s_or_b64 exec, exec, s[26:27]
	v_lshrrev_b64 v[8:9], 20, v[8:9]
	v_cmp_gt_i32_e32 vcc, 16, v12
	v_cndmask_b32_e32 v9, 0, v9, vcc
	v_cndmask_b32_e32 v8, 7, v8, vcc
	v_cmp_eq_u64_e64 s[26:27], 0, v[8:9]
	v_min_i32_e32 v9, 15, v12
	v_lshlrev_b32_e32 v9, 3, v9
	v_cmp_eq_u32_e32 vcc, 0, v12
	v_and_b32_e32 v9, 0xf8, v9
	v_and_or_b32 v8, v8, 7, v9
	s_and_b64 s[26:27], vcc, s[26:27]
	v_cndmask_b32_e64 v8, v8, 0, s[26:27]
	v_or_b32_e32 v52, v8, v14
.LBB6_2932:                             ;   in Loop: Header=BB6_136 Depth=3
	s_or_b64 exec, exec, s[34:35]
                                        ; implicit-def: $vgpr14
.LBB6_2933:                             ;   in Loop: Header=BB6_136 Depth=3
	s_andn2_saveexec_b64 s[26:27], s[30:31]
; %bb.2934:                             ;   in Loop: Header=BB6_136 Depth=3
	v_or_b32_e32 v52, 0x7e, v14
; %bb.2935:                             ;   in Loop: Header=BB6_136 Depth=3
	s_or_b64 exec, exec, s[26:27]
                                        ; implicit-def: $vgpr8
.LBB6_2936:                             ;   in Loop: Header=BB6_136 Depth=3
	s_andn2_saveexec_b64 s[26:27], s[94:95]
; %bb.2937:                             ;   in Loop: Header=BB6_136 Depth=3
	v_or_b32_sdwa v52, v8, s86 dst_sel:DWORD dst_unused:UNUSED_PAD src0_sel:BYTE_3 src1_sel:DWORD
; %bb.2938:                             ;   in Loop: Header=BB6_136 Depth=3
	s_or_b64 exec, exec, s[26:27]
	v_cmp_lt_u64_e32 vcc, s[56:57], v[10:11]
	v_mov_b32_e32 v9, 0
	s_and_saveexec_b64 s[26:27], vcc
	s_cbranch_execz .LBB6_2944
; %bb.2939:                             ;   in Loop: Header=BB6_136 Depth=3
	v_lshrrev_b32_e32 v8, 24, v11
	v_cmp_ne_u32_e32 vcc, s96, v8
	v_bfrev_b32_e32 v9, 1
	s_and_saveexec_b64 s[94:95], vcc
	s_cbranch_execz .LBB6_2943
; %bb.2940:                             ;   in Loop: Header=BB6_136 Depth=3
	v_bfe_u32 v10, v11, 24, 7
	v_cmp_ne_u32_e32 vcc, s86, v10
	v_mov_b32_e32 v9, 0x7f800001
	s_and_saveexec_b64 s[30:31], vcc
	s_cbranch_execz .LBB6_2942
; %bb.2941:                             ;   in Loop: Header=BB6_136 Depth=3
	v_and_b32_e32 v11, 7, v8
	v_ffbh_u32_e32 v9, v11
	v_min_u32_e32 v13, 32, v9
	v_subrev_u32_e32 v9, 28, v13
	v_lshrrev_b32_e32 v12, 3, v10
	v_cmp_gt_u32_e32 vcc, 8, v10
	v_lshlrev_b64 v[9:10], v9, v[8:9]
	v_sub_u32_e32 v10, 29, v13
	v_and_b32_e32 v9, 7, v9
	v_cndmask_b32_e32 v10, v12, v10, vcc
	v_cndmask_b32_e32 v9, v11, v9, vcc
	v_lshlrev_b32_e32 v8, 24, v8
	v_bfrev_b32_e32 v11, 60
	v_lshlrev_b32_e32 v9, 20, v9
	v_and_b32_e32 v8, 0x80000000, v8
	v_lshl_add_u32 v10, v10, 23, v11
	v_or3_b32 v9, v8, v10, v9
.LBB6_2942:                             ;   in Loop: Header=BB6_136 Depth=3
	s_or_b64 exec, exec, s[30:31]
.LBB6_2943:                             ;   in Loop: Header=BB6_136 Depth=3
	s_or_b64 exec, exec, s[94:95]
.LBB6_2944:                             ;   in Loop: Header=BB6_136 Depth=3
	s_or_b64 exec, exec, s[26:27]
	v_mul_f32_e32 v8, v18, v9
	v_and_b32_e32 v9, 0x7f800000, v8
	v_mov_b32_e32 v10, v51
	v_cmp_ne_u64_e32 vcc, s[76:77], v[9:10]
                                        ; implicit-def: $vgpr44
	s_and_saveexec_b64 s[26:27], vcc
	s_xor_b64 s[94:95], exec, s[26:27]
	s_cbranch_execz .LBB6_2958
; %bb.2945:                             ;   in Loop: Header=BB6_136 Depth=3
	v_and_b32_e32 v9, 0x7fffffff, v8
	v_mov_b32_e32 v10, v51
	v_cmp_gt_u64_e32 vcc, s[78:79], v[9:10]
	v_and_b32_sdwa v11, v8, s96 dst_sel:DWORD dst_unused:UNUSED_PAD src0_sel:BYTE_3 src1_sel:DWORD
                                        ; implicit-def: $vgpr44
	s_and_saveexec_b64 s[26:27], vcc
	s_xor_b64 s[30:31], exec, s[26:27]
	s_cbranch_execz .LBB6_2955
; %bb.2946:                             ;   in Loop: Header=BB6_136 Depth=3
	v_mov_b32_e32 v44, 0
	v_cmp_ne_u32_e32 vcc, 0, v8
	s_and_saveexec_b64 s[34:35], vcc
	s_cbranch_execz .LBB6_2954
; %bb.2947:                             ;   in Loop: Header=BB6_136 Depth=3
	v_bfe_u32 v12, v8, 23, 8
	v_and_b32_e32 v9, 0x7fffff, v8
	v_cmp_gt_u32_e64 s[26:27], s97, v12
	v_sub_u32_e32 v8, 0x79, v12
	v_cmp_eq_u32_e32 vcc, 0, v12
	v_cndmask_b32_e64 v8, 0, v8, s[26:27]
	v_mov_b32_e32 v13, 0x78
	v_or_b32_e32 v10, 0x800000, v9
	v_cndmask_b32_e32 v13, v8, v13, vcc
	v_cndmask_b32_e32 v8, v10, v9, vcc
	v_add_u32_e32 v10, 20, v13
	v_lshlrev_b64 v[14:15], v10, -1
	v_mov_b32_e32 v9, v51
	v_add_u32_e32 v10, 19, v13
	v_bfi_b32 v14, v14, 0, v8
	v_lshlrev_b64 v[44:45], v10, 1
	v_lshrrev_b64 v[8:9], v13, v[8:9]
	v_bfi_b32 v15, v15, 0, 0
	v_cmp_eq_u64_e64 s[26:27], v[14:15], v[44:45]
	v_mov_b32_e32 v10, v9
	v_mov_b32_e32 v9, v8
	s_and_saveexec_b64 s[36:37], s[26:27]
; %bb.2948:                             ;   in Loop: Header=BB6_136 Depth=3
	v_bfe_u32 v9, v8, 20, 1
	v_add_co_u32_e64 v9, s[26:27], v8, v9
	v_add_co_u32_e64 v9, s[26:27], -1, v9
; %bb.2949:                             ;   in Loop: Header=BB6_136 Depth=3
	s_or_b64 exec, exec, s[36:37]
	v_add_u32_e32 v10, 0xffffff81, v12
	v_mov_b32_e32 v12, 0xffffff82
	v_cndmask_b32_e32 v10, v10, v12, vcc
	v_lshrrev_b32_e32 v12, 23, v8
	v_add3_u32 v13, v13, v10, v12
	v_add_u32_e32 v12, 6, v13
	v_and_b32_e32 v9, 0xfffff, v9
	v_add_u32_e32 v8, v9, v8
	v_mov_b32_e32 v9, v51
	v_cmp_ne_u32_e32 vcc, 0, v12
                                        ; implicit-def: $vgpr10
	s_and_saveexec_b64 s[26:27], vcc
	s_xor_b64 s[26:27], exec, s[26:27]
; %bb.2950:                             ;   in Loop: Header=BB6_136 Depth=3
	v_cmp_lt_u64_e32 vcc, s[88:89], v[8:9]
	v_add_u32_e32 v10, 7, v13
	v_cndmask_b32_e32 v10, v12, v10, vcc
	v_cndmask_b32_e64 v12, 0, 1, vcc
	v_lshrrev_b64 v[8:9], v12, v[8:9]
; %bb.2951:                             ;   in Loop: Header=BB6_136 Depth=3
	s_andn2_saveexec_b64 s[26:27], s[26:27]
; %bb.2952:                             ;   in Loop: Header=BB6_136 Depth=3
	v_bfe_u32 v10, v8, 23, 1
; %bb.2953:                             ;   in Loop: Header=BB6_136 Depth=3
	s_or_b64 exec, exec, s[26:27]
	v_lshrrev_b64 v[8:9], 20, v[8:9]
	v_cmp_gt_i32_e32 vcc, 16, v10
	v_cndmask_b32_e32 v9, 0, v9, vcc
	v_cndmask_b32_e32 v8, 7, v8, vcc
	v_cmp_eq_u64_e64 s[26:27], 0, v[8:9]
	v_min_i32_e32 v9, 15, v10
	v_lshlrev_b32_e32 v9, 3, v9
	v_cmp_eq_u32_e32 vcc, 0, v10
	v_and_b32_e32 v9, 0xf8, v9
	v_and_or_b32 v8, v8, 7, v9
	s_and_b64 s[26:27], vcc, s[26:27]
	v_cndmask_b32_e64 v8, v8, 0, s[26:27]
	v_or_b32_e32 v44, v8, v11
.LBB6_2954:                             ;   in Loop: Header=BB6_136 Depth=3
	s_or_b64 exec, exec, s[34:35]
                                        ; implicit-def: $vgpr11
.LBB6_2955:                             ;   in Loop: Header=BB6_136 Depth=3
	s_andn2_saveexec_b64 s[26:27], s[30:31]
; %bb.2956:                             ;   in Loop: Header=BB6_136 Depth=3
	v_or_b32_e32 v44, 0x7e, v11
; %bb.2957:                             ;   in Loop: Header=BB6_136 Depth=3
	s_or_b64 exec, exec, s[26:27]
                                        ; implicit-def: $vgpr8
.LBB6_2958:                             ;   in Loop: Header=BB6_136 Depth=3
	s_andn2_saveexec_b64 s[26:27], s[94:95]
	s_cbranch_execz .LBB6_135
; %bb.2959:                             ;   in Loop: Header=BB6_136 Depth=3
	v_or_b32_sdwa v44, v8, s86 dst_sel:DWORD dst_unused:UNUSED_PAD src0_sel:BYTE_3 src1_sel:DWORD
	s_branch .LBB6_135
.LBB6_2960:                             ;   in Loop: Header=BB6_57 Depth=2
	s_or_b64 exec, exec, s[92:93]
	buffer_load_dword v1, off, s[0:3], s33 offset:632 ; 4-byte Folded Reload
.LBB6_2961:                             ;   in Loop: Header=BB6_57 Depth=2
	s_or_b64 exec, exec, s[28:29]
	buffer_load_dword v0, off, s[0:3], s33 offset:604 ; 4-byte Folded Reload
	s_waitcnt vmcnt(1)
	v_lshlrev_b32_e32 v3, 13, v1
	s_mov_b64 s[26:27], 0
                                        ; implicit-def: $vgpr1
                                        ; implicit-def: $vgpr2
	s_waitcnt vmcnt(0)
	v_cmp_ne_u32_e32 vcc, v0, v3
	v_mov_b32_e32 v0, 0
	s_and_saveexec_b64 s[92:93], vcc
	s_cbranch_execz .LBB6_3327
; %bb.2962:                             ;   in Loop: Header=BB6_57 Depth=2
	buffer_load_dword v0, off, s[0:3], s33 offset:604 ; 4-byte Folded Reload
	buffer_load_dword v2, off, s[0:3], s33 offset:580 ; 4-byte Folded Reload
	s_waitcnt vmcnt(1)
	v_sub_u32_e32 v1, v0, v3
	v_lshlrev_b32_e32 v0, 6, v60
	s_waitcnt vmcnt(0)
	v_sub_u32_e32 v0, v2, v0
	v_ashrrev_i32_e32 v2, 31, v0
	v_lshrrev_b32_e32 v2, 26, v2
	v_add_u32_e32 v2, v0, v2
	v_ashrrev_i32_e32 v4, 6, v2
	v_and_b32_e32 v2, 0xffffffc0, v2
	v_sub_u32_e32 v2, v0, v2
	v_lshlrev_b32_e32 v0, 4, v2
	v_lshl_add_u32 v6, v4, 10, v0
	v_ashrrev_i32_e32 v0, 31, v1
	v_lshrrev_b32_e32 v0, 22, v0
	v_add_u32_e32 v0, v1, v0
	v_ashrrev_i32_e32 v7, 10, v0
	v_and_b32_e32 v0, 0xfffffc00, v0
	v_sub_u32_e32 v5, v1, v6
	v_sub_u32_e32 v1, v1, v0
	v_cmp_lt_i32_e64 s[26:27], 15, v1
	v_addc_co_u32_e64 v7, vcc, 0, v7, s[26:27]
	v_sub_u32_e32 v4, v7, v4
	v_cmp_lt_i32_e32 vcc, 15, v5
	s_and_saveexec_b64 s[94:95], vcc
	s_cbranch_execz .LBB6_3326
; %bb.2963:                             ;   in Loop: Header=BB6_57 Depth=2
	s_trap 2
	ds_read_b64 v[8:9], v0
	v_add_u32_e32 v6, v6, v3
	v_ashrrev_i32_e32 v7, 31, v6
	s_mov_b64 s[30:31], 0
	s_waitcnt lgkmcnt(0)
	v_readfirstlane_b32 s28, v8
	s_and_b32 s29, s28, 7
	s_flbit_i32_b32 s29, s29
	s_min_u32 s29, s29, 32
	s_and_b32 s45, s28, 0x7f
	s_bfe_u32 vcc_lo, s28, 0x40003
	s_sub_i32 vcc_hi, s29, 28
	s_sub_i32 s29, 29, s29
	s_cmp_lt_u32 s45, 8
	s_cselect_b32 vcc_hi, vcc_hi, 0
	s_cselect_b32 s29, s29, vcc_lo
	v_lshlrev_b64 v[8:9], vcc_hi, v[8:9]
	s_lshl_b32 vcc_lo, s28, 24
	s_lshl_b32 s29, s29, 23
	s_and_b32 vcc_lo, vcc_lo, 0x80000000
	s_add_i32 s29, s29, 0x3c000000
	v_lshlrev_b32_e32 v8, 20, v8
	s_or_b32 s29, vcc_lo, s29
	v_and_b32_e32 v8, 0x700000, v8
	s_cmpk_lg_i32 s45, 0x7f
	v_or_b32_e32 v8, s29, v8
	s_cselect_b64 vcc, -1, 0
	v_mov_b32_e32 v9, 0x7f800001
	v_cndmask_b32_e32 v16, v9, v8, vcc
	s_and_b32 s45, s28, 0xff
	s_branch .LBB6_2965
.LBB6_2964:                             ;   in Loop: Header=BB6_2965 Depth=3
	s_or_b64 exec, exec, s[28:29]
	v_lshl_or_b32 v9, v22, 8, v15
	v_lshlrev_b32_e32 v10, 16, v23
	v_lshlrev_b32_e32 v11, 24, v24
	v_or3_b32 v10, v9, v10, v11
	v_lshl_or_b32 v9, v19, 8, v18
	v_lshlrev_b32_e32 v11, 16, v20
	v_lshlrev_b32_e32 v13, 24, v21
	v_or3_b32 v9, v9, v11, v13
	v_lshl_or_b32 v11, v26, 8, v25
	v_lshlrev_b32_e32 v13, 16, v27
	v_lshlrev_b32_e32 v15, 24, v28
	v_add_co_u32_e32 v30, vcc, v58, v6
	v_or3_b32 v11, v11, v13, v15
	v_lshlrev_b32_e32 v8, 24, v8
	v_lshlrev_b32_e32 v12, 16, v12
	v_lshl_or_b32 v13, v29, 8, v14
	v_addc_co_u32_e32 v31, vcc, v59, v7, vcc
	v_or3_b32 v12, v13, v12, v8
	global_store_dwordx4 v[30:31], v[9:12], off glc slc
	buffer_load_dword v9, off, s[0:3], s33 offset:356 ; 4-byte Folded Reload
	s_nop 0
	buffer_load_dword v8, off, s[0:3], s33 offset:92 ; 4-byte Folded Reload
	s_waitcnt vmcnt(1)
	v_sub_u32_e32 v5, v5, v9
	v_cmp_gt_i32_e32 vcc, 16, v5
	s_or_b64 s[30:31], vcc, s[30:31]
	v_add_co_u32_e32 v6, vcc, v6, v9
	s_waitcnt vmcnt(0)
	v_sub_u32_e32 v4, v4, v8
	v_addc_co_u32_e32 v7, vcc, 0, v7, vcc
	s_andn2_b64 exec, exec, s[30:31]
	s_cbranch_execz .LBB6_3325
.LBB6_2965:                             ;   Parent Loop BB6_47 Depth=1
                                        ;     Parent Loop BB6_57 Depth=2
                                        ; =>    This Inner Loop Header: Depth=3
	s_cmpk_lt_i32 s45, 0x80
	s_cbranch_scc1 .LBB6_2969
; %bb.2966:                             ;   in Loop: Header=BB6_2965 Depth=3
	s_and_b32 vcc_lo, 0xffff, s45
	s_mov_b64 s[28:29], -1
	s_cmpk_eq_i32 vcc_lo, 0x80
	s_cbranch_scc0 .LBB6_2968
; %bb.2967:                             ;   in Loop: Header=BB6_2965 Depth=3
	s_mov_b64 s[28:29], 0
.LBB6_2968:                             ;   in Loop: Header=BB6_2965 Depth=3
	s_brev_b32 s34, 1
	s_branch .LBB6_2971
.LBB6_2969:                             ;   in Loop: Header=BB6_2965 Depth=3
	s_mov_b64 s[28:29], 0
	s_brev_b32 s34, 1
	s_cbranch_execz .LBB6_2971
; %bb.2970:                             ;   in Loop: Header=BB6_2965 Depth=3
	s_and_b32 s28, 0xffff, s45
	s_cmp_lg_u32 s28, 0
	s_mov_b32 s34, 0
	s_cselect_b64 s[28:29], -1, 0
.LBB6_2971:                             ;   in Loop: Header=BB6_2965 Depth=3
	s_andn2_b64 vcc, exec, s[28:29]
	v_mov_b32_e32 v17, s34
	s_cbranch_vccnz .LBB6_2973
; %bb.2972:                             ;   in Loop: Header=BB6_2965 Depth=3
	v_mov_b32_e32 v17, v16
.LBB6_2973:                             ;   in Loop: Header=BB6_2965 Depth=3
	v_add_co_u32_e32 v8, vcc, v56, v6
	v_addc_co_u32_e32 v9, vcc, v57, v7, vcc
	global_load_dwordx4 v[8:11], v[8:9], off glc slc
	v_mov_b32_e32 v12, 0
	s_waitcnt vmcnt(0)
	v_cmp_ne_u16_sdwa vcc, v8, v51 src0_sel:BYTE_0 src1_sel:DWORD
	s_and_saveexec_b64 s[28:29], vcc
	s_cbranch_execz .LBB6_2979
; %bb.2974:                             ;   in Loop: Header=BB6_2965 Depth=3
	v_cmp_ne_u16_sdwa vcc, v8, s96 src0_sel:BYTE_0 src1_sel:DWORD
	v_bfrev_b32_e32 v12, 1
	s_and_saveexec_b64 s[34:35], vcc
	s_cbranch_execz .LBB6_2978
; %bb.2975:                             ;   in Loop: Header=BB6_2965 Depth=3
	v_and_b32_e32 v13, 0x7f, v8
	v_cmp_ne_u32_e32 vcc, s86, v13
	v_mov_b32_e32 v12, 0x7f800001
	s_and_saveexec_b64 s[36:37], vcc
	s_cbranch_execz .LBB6_2977
; %bb.2976:                             ;   in Loop: Header=BB6_2965 Depth=3
	v_and_b32_e32 v12, 7, v8
	v_ffbh_u32_e32 v12, v12
	v_min_u32_e32 v12, 32, v12
	v_lshrrev_b32_e32 v14, 3, v13
	v_cmp_gt_u32_e32 vcc, 8, v13
	v_subrev_u32_e32 v13, 28, v12
	v_sub_u32_e32 v12, 29, v12
	v_cndmask_b32_e32 v14, v14, v12, vcc
	v_cndmask_b32_e32 v12, 0, v13, vcc
	v_lshlrev_b64 v[12:13], v12, v[8:9]
	v_lshlrev_b32_e32 v13, 24, v8
	v_lshlrev_b32_e32 v12, 20, v12
	v_bfrev_b32_e32 v15, 60
	v_and_b32_e32 v12, 0x700000, v12
	v_and_b32_e32 v13, 0x80000000, v13
	v_lshl_add_u32 v14, v14, 23, v15
	v_or3_b32 v12, v13, v14, v12
.LBB6_2977:                             ;   in Loop: Header=BB6_2965 Depth=3
	s_or_b64 exec, exec, s[36:37]
.LBB6_2978:                             ;   in Loop: Header=BB6_2965 Depth=3
	s_or_b64 exec, exec, s[34:35]
.LBB6_2979:                             ;   in Loop: Header=BB6_2965 Depth=3
	s_or_b64 exec, exec, s[28:29]
	v_mul_f32_e32 v12, v17, v12
	v_and_b32_e32 v13, 0x7f800000, v12
	v_mov_b32_e32 v14, v51
	v_cmp_ne_u64_e32 vcc, s[76:77], v[13:14]
                                        ; implicit-def: $vgpr18
	s_and_saveexec_b64 s[28:29], vcc
	s_xor_b64 s[34:35], exec, s[28:29]
	s_cbranch_execz .LBB6_2993
; %bb.2980:                             ;   in Loop: Header=BB6_2965 Depth=3
	v_and_b32_e32 v13, 0x7fffffff, v12
	v_mov_b32_e32 v14, v51
	v_cmp_gt_u64_e32 vcc, s[78:79], v[13:14]
	v_and_b32_sdwa v15, v12, s96 dst_sel:DWORD dst_unused:UNUSED_PAD src0_sel:BYTE_3 src1_sel:DWORD
                                        ; implicit-def: $vgpr18
	s_and_saveexec_b64 s[28:29], vcc
	s_xor_b64 s[36:37], exec, s[28:29]
	s_cbranch_execz .LBB6_2990
; %bb.2981:                             ;   in Loop: Header=BB6_2965 Depth=3
	v_mov_b32_e32 v18, 0
	v_cmp_ne_u32_e32 vcc, 0, v12
	s_and_saveexec_b64 s[38:39], vcc
	s_cbranch_execz .LBB6_2989
; %bb.2982:                             ;   in Loop: Header=BB6_2965 Depth=3
	v_bfe_u32 v18, v12, 23, 8
	v_and_b32_e32 v13, 0x7fffff, v12
	v_cmp_gt_u32_e64 s[28:29], s97, v18
	v_sub_u32_e32 v12, 0x79, v18
	v_cmp_eq_u32_e32 vcc, 0, v18
	v_cndmask_b32_e64 v12, 0, v12, s[28:29]
	v_mov_b32_e32 v19, 0x78
	v_or_b32_e32 v14, 0x800000, v13
	v_cndmask_b32_e32 v19, v12, v19, vcc
	v_cndmask_b32_e32 v12, v14, v13, vcc
	v_add_u32_e32 v14, 20, v19
	v_lshlrev_b64 v[20:21], v14, -1
	v_mov_b32_e32 v13, v51
	v_add_u32_e32 v14, 19, v19
	v_bfi_b32 v20, v20, 0, v12
	v_lshlrev_b64 v[22:23], v14, 1
	v_lshrrev_b64 v[12:13], v19, v[12:13]
	v_bfi_b32 v21, v21, 0, 0
	v_cmp_eq_u64_e64 s[28:29], v[20:21], v[22:23]
	v_mov_b32_e32 v14, v13
	v_mov_b32_e32 v13, v12
	s_and_saveexec_b64 s[48:49], s[28:29]
; %bb.2983:                             ;   in Loop: Header=BB6_2965 Depth=3
	v_bfe_u32 v13, v12, 20, 1
	v_add_co_u32_e64 v13, s[28:29], v12, v13
	v_add_co_u32_e64 v13, s[28:29], -1, v13
; %bb.2984:                             ;   in Loop: Header=BB6_2965 Depth=3
	s_or_b64 exec, exec, s[48:49]
	v_add_u32_e32 v14, 0xffffff81, v18
	v_mov_b32_e32 v18, 0xffffff82
	v_cndmask_b32_e32 v14, v14, v18, vcc
	v_lshrrev_b32_e32 v18, 23, v12
	v_add3_u32 v19, v19, v14, v18
	v_add_u32_e32 v18, 6, v19
	v_and_b32_e32 v13, 0xfffff, v13
	v_add_u32_e32 v12, v13, v12
	v_mov_b32_e32 v13, v51
	v_cmp_ne_u32_e32 vcc, 0, v18
                                        ; implicit-def: $vgpr14
	s_and_saveexec_b64 s[28:29], vcc
	s_xor_b64 s[28:29], exec, s[28:29]
; %bb.2985:                             ;   in Loop: Header=BB6_2965 Depth=3
	v_cmp_lt_u64_e32 vcc, s[88:89], v[12:13]
	v_add_u32_e32 v14, 7, v19
	v_cndmask_b32_e32 v14, v18, v14, vcc
	v_cndmask_b32_e64 v18, 0, 1, vcc
	v_lshrrev_b64 v[12:13], v18, v[12:13]
; %bb.2986:                             ;   in Loop: Header=BB6_2965 Depth=3
	s_andn2_saveexec_b64 s[28:29], s[28:29]
; %bb.2987:                             ;   in Loop: Header=BB6_2965 Depth=3
	v_bfe_u32 v14, v12, 23, 1
; %bb.2988:                             ;   in Loop: Header=BB6_2965 Depth=3
	s_or_b64 exec, exec, s[28:29]
	v_lshrrev_b64 v[12:13], 20, v[12:13]
	v_cmp_gt_i32_e32 vcc, 16, v14
	v_cndmask_b32_e32 v13, 0, v13, vcc
	v_cndmask_b32_e32 v12, 7, v12, vcc
	v_cmp_eq_u64_e64 s[28:29], 0, v[12:13]
	v_min_i32_e32 v13, 15, v14
	v_lshlrev_b32_e32 v13, 3, v13
	v_cmp_eq_u32_e32 vcc, 0, v14
	v_and_b32_e32 v13, 0xf8, v13
	v_and_or_b32 v12, v12, 7, v13
	s_and_b64 s[28:29], vcc, s[28:29]
	v_cndmask_b32_e64 v12, v12, 0, s[28:29]
	v_or_b32_e32 v18, v12, v15
.LBB6_2989:                             ;   in Loop: Header=BB6_2965 Depth=3
	s_or_b64 exec, exec, s[38:39]
                                        ; implicit-def: $vgpr15
.LBB6_2990:                             ;   in Loop: Header=BB6_2965 Depth=3
	s_andn2_saveexec_b64 s[28:29], s[36:37]
; %bb.2991:                             ;   in Loop: Header=BB6_2965 Depth=3
	v_or_b32_e32 v18, 0x7e, v15
; %bb.2992:                             ;   in Loop: Header=BB6_2965 Depth=3
	s_or_b64 exec, exec, s[28:29]
                                        ; implicit-def: $vgpr12
.LBB6_2993:                             ;   in Loop: Header=BB6_2965 Depth=3
	s_andn2_saveexec_b64 s[28:29], s[34:35]
; %bb.2994:                             ;   in Loop: Header=BB6_2965 Depth=3
	v_or_b32_sdwa v18, v12, s86 dst_sel:DWORD dst_unused:UNUSED_PAD src0_sel:BYTE_3 src1_sel:DWORD
; %bb.2995:                             ;   in Loop: Header=BB6_2965 Depth=3
	s_or_b64 exec, exec, s[28:29]
	v_lshrrev_b16_e32 v12, 8, v8
	v_cmp_ne_u16_e32 vcc, 0, v12
	v_mov_b32_e32 v13, 0
	s_and_saveexec_b64 s[28:29], vcc
	s_cbranch_execz .LBB6_3001
; %bb.2996:                             ;   in Loop: Header=BB6_2965 Depth=3
	v_cmp_ne_u16_e32 vcc, s96, v12
	v_bfrev_b32_e32 v13, 1
	s_and_saveexec_b64 s[34:35], vcc
	s_cbranch_execz .LBB6_3000
; %bb.2997:                             ;   in Loop: Header=BB6_2965 Depth=3
	v_and_b32_e32 v14, 0x7f, v12
	v_cmp_ne_u32_e32 vcc, s86, v14
	v_mov_b32_e32 v13, 0x7f800001
	s_and_saveexec_b64 s[36:37], vcc
	s_cbranch_execz .LBB6_2999
; %bb.2998:                             ;   in Loop: Header=BB6_2965 Depth=3
	v_and_b32_e32 v15, 7, v12
	v_ffbh_u32_e32 v13, v15
	v_lshrrev_b32_e32 v19, 3, v14
	v_cmp_gt_u32_e32 vcc, 8, v14
	v_min_u32_e32 v14, 32, v13
	v_subrev_u32_e32 v13, 28, v14
	v_lshlrev_b64 v[12:13], v13, v[12:13]
	v_sub_u32_e32 v13, 29, v14
	v_and_b32_e32 v12, 7, v12
	v_cndmask_b32_e32 v13, v19, v13, vcc
	v_cndmask_b32_e32 v12, v15, v12, vcc
	v_lshlrev_b32_e32 v14, 16, v8
	v_bfrev_b32_e32 v15, 60
	v_lshlrev_b32_e32 v12, 20, v12
	v_and_b32_e32 v14, 0x80000000, v14
	v_lshl_add_u32 v13, v13, 23, v15
	v_or3_b32 v13, v14, v13, v12
.LBB6_2999:                             ;   in Loop: Header=BB6_2965 Depth=3
	s_or_b64 exec, exec, s[36:37]
.LBB6_3000:                             ;   in Loop: Header=BB6_2965 Depth=3
	s_or_b64 exec, exec, s[34:35]
.LBB6_3001:                             ;   in Loop: Header=BB6_2965 Depth=3
	s_or_b64 exec, exec, s[28:29]
	v_mul_f32_e32 v12, v17, v13
	v_and_b32_e32 v13, 0x7f800000, v12
	v_mov_b32_e32 v14, v51
	v_cmp_ne_u64_e32 vcc, s[76:77], v[13:14]
                                        ; implicit-def: $vgpr19
	s_and_saveexec_b64 s[28:29], vcc
	s_xor_b64 s[34:35], exec, s[28:29]
	s_cbranch_execz .LBB6_3015
; %bb.3002:                             ;   in Loop: Header=BB6_2965 Depth=3
	v_and_b32_e32 v13, 0x7fffffff, v12
	v_mov_b32_e32 v14, v51
	v_cmp_gt_u64_e32 vcc, s[78:79], v[13:14]
	v_and_b32_sdwa v15, v12, s96 dst_sel:DWORD dst_unused:UNUSED_PAD src0_sel:BYTE_3 src1_sel:DWORD
                                        ; implicit-def: $vgpr19
	s_and_saveexec_b64 s[28:29], vcc
	s_xor_b64 s[36:37], exec, s[28:29]
	s_cbranch_execz .LBB6_3012
; %bb.3003:                             ;   in Loop: Header=BB6_2965 Depth=3
	v_mov_b32_e32 v19, 0
	v_cmp_ne_u32_e32 vcc, 0, v12
	s_and_saveexec_b64 s[38:39], vcc
	s_cbranch_execz .LBB6_3011
; %bb.3004:                             ;   in Loop: Header=BB6_2965 Depth=3
	v_bfe_u32 v19, v12, 23, 8
	v_and_b32_e32 v13, 0x7fffff, v12
	v_cmp_gt_u32_e64 s[28:29], s97, v19
	v_sub_u32_e32 v12, 0x79, v19
	v_cmp_eq_u32_e32 vcc, 0, v19
	v_cndmask_b32_e64 v12, 0, v12, s[28:29]
	v_mov_b32_e32 v20, 0x78
	v_or_b32_e32 v14, 0x800000, v13
	v_cndmask_b32_e32 v20, v12, v20, vcc
	v_cndmask_b32_e32 v12, v14, v13, vcc
	v_add_u32_e32 v14, 20, v20
	v_lshlrev_b64 v[21:22], v14, -1
	v_mov_b32_e32 v13, v51
	v_add_u32_e32 v14, 19, v20
	v_bfi_b32 v21, v21, 0, v12
	v_lshlrev_b64 v[23:24], v14, 1
	v_lshrrev_b64 v[12:13], v20, v[12:13]
	v_bfi_b32 v22, v22, 0, 0
	v_cmp_eq_u64_e64 s[28:29], v[21:22], v[23:24]
	v_mov_b32_e32 v14, v13
	v_mov_b32_e32 v13, v12
	s_and_saveexec_b64 s[48:49], s[28:29]
; %bb.3005:                             ;   in Loop: Header=BB6_2965 Depth=3
	v_bfe_u32 v13, v12, 20, 1
	v_add_co_u32_e64 v13, s[28:29], v12, v13
	v_add_co_u32_e64 v13, s[28:29], -1, v13
; %bb.3006:                             ;   in Loop: Header=BB6_2965 Depth=3
	s_or_b64 exec, exec, s[48:49]
	v_add_u32_e32 v14, 0xffffff81, v19
	v_mov_b32_e32 v19, 0xffffff82
	v_cndmask_b32_e32 v14, v14, v19, vcc
	v_lshrrev_b32_e32 v19, 23, v12
	v_add3_u32 v20, v20, v14, v19
	v_add_u32_e32 v19, 6, v20
	v_and_b32_e32 v13, 0xfffff, v13
	v_add_u32_e32 v12, v13, v12
	v_mov_b32_e32 v13, v51
	v_cmp_ne_u32_e32 vcc, 0, v19
                                        ; implicit-def: $vgpr14
	s_and_saveexec_b64 s[28:29], vcc
	s_xor_b64 s[28:29], exec, s[28:29]
; %bb.3007:                             ;   in Loop: Header=BB6_2965 Depth=3
	v_cmp_lt_u64_e32 vcc, s[88:89], v[12:13]
	v_add_u32_e32 v14, 7, v20
	v_cndmask_b32_e32 v14, v19, v14, vcc
	v_cndmask_b32_e64 v19, 0, 1, vcc
	v_lshrrev_b64 v[12:13], v19, v[12:13]
; %bb.3008:                             ;   in Loop: Header=BB6_2965 Depth=3
	s_andn2_saveexec_b64 s[28:29], s[28:29]
; %bb.3009:                             ;   in Loop: Header=BB6_2965 Depth=3
	v_bfe_u32 v14, v12, 23, 1
; %bb.3010:                             ;   in Loop: Header=BB6_2965 Depth=3
	s_or_b64 exec, exec, s[28:29]
	v_lshrrev_b64 v[12:13], 20, v[12:13]
	v_cmp_gt_i32_e32 vcc, 16, v14
	v_cndmask_b32_e32 v13, 0, v13, vcc
	v_cndmask_b32_e32 v12, 7, v12, vcc
	v_cmp_eq_u64_e64 s[28:29], 0, v[12:13]
	v_min_i32_e32 v13, 15, v14
	v_lshlrev_b32_e32 v13, 3, v13
	v_cmp_eq_u32_e32 vcc, 0, v14
	v_and_b32_e32 v13, 0xf8, v13
	v_and_or_b32 v12, v12, 7, v13
	s_and_b64 s[28:29], vcc, s[28:29]
	v_cndmask_b32_e64 v12, v12, 0, s[28:29]
	v_or_b32_e32 v19, v12, v15
.LBB6_3011:                             ;   in Loop: Header=BB6_2965 Depth=3
	s_or_b64 exec, exec, s[38:39]
                                        ; implicit-def: $vgpr15
.LBB6_3012:                             ;   in Loop: Header=BB6_2965 Depth=3
	s_andn2_saveexec_b64 s[28:29], s[36:37]
; %bb.3013:                             ;   in Loop: Header=BB6_2965 Depth=3
	v_or_b32_e32 v19, 0x7e, v15
; %bb.3014:                             ;   in Loop: Header=BB6_2965 Depth=3
	s_or_b64 exec, exec, s[28:29]
                                        ; implicit-def: $vgpr12
.LBB6_3015:                             ;   in Loop: Header=BB6_2965 Depth=3
	s_andn2_saveexec_b64 s[28:29], s[34:35]
; %bb.3016:                             ;   in Loop: Header=BB6_2965 Depth=3
	v_or_b32_sdwa v19, v12, s86 dst_sel:DWORD dst_unused:UNUSED_PAD src0_sel:BYTE_3 src1_sel:DWORD
; %bb.3017:                             ;   in Loop: Header=BB6_2965 Depth=3
	s_or_b64 exec, exec, s[28:29]
	v_lshrrev_b32_e32 v12, 16, v8
	v_cmp_ne_u16_sdwa vcc, v12, v51 src0_sel:BYTE_0 src1_sel:DWORD
	v_mov_b32_e32 v13, 0
	s_and_saveexec_b64 s[28:29], vcc
	s_cbranch_execz .LBB6_3023
; %bb.3018:                             ;   in Loop: Header=BB6_2965 Depth=3
	v_cmp_ne_u16_sdwa vcc, v12, s96 src0_sel:BYTE_0 src1_sel:DWORD
	v_bfrev_b32_e32 v13, 1
	s_and_saveexec_b64 s[34:35], vcc
	s_cbranch_execz .LBB6_3022
; %bb.3019:                             ;   in Loop: Header=BB6_2965 Depth=3
	v_bfe_u32 v14, v8, 16, 7
	v_cmp_ne_u32_e32 vcc, s86, v14
	v_mov_b32_e32 v13, 0x7f800001
	s_and_saveexec_b64 s[36:37], vcc
	s_cbranch_execz .LBB6_3021
; %bb.3020:                             ;   in Loop: Header=BB6_2965 Depth=3
	v_and_b32_e32 v15, 7, v12
	v_ffbh_u32_e32 v13, v15
	v_min_u32_e32 v21, 32, v13
	v_subrev_u32_e32 v13, 28, v21
	v_lshrrev_b32_e32 v20, 3, v14
	v_cmp_gt_u32_e32 vcc, 8, v14
	v_lshlrev_b64 v[13:14], v13, v[12:13]
	v_sub_u32_e32 v14, 29, v21
	v_and_b32_e32 v13, 7, v13
	v_cndmask_b32_e32 v14, v20, v14, vcc
	v_cndmask_b32_e32 v13, v15, v13, vcc
	v_lshlrev_b32_e32 v12, 24, v12
	v_bfrev_b32_e32 v15, 60
	v_lshlrev_b32_e32 v13, 20, v13
	v_and_b32_e32 v12, 0x80000000, v12
	v_lshl_add_u32 v14, v14, 23, v15
	v_or3_b32 v13, v12, v14, v13
.LBB6_3021:                             ;   in Loop: Header=BB6_2965 Depth=3
	s_or_b64 exec, exec, s[36:37]
.LBB6_3022:                             ;   in Loop: Header=BB6_2965 Depth=3
	s_or_b64 exec, exec, s[34:35]
.LBB6_3023:                             ;   in Loop: Header=BB6_2965 Depth=3
	s_or_b64 exec, exec, s[28:29]
	v_mul_f32_e32 v12, v17, v13
	v_and_b32_e32 v13, 0x7f800000, v12
	v_mov_b32_e32 v14, v51
	v_cmp_ne_u64_e32 vcc, s[76:77], v[13:14]
                                        ; implicit-def: $vgpr20
	s_and_saveexec_b64 s[28:29], vcc
	s_xor_b64 s[34:35], exec, s[28:29]
	s_cbranch_execz .LBB6_3037
; %bb.3024:                             ;   in Loop: Header=BB6_2965 Depth=3
	v_and_b32_e32 v13, 0x7fffffff, v12
	v_mov_b32_e32 v14, v51
	v_cmp_gt_u64_e32 vcc, s[78:79], v[13:14]
	v_and_b32_sdwa v15, v12, s96 dst_sel:DWORD dst_unused:UNUSED_PAD src0_sel:BYTE_3 src1_sel:DWORD
                                        ; implicit-def: $vgpr20
	s_and_saveexec_b64 s[28:29], vcc
	s_xor_b64 s[36:37], exec, s[28:29]
	s_cbranch_execz .LBB6_3034
; %bb.3025:                             ;   in Loop: Header=BB6_2965 Depth=3
	v_mov_b32_e32 v20, 0
	v_cmp_ne_u32_e32 vcc, 0, v12
	s_and_saveexec_b64 s[38:39], vcc
	s_cbranch_execz .LBB6_3033
; %bb.3026:                             ;   in Loop: Header=BB6_2965 Depth=3
	v_bfe_u32 v20, v12, 23, 8
	v_and_b32_e32 v13, 0x7fffff, v12
	v_cmp_gt_u32_e64 s[28:29], s97, v20
	v_sub_u32_e32 v12, 0x79, v20
	v_cmp_eq_u32_e32 vcc, 0, v20
	v_cndmask_b32_e64 v12, 0, v12, s[28:29]
	v_mov_b32_e32 v21, 0x78
	v_or_b32_e32 v14, 0x800000, v13
	v_cndmask_b32_e32 v21, v12, v21, vcc
	v_cndmask_b32_e32 v12, v14, v13, vcc
	v_add_u32_e32 v14, 20, v21
	v_lshlrev_b64 v[22:23], v14, -1
	v_mov_b32_e32 v13, v51
	v_add_u32_e32 v14, 19, v21
	v_bfi_b32 v22, v22, 0, v12
	v_lshlrev_b64 v[24:25], v14, 1
	v_lshrrev_b64 v[12:13], v21, v[12:13]
	v_bfi_b32 v23, v23, 0, 0
	v_cmp_eq_u64_e64 s[28:29], v[22:23], v[24:25]
	v_mov_b32_e32 v14, v13
	v_mov_b32_e32 v13, v12
	s_and_saveexec_b64 s[48:49], s[28:29]
; %bb.3027:                             ;   in Loop: Header=BB6_2965 Depth=3
	v_bfe_u32 v13, v12, 20, 1
	v_add_co_u32_e64 v13, s[28:29], v12, v13
	v_add_co_u32_e64 v13, s[28:29], -1, v13
; %bb.3028:                             ;   in Loop: Header=BB6_2965 Depth=3
	s_or_b64 exec, exec, s[48:49]
	v_add_u32_e32 v14, 0xffffff81, v20
	v_mov_b32_e32 v20, 0xffffff82
	v_cndmask_b32_e32 v14, v14, v20, vcc
	v_lshrrev_b32_e32 v20, 23, v12
	v_add3_u32 v21, v21, v14, v20
	v_add_u32_e32 v20, 6, v21
	v_and_b32_e32 v13, 0xfffff, v13
	v_add_u32_e32 v12, v13, v12
	v_mov_b32_e32 v13, v51
	v_cmp_ne_u32_e32 vcc, 0, v20
                                        ; implicit-def: $vgpr14
	s_and_saveexec_b64 s[28:29], vcc
	s_xor_b64 s[28:29], exec, s[28:29]
; %bb.3029:                             ;   in Loop: Header=BB6_2965 Depth=3
	v_cmp_lt_u64_e32 vcc, s[88:89], v[12:13]
	v_add_u32_e32 v14, 7, v21
	v_cndmask_b32_e32 v14, v20, v14, vcc
	v_cndmask_b32_e64 v20, 0, 1, vcc
	v_lshrrev_b64 v[12:13], v20, v[12:13]
; %bb.3030:                             ;   in Loop: Header=BB6_2965 Depth=3
	s_andn2_saveexec_b64 s[28:29], s[28:29]
; %bb.3031:                             ;   in Loop: Header=BB6_2965 Depth=3
	v_bfe_u32 v14, v12, 23, 1
; %bb.3032:                             ;   in Loop: Header=BB6_2965 Depth=3
	s_or_b64 exec, exec, s[28:29]
	v_lshrrev_b64 v[12:13], 20, v[12:13]
	v_cmp_gt_i32_e32 vcc, 16, v14
	v_cndmask_b32_e32 v13, 0, v13, vcc
	v_cndmask_b32_e32 v12, 7, v12, vcc
	v_cmp_eq_u64_e64 s[28:29], 0, v[12:13]
	v_min_i32_e32 v13, 15, v14
	v_lshlrev_b32_e32 v13, 3, v13
	v_cmp_eq_u32_e32 vcc, 0, v14
	v_and_b32_e32 v13, 0xf8, v13
	v_and_or_b32 v12, v12, 7, v13
	s_and_b64 s[28:29], vcc, s[28:29]
	v_cndmask_b32_e64 v12, v12, 0, s[28:29]
	v_or_b32_e32 v20, v12, v15
.LBB6_3033:                             ;   in Loop: Header=BB6_2965 Depth=3
	s_or_b64 exec, exec, s[38:39]
                                        ; implicit-def: $vgpr15
.LBB6_3034:                             ;   in Loop: Header=BB6_2965 Depth=3
	s_andn2_saveexec_b64 s[28:29], s[36:37]
; %bb.3035:                             ;   in Loop: Header=BB6_2965 Depth=3
	v_or_b32_e32 v20, 0x7e, v15
; %bb.3036:                             ;   in Loop: Header=BB6_2965 Depth=3
	s_or_b64 exec, exec, s[28:29]
                                        ; implicit-def: $vgpr12
.LBB6_3037:                             ;   in Loop: Header=BB6_2965 Depth=3
	s_andn2_saveexec_b64 s[28:29], s[34:35]
; %bb.3038:                             ;   in Loop: Header=BB6_2965 Depth=3
	v_or_b32_sdwa v20, v12, s86 dst_sel:DWORD dst_unused:UNUSED_PAD src0_sel:BYTE_3 src1_sel:DWORD
; %bb.3039:                             ;   in Loop: Header=BB6_2965 Depth=3
	s_or_b64 exec, exec, s[28:29]
	v_cmp_lt_u32_e32 vcc, s57, v8
	v_mov_b32_e32 v13, 0
	s_and_saveexec_b64 s[28:29], vcc
	s_cbranch_execz .LBB6_3045
; %bb.3040:                             ;   in Loop: Header=BB6_2965 Depth=3
	v_lshrrev_b32_e32 v12, 24, v8
	v_cmp_ne_u32_e32 vcc, s96, v12
	v_bfrev_b32_e32 v13, 1
	s_and_saveexec_b64 s[34:35], vcc
	s_cbranch_execz .LBB6_3044
; %bb.3041:                             ;   in Loop: Header=BB6_2965 Depth=3
	v_bfe_u32 v14, v8, 24, 7
	v_cmp_ne_u32_e32 vcc, s86, v14
	v_mov_b32_e32 v13, 0x7f800001
	s_and_saveexec_b64 s[36:37], vcc
	s_cbranch_execz .LBB6_3043
; %bb.3042:                             ;   in Loop: Header=BB6_2965 Depth=3
	v_and_b32_e32 v15, 7, v12
	v_ffbh_u32_e32 v13, v15
	v_min_u32_e32 v22, 32, v13
	v_subrev_u32_e32 v13, 28, v22
	v_lshrrev_b32_e32 v21, 3, v14
	v_cmp_gt_u32_e32 vcc, 8, v14
	v_lshlrev_b64 v[13:14], v13, v[12:13]
	v_sub_u32_e32 v14, 29, v22
	v_and_b32_e32 v13, 7, v13
	v_cndmask_b32_e32 v14, v21, v14, vcc
	v_cndmask_b32_e32 v13, v15, v13, vcc
	v_lshlrev_b32_e32 v12, 24, v12
	v_bfrev_b32_e32 v15, 60
	v_lshlrev_b32_e32 v13, 20, v13
	v_and_b32_e32 v12, 0x80000000, v12
	v_lshl_add_u32 v14, v14, 23, v15
	v_or3_b32 v13, v12, v14, v13
.LBB6_3043:                             ;   in Loop: Header=BB6_2965 Depth=3
	s_or_b64 exec, exec, s[36:37]
.LBB6_3044:                             ;   in Loop: Header=BB6_2965 Depth=3
	s_or_b64 exec, exec, s[34:35]
.LBB6_3045:                             ;   in Loop: Header=BB6_2965 Depth=3
	s_or_b64 exec, exec, s[28:29]
	v_mul_f32_e32 v12, v17, v13
	v_and_b32_e32 v13, 0x7f800000, v12
	v_mov_b32_e32 v14, v51
	v_cmp_ne_u64_e32 vcc, s[76:77], v[13:14]
                                        ; implicit-def: $vgpr21
	s_and_saveexec_b64 s[28:29], vcc
	s_xor_b64 s[34:35], exec, s[28:29]
	s_cbranch_execz .LBB6_3059
; %bb.3046:                             ;   in Loop: Header=BB6_2965 Depth=3
	v_and_b32_e32 v13, 0x7fffffff, v12
	v_mov_b32_e32 v14, v51
	v_cmp_gt_u64_e32 vcc, s[78:79], v[13:14]
	v_and_b32_sdwa v15, v12, s96 dst_sel:DWORD dst_unused:UNUSED_PAD src0_sel:BYTE_3 src1_sel:DWORD
                                        ; implicit-def: $vgpr21
	s_and_saveexec_b64 s[28:29], vcc
	s_xor_b64 s[36:37], exec, s[28:29]
	s_cbranch_execz .LBB6_3056
; %bb.3047:                             ;   in Loop: Header=BB6_2965 Depth=3
	v_mov_b32_e32 v21, 0
	v_cmp_ne_u32_e32 vcc, 0, v12
	s_and_saveexec_b64 s[38:39], vcc
	s_cbranch_execz .LBB6_3055
; %bb.3048:                             ;   in Loop: Header=BB6_2965 Depth=3
	v_bfe_u32 v21, v12, 23, 8
	v_and_b32_e32 v13, 0x7fffff, v12
	v_cmp_gt_u32_e64 s[28:29], s97, v21
	v_sub_u32_e32 v12, 0x79, v21
	v_cmp_eq_u32_e32 vcc, 0, v21
	v_cndmask_b32_e64 v12, 0, v12, s[28:29]
	v_mov_b32_e32 v22, 0x78
	v_or_b32_e32 v14, 0x800000, v13
	v_cndmask_b32_e32 v22, v12, v22, vcc
	v_cndmask_b32_e32 v12, v14, v13, vcc
	v_add_u32_e32 v14, 20, v22
	v_lshlrev_b64 v[23:24], v14, -1
	v_mov_b32_e32 v13, v51
	v_add_u32_e32 v14, 19, v22
	v_bfi_b32 v23, v23, 0, v12
	v_lshlrev_b64 v[25:26], v14, 1
	v_lshrrev_b64 v[12:13], v22, v[12:13]
	v_bfi_b32 v24, v24, 0, 0
	v_cmp_eq_u64_e64 s[28:29], v[23:24], v[25:26]
	v_mov_b32_e32 v14, v13
	v_mov_b32_e32 v13, v12
	s_and_saveexec_b64 s[48:49], s[28:29]
; %bb.3049:                             ;   in Loop: Header=BB6_2965 Depth=3
	v_bfe_u32 v13, v12, 20, 1
	v_add_co_u32_e64 v13, s[28:29], v12, v13
	v_add_co_u32_e64 v13, s[28:29], -1, v13
; %bb.3050:                             ;   in Loop: Header=BB6_2965 Depth=3
	s_or_b64 exec, exec, s[48:49]
	v_add_u32_e32 v14, 0xffffff81, v21
	v_mov_b32_e32 v21, 0xffffff82
	v_cndmask_b32_e32 v14, v14, v21, vcc
	v_lshrrev_b32_e32 v21, 23, v12
	v_add3_u32 v22, v22, v14, v21
	v_add_u32_e32 v21, 6, v22
	v_and_b32_e32 v13, 0xfffff, v13
	v_add_u32_e32 v12, v13, v12
	v_mov_b32_e32 v13, v51
	v_cmp_ne_u32_e32 vcc, 0, v21
                                        ; implicit-def: $vgpr14
	s_and_saveexec_b64 s[28:29], vcc
	s_xor_b64 s[28:29], exec, s[28:29]
; %bb.3051:                             ;   in Loop: Header=BB6_2965 Depth=3
	v_cmp_lt_u64_e32 vcc, s[88:89], v[12:13]
	v_add_u32_e32 v14, 7, v22
	v_cndmask_b32_e32 v14, v21, v14, vcc
	v_cndmask_b32_e64 v21, 0, 1, vcc
	v_lshrrev_b64 v[12:13], v21, v[12:13]
; %bb.3052:                             ;   in Loop: Header=BB6_2965 Depth=3
	s_andn2_saveexec_b64 s[28:29], s[28:29]
; %bb.3053:                             ;   in Loop: Header=BB6_2965 Depth=3
	v_bfe_u32 v14, v12, 23, 1
; %bb.3054:                             ;   in Loop: Header=BB6_2965 Depth=3
	s_or_b64 exec, exec, s[28:29]
	v_lshrrev_b64 v[12:13], 20, v[12:13]
	v_cmp_gt_i32_e32 vcc, 16, v14
	v_cndmask_b32_e32 v13, 0, v13, vcc
	v_cndmask_b32_e32 v12, 7, v12, vcc
	v_cmp_eq_u64_e64 s[28:29], 0, v[12:13]
	v_min_i32_e32 v13, 15, v14
	v_lshlrev_b32_e32 v13, 3, v13
	v_cmp_eq_u32_e32 vcc, 0, v14
	v_and_b32_e32 v13, 0xf8, v13
	v_and_or_b32 v12, v12, 7, v13
	s_and_b64 s[28:29], vcc, s[28:29]
	v_cndmask_b32_e64 v12, v12, 0, s[28:29]
	v_or_b32_e32 v21, v12, v15
.LBB6_3055:                             ;   in Loop: Header=BB6_2965 Depth=3
	s_or_b64 exec, exec, s[38:39]
                                        ; implicit-def: $vgpr15
.LBB6_3056:                             ;   in Loop: Header=BB6_2965 Depth=3
	s_andn2_saveexec_b64 s[28:29], s[36:37]
; %bb.3057:                             ;   in Loop: Header=BB6_2965 Depth=3
	v_or_b32_e32 v21, 0x7e, v15
; %bb.3058:                             ;   in Loop: Header=BB6_2965 Depth=3
	s_or_b64 exec, exec, s[28:29]
                                        ; implicit-def: $vgpr12
.LBB6_3059:                             ;   in Loop: Header=BB6_2965 Depth=3
	s_andn2_saveexec_b64 s[28:29], s[34:35]
; %bb.3060:                             ;   in Loop: Header=BB6_2965 Depth=3
	v_or_b32_sdwa v21, v12, s86 dst_sel:DWORD dst_unused:UNUSED_PAD src0_sel:BYTE_3 src1_sel:DWORD
; %bb.3061:                             ;   in Loop: Header=BB6_2965 Depth=3
	s_or_b64 exec, exec, s[28:29]
	v_mov_b32_e32 v12, v9
	v_mov_b32_e32 v13, v51
	v_cmp_ne_u16_sdwa vcc, v9, v51 src0_sel:BYTE_0 src1_sel:DWORD
	v_mov_b32_e32 v14, 0
	s_and_saveexec_b64 s[28:29], vcc
	s_cbranch_execz .LBB6_3067
; %bb.3062:                             ;   in Loop: Header=BB6_2965 Depth=3
	v_cmp_ne_u16_sdwa vcc, v9, s96 src0_sel:BYTE_0 src1_sel:DWORD
	v_bfrev_b32_e32 v14, 1
	s_and_saveexec_b64 s[34:35], vcc
	s_cbranch_execz .LBB6_3066
; %bb.3063:                             ;   in Loop: Header=BB6_2965 Depth=3
	v_and_b32_e32 v15, 0x7f, v9
	v_cmp_ne_u32_e32 vcc, s86, v15
	v_mov_b32_e32 v14, 0x7f800001
	s_and_saveexec_b64 s[36:37], vcc
	s_cbranch_execz .LBB6_3065
; %bb.3064:                             ;   in Loop: Header=BB6_2965 Depth=3
	v_and_b32_e32 v14, 7, v9
	v_ffbh_u32_e32 v14, v14
	v_min_u32_e32 v14, 32, v14
	v_lshrrev_b32_e32 v22, 3, v15
	v_cmp_gt_u32_e32 vcc, 8, v15
	v_subrev_u32_e32 v15, 28, v14
	v_sub_u32_e32 v14, 29, v14
	v_cndmask_b32_e32 v22, v22, v14, vcc
	v_cndmask_b32_e32 v14, 0, v15, vcc
	v_lshlrev_b64 v[13:14], v14, v[12:13]
	v_lshlrev_b32_e32 v14, 24, v12
	v_lshlrev_b32_e32 v13, 20, v13
	v_bfrev_b32_e32 v15, 60
	v_and_b32_e32 v13, 0x700000, v13
	v_and_b32_e32 v14, 0x80000000, v14
	v_lshl_add_u32 v15, v22, 23, v15
	v_or3_b32 v14, v14, v15, v13
.LBB6_3065:                             ;   in Loop: Header=BB6_2965 Depth=3
	s_or_b64 exec, exec, s[36:37]
.LBB6_3066:                             ;   in Loop: Header=BB6_2965 Depth=3
	s_or_b64 exec, exec, s[34:35]
.LBB6_3067:                             ;   in Loop: Header=BB6_2965 Depth=3
	s_or_b64 exec, exec, s[28:29]
	v_mul_f32_e32 v13, v17, v14
	v_and_b32_e32 v14, 0x7f800000, v13
	v_mov_b32_e32 v15, v51
	v_cmp_ne_u64_e32 vcc, s[76:77], v[14:15]
                                        ; implicit-def: $vgpr15
	s_and_saveexec_b64 s[28:29], vcc
	s_xor_b64 s[34:35], exec, s[28:29]
	s_cbranch_execz .LBB6_3081
; %bb.3068:                             ;   in Loop: Header=BB6_2965 Depth=3
	v_and_b32_e32 v14, 0x7fffffff, v13
	v_mov_b32_e32 v15, v51
	v_cmp_gt_u64_e32 vcc, s[78:79], v[14:15]
	v_and_b32_sdwa v22, v13, s96 dst_sel:DWORD dst_unused:UNUSED_PAD src0_sel:BYTE_3 src1_sel:DWORD
                                        ; implicit-def: $vgpr15
	s_and_saveexec_b64 s[28:29], vcc
	s_xor_b64 s[36:37], exec, s[28:29]
	s_cbranch_execz .LBB6_3078
; %bb.3069:                             ;   in Loop: Header=BB6_2965 Depth=3
	v_mov_b32_e32 v15, 0
	v_cmp_ne_u32_e32 vcc, 0, v13
	s_and_saveexec_b64 s[38:39], vcc
	s_cbranch_execz .LBB6_3077
; %bb.3070:                             ;   in Loop: Header=BB6_2965 Depth=3
	v_bfe_u32 v23, v13, 23, 8
	v_and_b32_e32 v14, 0x7fffff, v13
	v_cmp_gt_u32_e64 s[28:29], s97, v23
	v_sub_u32_e32 v13, 0x79, v23
	v_cmp_eq_u32_e32 vcc, 0, v23
	v_cndmask_b32_e64 v13, 0, v13, s[28:29]
	v_mov_b32_e32 v24, 0x78
	v_or_b32_e32 v15, 0x800000, v14
	v_cndmask_b32_e32 v24, v13, v24, vcc
	v_cndmask_b32_e32 v13, v15, v14, vcc
	v_add_u32_e32 v15, 20, v24
	v_lshlrev_b64 v[25:26], v15, -1
	v_mov_b32_e32 v14, v51
	v_add_u32_e32 v15, 19, v24
	v_bfi_b32 v25, v25, 0, v13
	v_lshlrev_b64 v[27:28], v15, 1
	v_lshrrev_b64 v[13:14], v24, v[13:14]
	v_bfi_b32 v26, v26, 0, 0
	v_cmp_eq_u64_e64 s[28:29], v[25:26], v[27:28]
	v_mov_b32_e32 v15, v14
	v_mov_b32_e32 v14, v13
	s_and_saveexec_b64 s[48:49], s[28:29]
; %bb.3071:                             ;   in Loop: Header=BB6_2965 Depth=3
	v_bfe_u32 v14, v13, 20, 1
	v_add_co_u32_e64 v14, s[28:29], v13, v14
	v_add_co_u32_e64 v14, s[28:29], -1, v14
; %bb.3072:                             ;   in Loop: Header=BB6_2965 Depth=3
	s_or_b64 exec, exec, s[48:49]
	v_add_u32_e32 v15, 0xffffff81, v23
	v_mov_b32_e32 v23, 0xffffff82
	v_cndmask_b32_e32 v15, v15, v23, vcc
	v_lshrrev_b32_e32 v23, 23, v13
	v_add3_u32 v24, v24, v15, v23
	v_add_u32_e32 v23, 6, v24
	v_and_b32_e32 v14, 0xfffff, v14
	v_add_u32_e32 v13, v14, v13
	v_mov_b32_e32 v14, v51
	v_cmp_ne_u32_e32 vcc, 0, v23
                                        ; implicit-def: $vgpr15
	s_and_saveexec_b64 s[28:29], vcc
	s_xor_b64 s[28:29], exec, s[28:29]
; %bb.3073:                             ;   in Loop: Header=BB6_2965 Depth=3
	v_cmp_lt_u64_e32 vcc, s[88:89], v[13:14]
	v_add_u32_e32 v15, 7, v24
	v_cndmask_b32_e32 v15, v23, v15, vcc
	v_cndmask_b32_e64 v23, 0, 1, vcc
	v_lshrrev_b64 v[13:14], v23, v[13:14]
; %bb.3074:                             ;   in Loop: Header=BB6_2965 Depth=3
	s_andn2_saveexec_b64 s[28:29], s[28:29]
; %bb.3075:                             ;   in Loop: Header=BB6_2965 Depth=3
	v_bfe_u32 v15, v13, 23, 1
; %bb.3076:                             ;   in Loop: Header=BB6_2965 Depth=3
	s_or_b64 exec, exec, s[28:29]
	v_lshrrev_b64 v[13:14], 20, v[13:14]
	v_cmp_gt_i32_e32 vcc, 16, v15
	v_cndmask_b32_e32 v14, 0, v14, vcc
	v_cndmask_b32_e32 v13, 7, v13, vcc
	v_cmp_eq_u64_e64 s[28:29], 0, v[13:14]
	v_min_i32_e32 v14, 15, v15
	v_lshlrev_b32_e32 v14, 3, v14
	v_cmp_eq_u32_e32 vcc, 0, v15
	v_and_b32_e32 v14, 0xf8, v14
	v_and_or_b32 v13, v13, 7, v14
	s_and_b64 s[28:29], vcc, s[28:29]
	v_cndmask_b32_e64 v13, v13, 0, s[28:29]
	v_or_b32_e32 v15, v13, v22
.LBB6_3077:                             ;   in Loop: Header=BB6_2965 Depth=3
	s_or_b64 exec, exec, s[38:39]
                                        ; implicit-def: $vgpr22
.LBB6_3078:                             ;   in Loop: Header=BB6_2965 Depth=3
	s_andn2_saveexec_b64 s[28:29], s[36:37]
; %bb.3079:                             ;   in Loop: Header=BB6_2965 Depth=3
	v_or_b32_e32 v15, 0x7e, v22
; %bb.3080:                             ;   in Loop: Header=BB6_2965 Depth=3
	s_or_b64 exec, exec, s[28:29]
                                        ; implicit-def: $vgpr13
.LBB6_3081:                             ;   in Loop: Header=BB6_2965 Depth=3
	s_andn2_saveexec_b64 s[28:29], s[34:35]
; %bb.3082:                             ;   in Loop: Header=BB6_2965 Depth=3
	v_or_b32_sdwa v15, v13, s86 dst_sel:DWORD dst_unused:UNUSED_PAD src0_sel:BYTE_3 src1_sel:DWORD
; %bb.3083:                             ;   in Loop: Header=BB6_2965 Depth=3
	s_or_b64 exec, exec, s[28:29]
	v_lshrrev_b16_e32 v13, 8, v12
	v_cmp_ne_u16_e32 vcc, 0, v13
	v_mov_b32_e32 v14, 0
	s_and_saveexec_b64 s[28:29], vcc
	s_cbranch_execz .LBB6_3089
; %bb.3084:                             ;   in Loop: Header=BB6_2965 Depth=3
	v_cmp_ne_u16_e32 vcc, s96, v13
	v_bfrev_b32_e32 v14, 1
	s_and_saveexec_b64 s[34:35], vcc
	s_cbranch_execz .LBB6_3088
; %bb.3085:                             ;   in Loop: Header=BB6_2965 Depth=3
	v_and_b32_e32 v22, 0x7f, v13
	v_cmp_ne_u32_e32 vcc, s86, v22
	v_mov_b32_e32 v14, 0x7f800001
	s_and_saveexec_b64 s[36:37], vcc
	s_cbranch_execz .LBB6_3087
; %bb.3086:                             ;   in Loop: Header=BB6_2965 Depth=3
	v_and_b32_e32 v23, 7, v13
	v_ffbh_u32_e32 v14, v23
	v_lshrrev_b32_e32 v24, 3, v22
	v_cmp_gt_u32_e32 vcc, 8, v22
	v_min_u32_e32 v22, 32, v14
	v_subrev_u32_e32 v14, 28, v22
	v_lshlrev_b64 v[13:14], v14, v[13:14]
	v_sub_u32_e32 v14, 29, v22
	v_and_b32_e32 v13, 7, v13
	v_cndmask_b32_e32 v14, v24, v14, vcc
	v_cndmask_b32_e32 v13, v23, v13, vcc
	v_lshlrev_b32_e32 v12, 16, v12
	v_bfrev_b32_e32 v22, 60
	v_lshlrev_b32_e32 v13, 20, v13
	v_and_b32_e32 v12, 0x80000000, v12
	v_lshl_add_u32 v14, v14, 23, v22
	v_or3_b32 v14, v12, v14, v13
.LBB6_3087:                             ;   in Loop: Header=BB6_2965 Depth=3
	s_or_b64 exec, exec, s[36:37]
.LBB6_3088:                             ;   in Loop: Header=BB6_2965 Depth=3
	s_or_b64 exec, exec, s[34:35]
.LBB6_3089:                             ;   in Loop: Header=BB6_2965 Depth=3
	s_or_b64 exec, exec, s[28:29]
	v_mul_f32_e32 v12, v17, v14
	v_and_b32_e32 v13, 0x7f800000, v12
	v_mov_b32_e32 v14, v51
	v_cmp_ne_u64_e32 vcc, s[76:77], v[13:14]
                                        ; implicit-def: $vgpr22
	s_and_saveexec_b64 s[28:29], vcc
	s_xor_b64 s[34:35], exec, s[28:29]
	s_cbranch_execz .LBB6_3103
; %bb.3090:                             ;   in Loop: Header=BB6_2965 Depth=3
	v_and_b32_e32 v13, 0x7fffffff, v12
	v_mov_b32_e32 v14, v51
	v_cmp_gt_u64_e32 vcc, s[78:79], v[13:14]
	v_and_b32_sdwa v23, v12, s96 dst_sel:DWORD dst_unused:UNUSED_PAD src0_sel:BYTE_3 src1_sel:DWORD
                                        ; implicit-def: $vgpr22
	s_and_saveexec_b64 s[28:29], vcc
	s_xor_b64 s[36:37], exec, s[28:29]
	s_cbranch_execz .LBB6_3100
; %bb.3091:                             ;   in Loop: Header=BB6_2965 Depth=3
	v_mov_b32_e32 v22, 0
	v_cmp_ne_u32_e32 vcc, 0, v12
	s_and_saveexec_b64 s[38:39], vcc
	s_cbranch_execz .LBB6_3099
; %bb.3092:                             ;   in Loop: Header=BB6_2965 Depth=3
	v_bfe_u32 v22, v12, 23, 8
	v_and_b32_e32 v13, 0x7fffff, v12
	v_cmp_gt_u32_e64 s[28:29], s97, v22
	v_sub_u32_e32 v12, 0x79, v22
	v_cmp_eq_u32_e32 vcc, 0, v22
	v_cndmask_b32_e64 v12, 0, v12, s[28:29]
	v_mov_b32_e32 v24, 0x78
	v_or_b32_e32 v14, 0x800000, v13
	v_cndmask_b32_e32 v24, v12, v24, vcc
	v_cndmask_b32_e32 v12, v14, v13, vcc
	v_add_u32_e32 v14, 20, v24
	v_lshlrev_b64 v[25:26], v14, -1
	v_mov_b32_e32 v13, v51
	v_add_u32_e32 v14, 19, v24
	v_bfi_b32 v25, v25, 0, v12
	v_lshlrev_b64 v[27:28], v14, 1
	v_lshrrev_b64 v[12:13], v24, v[12:13]
	v_bfi_b32 v26, v26, 0, 0
	v_cmp_eq_u64_e64 s[28:29], v[25:26], v[27:28]
	v_mov_b32_e32 v14, v13
	v_mov_b32_e32 v13, v12
	s_and_saveexec_b64 s[48:49], s[28:29]
; %bb.3093:                             ;   in Loop: Header=BB6_2965 Depth=3
	v_bfe_u32 v13, v12, 20, 1
	v_add_co_u32_e64 v13, s[28:29], v12, v13
	v_add_co_u32_e64 v13, s[28:29], -1, v13
; %bb.3094:                             ;   in Loop: Header=BB6_2965 Depth=3
	s_or_b64 exec, exec, s[48:49]
	v_add_u32_e32 v14, 0xffffff81, v22
	v_mov_b32_e32 v22, 0xffffff82
	v_cndmask_b32_e32 v14, v14, v22, vcc
	v_lshrrev_b32_e32 v22, 23, v12
	v_add3_u32 v24, v24, v14, v22
	v_add_u32_e32 v22, 6, v24
	v_and_b32_e32 v13, 0xfffff, v13
	v_add_u32_e32 v12, v13, v12
	v_mov_b32_e32 v13, v51
	v_cmp_ne_u32_e32 vcc, 0, v22
                                        ; implicit-def: $vgpr14
	s_and_saveexec_b64 s[28:29], vcc
	s_xor_b64 s[28:29], exec, s[28:29]
; %bb.3095:                             ;   in Loop: Header=BB6_2965 Depth=3
	v_cmp_lt_u64_e32 vcc, s[88:89], v[12:13]
	v_add_u32_e32 v14, 7, v24
	v_cndmask_b32_e32 v14, v22, v14, vcc
	v_cndmask_b32_e64 v22, 0, 1, vcc
	v_lshrrev_b64 v[12:13], v22, v[12:13]
; %bb.3096:                             ;   in Loop: Header=BB6_2965 Depth=3
	s_andn2_saveexec_b64 s[28:29], s[28:29]
; %bb.3097:                             ;   in Loop: Header=BB6_2965 Depth=3
	v_bfe_u32 v14, v12, 23, 1
; %bb.3098:                             ;   in Loop: Header=BB6_2965 Depth=3
	s_or_b64 exec, exec, s[28:29]
	v_lshrrev_b64 v[12:13], 20, v[12:13]
	v_cmp_gt_i32_e32 vcc, 16, v14
	v_cndmask_b32_e32 v13, 0, v13, vcc
	v_cndmask_b32_e32 v12, 7, v12, vcc
	v_cmp_eq_u64_e64 s[28:29], 0, v[12:13]
	v_min_i32_e32 v13, 15, v14
	v_lshlrev_b32_e32 v13, 3, v13
	v_cmp_eq_u32_e32 vcc, 0, v14
	v_and_b32_e32 v13, 0xf8, v13
	v_and_or_b32 v12, v12, 7, v13
	s_and_b64 s[28:29], vcc, s[28:29]
	v_cndmask_b32_e64 v12, v12, 0, s[28:29]
	v_or_b32_e32 v22, v12, v23
.LBB6_3099:                             ;   in Loop: Header=BB6_2965 Depth=3
	s_or_b64 exec, exec, s[38:39]
                                        ; implicit-def: $vgpr23
.LBB6_3100:                             ;   in Loop: Header=BB6_2965 Depth=3
	s_andn2_saveexec_b64 s[28:29], s[36:37]
; %bb.3101:                             ;   in Loop: Header=BB6_2965 Depth=3
	v_or_b32_e32 v22, 0x7e, v23
; %bb.3102:                             ;   in Loop: Header=BB6_2965 Depth=3
	s_or_b64 exec, exec, s[28:29]
                                        ; implicit-def: $vgpr12
.LBB6_3103:                             ;   in Loop: Header=BB6_2965 Depth=3
	s_andn2_saveexec_b64 s[28:29], s[34:35]
; %bb.3104:                             ;   in Loop: Header=BB6_2965 Depth=3
	v_or_b32_sdwa v22, v12, s86 dst_sel:DWORD dst_unused:UNUSED_PAD src0_sel:BYTE_3 src1_sel:DWORD
; %bb.3105:                             ;   in Loop: Header=BB6_2965 Depth=3
	s_or_b64 exec, exec, s[28:29]
	v_lshrrev_b32_e32 v12, 16, v9
	v_cmp_ne_u16_sdwa vcc, v12, v51 src0_sel:BYTE_0 src1_sel:DWORD
	v_mov_b32_e32 v13, 0
	s_and_saveexec_b64 s[28:29], vcc
	s_cbranch_execz .LBB6_3111
; %bb.3106:                             ;   in Loop: Header=BB6_2965 Depth=3
	v_cmp_ne_u16_sdwa vcc, v12, s96 src0_sel:BYTE_0 src1_sel:DWORD
	v_bfrev_b32_e32 v13, 1
	s_and_saveexec_b64 s[34:35], vcc
	s_cbranch_execz .LBB6_3110
; %bb.3107:                             ;   in Loop: Header=BB6_2965 Depth=3
	v_bfe_u32 v14, v9, 16, 7
	v_cmp_ne_u32_e32 vcc, s86, v14
	v_mov_b32_e32 v13, 0x7f800001
	s_and_saveexec_b64 s[36:37], vcc
	s_cbranch_execz .LBB6_3109
; %bb.3108:                             ;   in Loop: Header=BB6_2965 Depth=3
	v_and_b32_e32 v23, 7, v12
	v_ffbh_u32_e32 v13, v23
	v_min_u32_e32 v25, 32, v13
	v_subrev_u32_e32 v13, 28, v25
	v_lshrrev_b32_e32 v24, 3, v14
	v_cmp_gt_u32_e32 vcc, 8, v14
	v_lshlrev_b64 v[13:14], v13, v[12:13]
	v_sub_u32_e32 v14, 29, v25
	v_and_b32_e32 v13, 7, v13
	v_cndmask_b32_e32 v14, v24, v14, vcc
	v_cndmask_b32_e32 v13, v23, v13, vcc
	v_lshlrev_b32_e32 v12, 24, v12
	v_bfrev_b32_e32 v23, 60
	v_lshlrev_b32_e32 v13, 20, v13
	v_and_b32_e32 v12, 0x80000000, v12
	v_lshl_add_u32 v14, v14, 23, v23
	v_or3_b32 v13, v12, v14, v13
.LBB6_3109:                             ;   in Loop: Header=BB6_2965 Depth=3
	s_or_b64 exec, exec, s[36:37]
.LBB6_3110:                             ;   in Loop: Header=BB6_2965 Depth=3
	s_or_b64 exec, exec, s[34:35]
.LBB6_3111:                             ;   in Loop: Header=BB6_2965 Depth=3
	s_or_b64 exec, exec, s[28:29]
	v_mul_f32_e32 v12, v17, v13
	v_and_b32_e32 v13, 0x7f800000, v12
	v_mov_b32_e32 v14, v51
	v_cmp_ne_u64_e32 vcc, s[76:77], v[13:14]
                                        ; implicit-def: $vgpr23
	s_and_saveexec_b64 s[28:29], vcc
	s_xor_b64 s[34:35], exec, s[28:29]
	s_cbranch_execz .LBB6_3125
; %bb.3112:                             ;   in Loop: Header=BB6_2965 Depth=3
	v_and_b32_e32 v13, 0x7fffffff, v12
	v_mov_b32_e32 v14, v51
	v_cmp_gt_u64_e32 vcc, s[78:79], v[13:14]
	v_and_b32_sdwa v24, v12, s96 dst_sel:DWORD dst_unused:UNUSED_PAD src0_sel:BYTE_3 src1_sel:DWORD
                                        ; implicit-def: $vgpr23
	s_and_saveexec_b64 s[28:29], vcc
	s_xor_b64 s[36:37], exec, s[28:29]
	s_cbranch_execz .LBB6_3122
; %bb.3113:                             ;   in Loop: Header=BB6_2965 Depth=3
	v_mov_b32_e32 v23, 0
	v_cmp_ne_u32_e32 vcc, 0, v12
	s_and_saveexec_b64 s[38:39], vcc
	s_cbranch_execz .LBB6_3121
; %bb.3114:                             ;   in Loop: Header=BB6_2965 Depth=3
	v_bfe_u32 v23, v12, 23, 8
	v_and_b32_e32 v13, 0x7fffff, v12
	v_cmp_gt_u32_e64 s[28:29], s97, v23
	v_sub_u32_e32 v12, 0x79, v23
	v_cmp_eq_u32_e32 vcc, 0, v23
	v_cndmask_b32_e64 v12, 0, v12, s[28:29]
	v_mov_b32_e32 v25, 0x78
	v_or_b32_e32 v14, 0x800000, v13
	v_cndmask_b32_e32 v25, v12, v25, vcc
	v_cndmask_b32_e32 v12, v14, v13, vcc
	v_add_u32_e32 v14, 20, v25
	v_lshlrev_b64 v[26:27], v14, -1
	v_mov_b32_e32 v13, v51
	v_add_u32_e32 v14, 19, v25
	v_bfi_b32 v26, v26, 0, v12
	v_lshlrev_b64 v[28:29], v14, 1
	v_lshrrev_b64 v[12:13], v25, v[12:13]
	v_bfi_b32 v27, v27, 0, 0
	v_cmp_eq_u64_e64 s[28:29], v[26:27], v[28:29]
	v_mov_b32_e32 v14, v13
	v_mov_b32_e32 v13, v12
	s_and_saveexec_b64 s[48:49], s[28:29]
; %bb.3115:                             ;   in Loop: Header=BB6_2965 Depth=3
	v_bfe_u32 v13, v12, 20, 1
	v_add_co_u32_e64 v13, s[28:29], v12, v13
	v_add_co_u32_e64 v13, s[28:29], -1, v13
; %bb.3116:                             ;   in Loop: Header=BB6_2965 Depth=3
	s_or_b64 exec, exec, s[48:49]
	v_add_u32_e32 v14, 0xffffff81, v23
	v_mov_b32_e32 v23, 0xffffff82
	v_cndmask_b32_e32 v14, v14, v23, vcc
	v_lshrrev_b32_e32 v23, 23, v12
	v_add3_u32 v25, v25, v14, v23
	v_add_u32_e32 v23, 6, v25
	v_and_b32_e32 v13, 0xfffff, v13
	v_add_u32_e32 v12, v13, v12
	v_mov_b32_e32 v13, v51
	v_cmp_ne_u32_e32 vcc, 0, v23
                                        ; implicit-def: $vgpr14
	s_and_saveexec_b64 s[28:29], vcc
	s_xor_b64 s[28:29], exec, s[28:29]
; %bb.3117:                             ;   in Loop: Header=BB6_2965 Depth=3
	v_cmp_lt_u64_e32 vcc, s[88:89], v[12:13]
	v_add_u32_e32 v14, 7, v25
	v_cndmask_b32_e32 v14, v23, v14, vcc
	v_cndmask_b32_e64 v23, 0, 1, vcc
	v_lshrrev_b64 v[12:13], v23, v[12:13]
; %bb.3118:                             ;   in Loop: Header=BB6_2965 Depth=3
	s_andn2_saveexec_b64 s[28:29], s[28:29]
; %bb.3119:                             ;   in Loop: Header=BB6_2965 Depth=3
	v_bfe_u32 v14, v12, 23, 1
; %bb.3120:                             ;   in Loop: Header=BB6_2965 Depth=3
	s_or_b64 exec, exec, s[28:29]
	v_lshrrev_b64 v[12:13], 20, v[12:13]
	v_cmp_gt_i32_e32 vcc, 16, v14
	v_cndmask_b32_e32 v13, 0, v13, vcc
	v_cndmask_b32_e32 v12, 7, v12, vcc
	v_cmp_eq_u64_e64 s[28:29], 0, v[12:13]
	v_min_i32_e32 v13, 15, v14
	v_lshlrev_b32_e32 v13, 3, v13
	v_cmp_eq_u32_e32 vcc, 0, v14
	v_and_b32_e32 v13, 0xf8, v13
	v_and_or_b32 v12, v12, 7, v13
	s_and_b64 s[28:29], vcc, s[28:29]
	v_cndmask_b32_e64 v12, v12, 0, s[28:29]
	v_or_b32_e32 v23, v12, v24
.LBB6_3121:                             ;   in Loop: Header=BB6_2965 Depth=3
	s_or_b64 exec, exec, s[38:39]
                                        ; implicit-def: $vgpr24
.LBB6_3122:                             ;   in Loop: Header=BB6_2965 Depth=3
	s_andn2_saveexec_b64 s[28:29], s[36:37]
; %bb.3123:                             ;   in Loop: Header=BB6_2965 Depth=3
	v_or_b32_e32 v23, 0x7e, v24
; %bb.3124:                             ;   in Loop: Header=BB6_2965 Depth=3
	s_or_b64 exec, exec, s[28:29]
                                        ; implicit-def: $vgpr12
.LBB6_3125:                             ;   in Loop: Header=BB6_2965 Depth=3
	s_andn2_saveexec_b64 s[28:29], s[34:35]
; %bb.3126:                             ;   in Loop: Header=BB6_2965 Depth=3
	v_or_b32_sdwa v23, v12, s86 dst_sel:DWORD dst_unused:UNUSED_PAD src0_sel:BYTE_3 src1_sel:DWORD
; %bb.3127:                             ;   in Loop: Header=BB6_2965 Depth=3
	s_or_b64 exec, exec, s[28:29]
	v_cmp_lt_u64_e32 vcc, s[56:57], v[8:9]
	v_mov_b32_e32 v12, 0
	s_and_saveexec_b64 s[28:29], vcc
	s_cbranch_execz .LBB6_3133
; %bb.3128:                             ;   in Loop: Header=BB6_2965 Depth=3
	v_lshrrev_b32_e32 v8, 24, v9
	v_cmp_ne_u32_e32 vcc, s96, v8
	v_bfrev_b32_e32 v12, 1
	s_and_saveexec_b64 s[34:35], vcc
	s_cbranch_execz .LBB6_3132
; %bb.3129:                             ;   in Loop: Header=BB6_2965 Depth=3
	v_bfe_u32 v9, v9, 24, 7
	v_cmp_ne_u32_e32 vcc, s86, v9
	v_mov_b32_e32 v12, 0x7f800001
	s_and_saveexec_b64 s[36:37], vcc
	s_cbranch_execz .LBB6_3131
; %bb.3130:                             ;   in Loop: Header=BB6_2965 Depth=3
	v_and_b32_e32 v14, 7, v8
	v_lshrrev_b32_e32 v24, 3, v9
	v_cmp_gt_u32_e32 vcc, 8, v9
	v_ffbh_u32_e32 v9, v14
	v_min_u32_e32 v9, 32, v9
	v_subrev_u32_e32 v12, 28, v9
	v_lshlrev_b64 v[12:13], v12, v[8:9]
	v_sub_u32_e32 v9, 29, v9
	v_and_b32_e32 v12, 7, v12
	v_cndmask_b32_e32 v9, v24, v9, vcc
	v_cndmask_b32_e32 v12, v14, v12, vcc
	v_lshlrev_b32_e32 v8, 24, v8
	v_bfrev_b32_e32 v13, 60
	v_lshlrev_b32_e32 v12, 20, v12
	v_and_b32_e32 v8, 0x80000000, v8
	v_lshl_add_u32 v9, v9, 23, v13
	v_or3_b32 v12, v8, v9, v12
.LBB6_3131:                             ;   in Loop: Header=BB6_2965 Depth=3
	s_or_b64 exec, exec, s[36:37]
.LBB6_3132:                             ;   in Loop: Header=BB6_2965 Depth=3
	s_or_b64 exec, exec, s[34:35]
.LBB6_3133:                             ;   in Loop: Header=BB6_2965 Depth=3
	s_or_b64 exec, exec, s[28:29]
	v_mul_f32_e32 v8, v17, v12
	v_and_b32_e32 v12, 0x7f800000, v8
	v_mov_b32_e32 v13, v51
	v_cmp_ne_u64_e32 vcc, s[76:77], v[12:13]
                                        ; implicit-def: $vgpr24
	s_and_saveexec_b64 s[28:29], vcc
	s_xor_b64 s[34:35], exec, s[28:29]
	s_cbranch_execz .LBB6_3147
; %bb.3134:                             ;   in Loop: Header=BB6_2965 Depth=3
	v_and_b32_e32 v12, 0x7fffffff, v8
	v_mov_b32_e32 v13, v51
	v_cmp_gt_u64_e32 vcc, s[78:79], v[12:13]
	v_and_b32_sdwa v14, v8, s96 dst_sel:DWORD dst_unused:UNUSED_PAD src0_sel:BYTE_3 src1_sel:DWORD
                                        ; implicit-def: $vgpr24
	s_and_saveexec_b64 s[28:29], vcc
	s_xor_b64 s[36:37], exec, s[28:29]
	s_cbranch_execz .LBB6_3144
; %bb.3135:                             ;   in Loop: Header=BB6_2965 Depth=3
	v_mov_b32_e32 v24, 0
	v_cmp_ne_u32_e32 vcc, 0, v8
	s_and_saveexec_b64 s[38:39], vcc
	s_cbranch_execz .LBB6_3143
; %bb.3136:                             ;   in Loop: Header=BB6_2965 Depth=3
	v_bfe_u32 v24, v8, 23, 8
	v_and_b32_e32 v9, 0x7fffff, v8
	v_cmp_gt_u32_e64 s[28:29], s97, v24
	v_sub_u32_e32 v8, 0x79, v24
	v_cmp_eq_u32_e32 vcc, 0, v24
	v_cndmask_b32_e64 v8, 0, v8, s[28:29]
	v_mov_b32_e32 v13, 0x78
	v_or_b32_e32 v12, 0x800000, v9
	v_cndmask_b32_e32 v25, v8, v13, vcc
	v_cndmask_b32_e32 v8, v12, v9, vcc
	v_add_u32_e32 v12, 20, v25
	v_lshlrev_b64 v[12:13], v12, -1
	v_mov_b32_e32 v9, v51
	v_add_u32_e32 v26, 19, v25
	v_bfi_b32 v12, v12, 0, v8
	v_lshlrev_b64 v[26:27], v26, 1
	v_lshrrev_b64 v[8:9], v25, v[8:9]
	v_bfi_b32 v13, v13, 0, 0
	v_cmp_eq_u64_e64 s[28:29], v[12:13], v[26:27]
	v_mov_b32_e32 v13, v9
	v_mov_b32_e32 v12, v8
	s_and_saveexec_b64 s[48:49], s[28:29]
; %bb.3137:                             ;   in Loop: Header=BB6_2965 Depth=3
	v_bfe_u32 v9, v8, 20, 1
	v_add_co_u32_e64 v9, s[28:29], v8, v9
	v_add_co_u32_e64 v12, s[28:29], -1, v9
; %bb.3138:                             ;   in Loop: Header=BB6_2965 Depth=3
	s_or_b64 exec, exec, s[48:49]
	v_add_u32_e32 v9, 0xffffff81, v24
	v_mov_b32_e32 v13, 0xffffff82
	v_cndmask_b32_e32 v9, v9, v13, vcc
	v_lshrrev_b32_e32 v13, 23, v8
	v_add3_u32 v24, v25, v9, v13
	v_add_u32_e32 v13, 6, v24
	v_and_b32_e32 v9, 0xfffff, v12
	v_add_u32_e32 v8, v9, v8
	v_mov_b32_e32 v9, v51
	v_cmp_ne_u32_e32 vcc, 0, v13
                                        ; implicit-def: $vgpr12
	s_and_saveexec_b64 s[28:29], vcc
	s_xor_b64 s[28:29], exec, s[28:29]
; %bb.3139:                             ;   in Loop: Header=BB6_2965 Depth=3
	v_cmp_lt_u64_e32 vcc, s[88:89], v[8:9]
	v_add_u32_e32 v12, 7, v24
	v_cndmask_b32_e32 v12, v13, v12, vcc
	v_cndmask_b32_e64 v13, 0, 1, vcc
	v_lshrrev_b64 v[8:9], v13, v[8:9]
; %bb.3140:                             ;   in Loop: Header=BB6_2965 Depth=3
	s_andn2_saveexec_b64 s[28:29], s[28:29]
; %bb.3141:                             ;   in Loop: Header=BB6_2965 Depth=3
	v_bfe_u32 v12, v8, 23, 1
; %bb.3142:                             ;   in Loop: Header=BB6_2965 Depth=3
	s_or_b64 exec, exec, s[28:29]
	v_lshrrev_b64 v[8:9], 20, v[8:9]
	v_cmp_gt_i32_e32 vcc, 16, v12
	v_cndmask_b32_e32 v9, 0, v9, vcc
	v_cndmask_b32_e32 v8, 7, v8, vcc
	v_cmp_eq_u64_e64 s[28:29], 0, v[8:9]
	v_min_i32_e32 v9, 15, v12
	v_lshlrev_b32_e32 v9, 3, v9
	v_cmp_eq_u32_e32 vcc, 0, v12
	v_and_b32_e32 v9, 0xf8, v9
	v_and_or_b32 v8, v8, 7, v9
	s_and_b64 s[28:29], vcc, s[28:29]
	v_cndmask_b32_e64 v8, v8, 0, s[28:29]
	v_or_b32_e32 v24, v8, v14
.LBB6_3143:                             ;   in Loop: Header=BB6_2965 Depth=3
	s_or_b64 exec, exec, s[38:39]
                                        ; implicit-def: $vgpr14
.LBB6_3144:                             ;   in Loop: Header=BB6_2965 Depth=3
	s_andn2_saveexec_b64 s[28:29], s[36:37]
; %bb.3145:                             ;   in Loop: Header=BB6_2965 Depth=3
	v_or_b32_e32 v24, 0x7e, v14
; %bb.3146:                             ;   in Loop: Header=BB6_2965 Depth=3
	s_or_b64 exec, exec, s[28:29]
                                        ; implicit-def: $vgpr8
.LBB6_3147:                             ;   in Loop: Header=BB6_2965 Depth=3
	s_andn2_saveexec_b64 s[28:29], s[34:35]
; %bb.3148:                             ;   in Loop: Header=BB6_2965 Depth=3
	v_or_b32_sdwa v24, v8, s86 dst_sel:DWORD dst_unused:UNUSED_PAD src0_sel:BYTE_3 src1_sel:DWORD
; %bb.3149:                             ;   in Loop: Header=BB6_2965 Depth=3
	s_or_b64 exec, exec, s[28:29]
	v_cmp_ne_u16_sdwa vcc, v10, v51 src0_sel:BYTE_0 src1_sel:DWORD
	v_mov_b32_e32 v8, 0
	s_and_saveexec_b64 s[28:29], vcc
	s_cbranch_execz .LBB6_3155
; %bb.3150:                             ;   in Loop: Header=BB6_2965 Depth=3
	v_cmp_ne_u16_sdwa vcc, v10, s96 src0_sel:BYTE_0 src1_sel:DWORD
	v_bfrev_b32_e32 v8, 1
	s_and_saveexec_b64 s[34:35], vcc
	s_cbranch_execz .LBB6_3154
; %bb.3151:                             ;   in Loop: Header=BB6_2965 Depth=3
	v_and_b32_e32 v9, 0x7f, v10
	v_cmp_ne_u32_e32 vcc, s86, v9
	v_mov_b32_e32 v8, 0x7f800001
	s_and_saveexec_b64 s[36:37], vcc
	s_cbranch_execz .LBB6_3153
; %bb.3152:                             ;   in Loop: Header=BB6_2965 Depth=3
	v_and_b32_e32 v8, 7, v10
	v_ffbh_u32_e32 v8, v8
	v_min_u32_e32 v8, 32, v8
	v_lshrrev_b32_e32 v12, 3, v9
	v_cmp_gt_u32_e32 vcc, 8, v9
	v_subrev_u32_e32 v9, 28, v8
	v_sub_u32_e32 v8, 29, v8
	v_cndmask_b32_e32 v12, v12, v8, vcc
	v_cndmask_b32_e32 v8, 0, v9, vcc
	v_lshlrev_b64 v[8:9], v8, v[10:11]
	v_lshlrev_b32_e32 v9, 24, v10
	v_lshlrev_b32_e32 v8, 20, v8
	v_bfrev_b32_e32 v13, 60
	v_and_b32_e32 v8, 0x700000, v8
	v_and_b32_e32 v9, 0x80000000, v9
	v_lshl_add_u32 v12, v12, 23, v13
	v_or3_b32 v8, v9, v12, v8
.LBB6_3153:                             ;   in Loop: Header=BB6_2965 Depth=3
	s_or_b64 exec, exec, s[36:37]
.LBB6_3154:                             ;   in Loop: Header=BB6_2965 Depth=3
	s_or_b64 exec, exec, s[34:35]
.LBB6_3155:                             ;   in Loop: Header=BB6_2965 Depth=3
	s_or_b64 exec, exec, s[28:29]
	v_mul_f32_e32 v8, v17, v8
	v_and_b32_e32 v12, 0x7f800000, v8
	v_mov_b32_e32 v13, v51
	v_cmp_ne_u64_e32 vcc, s[76:77], v[12:13]
                                        ; implicit-def: $vgpr25
	s_and_saveexec_b64 s[28:29], vcc
	s_xor_b64 s[34:35], exec, s[28:29]
	s_cbranch_execz .LBB6_3169
; %bb.3156:                             ;   in Loop: Header=BB6_2965 Depth=3
	v_and_b32_e32 v12, 0x7fffffff, v8
	v_mov_b32_e32 v13, v51
	v_cmp_gt_u64_e32 vcc, s[78:79], v[12:13]
	v_and_b32_sdwa v14, v8, s96 dst_sel:DWORD dst_unused:UNUSED_PAD src0_sel:BYTE_3 src1_sel:DWORD
                                        ; implicit-def: $vgpr25
	s_and_saveexec_b64 s[28:29], vcc
	s_xor_b64 s[36:37], exec, s[28:29]
	s_cbranch_execz .LBB6_3166
; %bb.3157:                             ;   in Loop: Header=BB6_2965 Depth=3
	v_mov_b32_e32 v25, 0
	v_cmp_ne_u32_e32 vcc, 0, v8
	s_and_saveexec_b64 s[38:39], vcc
	s_cbranch_execz .LBB6_3165
; %bb.3158:                             ;   in Loop: Header=BB6_2965 Depth=3
	v_bfe_u32 v25, v8, 23, 8
	v_and_b32_e32 v9, 0x7fffff, v8
	v_cmp_gt_u32_e64 s[28:29], s97, v25
	v_sub_u32_e32 v8, 0x79, v25
	v_cmp_eq_u32_e32 vcc, 0, v25
	v_cndmask_b32_e64 v8, 0, v8, s[28:29]
	v_mov_b32_e32 v13, 0x78
	v_or_b32_e32 v12, 0x800000, v9
	v_cndmask_b32_e32 v26, v8, v13, vcc
	v_cndmask_b32_e32 v8, v12, v9, vcc
	v_add_u32_e32 v12, 20, v26
	v_lshlrev_b64 v[12:13], v12, -1
	v_mov_b32_e32 v9, v51
	v_add_u32_e32 v27, 19, v26
	v_bfi_b32 v12, v12, 0, v8
	v_lshlrev_b64 v[27:28], v27, 1
	v_lshrrev_b64 v[8:9], v26, v[8:9]
	v_bfi_b32 v13, v13, 0, 0
	v_cmp_eq_u64_e64 s[28:29], v[12:13], v[27:28]
	v_mov_b32_e32 v13, v9
	v_mov_b32_e32 v12, v8
	s_and_saveexec_b64 s[48:49], s[28:29]
; %bb.3159:                             ;   in Loop: Header=BB6_2965 Depth=3
	v_bfe_u32 v9, v8, 20, 1
	v_add_co_u32_e64 v9, s[28:29], v8, v9
	v_add_co_u32_e64 v12, s[28:29], -1, v9
; %bb.3160:                             ;   in Loop: Header=BB6_2965 Depth=3
	s_or_b64 exec, exec, s[48:49]
	v_add_u32_e32 v9, 0xffffff81, v25
	v_mov_b32_e32 v13, 0xffffff82
	v_cndmask_b32_e32 v9, v9, v13, vcc
	v_lshrrev_b32_e32 v13, 23, v8
	v_add3_u32 v25, v26, v9, v13
	v_add_u32_e32 v13, 6, v25
	v_and_b32_e32 v9, 0xfffff, v12
	v_add_u32_e32 v8, v9, v8
	v_mov_b32_e32 v9, v51
	v_cmp_ne_u32_e32 vcc, 0, v13
                                        ; implicit-def: $vgpr12
	s_and_saveexec_b64 s[28:29], vcc
	s_xor_b64 s[28:29], exec, s[28:29]
; %bb.3161:                             ;   in Loop: Header=BB6_2965 Depth=3
	v_cmp_lt_u64_e32 vcc, s[88:89], v[8:9]
	v_add_u32_e32 v12, 7, v25
	v_cndmask_b32_e32 v12, v13, v12, vcc
	v_cndmask_b32_e64 v13, 0, 1, vcc
	v_lshrrev_b64 v[8:9], v13, v[8:9]
; %bb.3162:                             ;   in Loop: Header=BB6_2965 Depth=3
	s_andn2_saveexec_b64 s[28:29], s[28:29]
; %bb.3163:                             ;   in Loop: Header=BB6_2965 Depth=3
	v_bfe_u32 v12, v8, 23, 1
; %bb.3164:                             ;   in Loop: Header=BB6_2965 Depth=3
	s_or_b64 exec, exec, s[28:29]
	v_lshrrev_b64 v[8:9], 20, v[8:9]
	v_cmp_gt_i32_e32 vcc, 16, v12
	v_cndmask_b32_e32 v9, 0, v9, vcc
	v_cndmask_b32_e32 v8, 7, v8, vcc
	v_cmp_eq_u64_e64 s[28:29], 0, v[8:9]
	v_min_i32_e32 v9, 15, v12
	v_lshlrev_b32_e32 v9, 3, v9
	v_cmp_eq_u32_e32 vcc, 0, v12
	v_and_b32_e32 v9, 0xf8, v9
	v_and_or_b32 v8, v8, 7, v9
	s_and_b64 s[28:29], vcc, s[28:29]
	v_cndmask_b32_e64 v8, v8, 0, s[28:29]
	v_or_b32_e32 v25, v8, v14
.LBB6_3165:                             ;   in Loop: Header=BB6_2965 Depth=3
	s_or_b64 exec, exec, s[38:39]
                                        ; implicit-def: $vgpr14
.LBB6_3166:                             ;   in Loop: Header=BB6_2965 Depth=3
	s_andn2_saveexec_b64 s[28:29], s[36:37]
; %bb.3167:                             ;   in Loop: Header=BB6_2965 Depth=3
	v_or_b32_e32 v25, 0x7e, v14
; %bb.3168:                             ;   in Loop: Header=BB6_2965 Depth=3
	s_or_b64 exec, exec, s[28:29]
                                        ; implicit-def: $vgpr8
.LBB6_3169:                             ;   in Loop: Header=BB6_2965 Depth=3
	s_andn2_saveexec_b64 s[28:29], s[34:35]
; %bb.3170:                             ;   in Loop: Header=BB6_2965 Depth=3
	v_or_b32_sdwa v25, v8, s86 dst_sel:DWORD dst_unused:UNUSED_PAD src0_sel:BYTE_3 src1_sel:DWORD
; %bb.3171:                             ;   in Loop: Header=BB6_2965 Depth=3
	s_or_b64 exec, exec, s[28:29]
	v_lshrrev_b16_e32 v8, 8, v10
	v_cmp_ne_u16_e32 vcc, 0, v8
	v_mov_b32_e32 v9, 0
	s_and_saveexec_b64 s[28:29], vcc
	s_cbranch_execz .LBB6_3177
; %bb.3172:                             ;   in Loop: Header=BB6_2965 Depth=3
	v_cmp_ne_u16_e32 vcc, s96, v8
	v_bfrev_b32_e32 v9, 1
	s_and_saveexec_b64 s[34:35], vcc
	s_cbranch_execz .LBB6_3176
; %bb.3173:                             ;   in Loop: Header=BB6_2965 Depth=3
	v_and_b32_e32 v12, 0x7f, v8
	v_cmp_ne_u32_e32 vcc, s86, v12
	v_mov_b32_e32 v9, 0x7f800001
	s_and_saveexec_b64 s[36:37], vcc
	s_cbranch_execz .LBB6_3175
; %bb.3174:                             ;   in Loop: Header=BB6_2965 Depth=3
	v_and_b32_e32 v13, 7, v8
	v_ffbh_u32_e32 v9, v13
	v_lshrrev_b32_e32 v14, 3, v12
	v_cmp_gt_u32_e32 vcc, 8, v12
	v_min_u32_e32 v12, 32, v9
	v_subrev_u32_e32 v9, 28, v12
	v_lshlrev_b64 v[8:9], v9, v[8:9]
	v_sub_u32_e32 v9, 29, v12
	v_and_b32_e32 v8, 7, v8
	v_cndmask_b32_e32 v9, v14, v9, vcc
	v_cndmask_b32_e32 v8, v13, v8, vcc
	v_lshlrev_b32_e32 v12, 16, v10
	v_bfrev_b32_e32 v13, 60
	v_lshlrev_b32_e32 v8, 20, v8
	v_and_b32_e32 v12, 0x80000000, v12
	v_lshl_add_u32 v9, v9, 23, v13
	v_or3_b32 v9, v12, v9, v8
.LBB6_3175:                             ;   in Loop: Header=BB6_2965 Depth=3
	s_or_b64 exec, exec, s[36:37]
.LBB6_3176:                             ;   in Loop: Header=BB6_2965 Depth=3
	s_or_b64 exec, exec, s[34:35]
.LBB6_3177:                             ;   in Loop: Header=BB6_2965 Depth=3
	s_or_b64 exec, exec, s[28:29]
	v_mul_f32_e32 v8, v17, v9
	v_and_b32_e32 v12, 0x7f800000, v8
	v_mov_b32_e32 v13, v51
	v_cmp_ne_u64_e32 vcc, s[76:77], v[12:13]
                                        ; implicit-def: $vgpr26
	s_and_saveexec_b64 s[28:29], vcc
	s_xor_b64 s[34:35], exec, s[28:29]
	s_cbranch_execz .LBB6_3191
; %bb.3178:                             ;   in Loop: Header=BB6_2965 Depth=3
	v_and_b32_e32 v12, 0x7fffffff, v8
	v_mov_b32_e32 v13, v51
	v_cmp_gt_u64_e32 vcc, s[78:79], v[12:13]
	v_and_b32_sdwa v14, v8, s96 dst_sel:DWORD dst_unused:UNUSED_PAD src0_sel:BYTE_3 src1_sel:DWORD
                                        ; implicit-def: $vgpr26
	s_and_saveexec_b64 s[28:29], vcc
	s_xor_b64 s[36:37], exec, s[28:29]
	s_cbranch_execz .LBB6_3188
; %bb.3179:                             ;   in Loop: Header=BB6_2965 Depth=3
	v_mov_b32_e32 v26, 0
	v_cmp_ne_u32_e32 vcc, 0, v8
	s_and_saveexec_b64 s[38:39], vcc
	s_cbranch_execz .LBB6_3187
; %bb.3180:                             ;   in Loop: Header=BB6_2965 Depth=3
	v_bfe_u32 v26, v8, 23, 8
	v_and_b32_e32 v9, 0x7fffff, v8
	v_cmp_gt_u32_e64 s[28:29], s97, v26
	v_sub_u32_e32 v8, 0x79, v26
	v_cmp_eq_u32_e32 vcc, 0, v26
	v_cndmask_b32_e64 v8, 0, v8, s[28:29]
	v_mov_b32_e32 v13, 0x78
	v_or_b32_e32 v12, 0x800000, v9
	v_cndmask_b32_e32 v27, v8, v13, vcc
	v_cndmask_b32_e32 v8, v12, v9, vcc
	v_add_u32_e32 v12, 20, v27
	v_lshlrev_b64 v[12:13], v12, -1
	v_mov_b32_e32 v9, v51
	v_add_u32_e32 v28, 19, v27
	v_bfi_b32 v12, v12, 0, v8
	v_lshlrev_b64 v[28:29], v28, 1
	v_lshrrev_b64 v[8:9], v27, v[8:9]
	v_bfi_b32 v13, v13, 0, 0
	v_cmp_eq_u64_e64 s[28:29], v[12:13], v[28:29]
	v_mov_b32_e32 v13, v9
	v_mov_b32_e32 v12, v8
	s_and_saveexec_b64 s[48:49], s[28:29]
; %bb.3181:                             ;   in Loop: Header=BB6_2965 Depth=3
	v_bfe_u32 v9, v8, 20, 1
	v_add_co_u32_e64 v9, s[28:29], v8, v9
	v_add_co_u32_e64 v12, s[28:29], -1, v9
; %bb.3182:                             ;   in Loop: Header=BB6_2965 Depth=3
	s_or_b64 exec, exec, s[48:49]
	v_add_u32_e32 v9, 0xffffff81, v26
	v_mov_b32_e32 v13, 0xffffff82
	v_cndmask_b32_e32 v9, v9, v13, vcc
	v_lshrrev_b32_e32 v13, 23, v8
	v_add3_u32 v26, v27, v9, v13
	v_add_u32_e32 v13, 6, v26
	v_and_b32_e32 v9, 0xfffff, v12
	v_add_u32_e32 v8, v9, v8
	v_mov_b32_e32 v9, v51
	v_cmp_ne_u32_e32 vcc, 0, v13
                                        ; implicit-def: $vgpr12
	s_and_saveexec_b64 s[28:29], vcc
	s_xor_b64 s[28:29], exec, s[28:29]
; %bb.3183:                             ;   in Loop: Header=BB6_2965 Depth=3
	v_cmp_lt_u64_e32 vcc, s[88:89], v[8:9]
	v_add_u32_e32 v12, 7, v26
	v_cndmask_b32_e32 v12, v13, v12, vcc
	v_cndmask_b32_e64 v13, 0, 1, vcc
	v_lshrrev_b64 v[8:9], v13, v[8:9]
; %bb.3184:                             ;   in Loop: Header=BB6_2965 Depth=3
	s_andn2_saveexec_b64 s[28:29], s[28:29]
; %bb.3185:                             ;   in Loop: Header=BB6_2965 Depth=3
	v_bfe_u32 v12, v8, 23, 1
; %bb.3186:                             ;   in Loop: Header=BB6_2965 Depth=3
	s_or_b64 exec, exec, s[28:29]
	v_lshrrev_b64 v[8:9], 20, v[8:9]
	v_cmp_gt_i32_e32 vcc, 16, v12
	v_cndmask_b32_e32 v9, 0, v9, vcc
	v_cndmask_b32_e32 v8, 7, v8, vcc
	v_cmp_eq_u64_e64 s[28:29], 0, v[8:9]
	v_min_i32_e32 v9, 15, v12
	v_lshlrev_b32_e32 v9, 3, v9
	v_cmp_eq_u32_e32 vcc, 0, v12
	v_and_b32_e32 v9, 0xf8, v9
	v_and_or_b32 v8, v8, 7, v9
	s_and_b64 s[28:29], vcc, s[28:29]
	v_cndmask_b32_e64 v8, v8, 0, s[28:29]
	v_or_b32_e32 v26, v8, v14
.LBB6_3187:                             ;   in Loop: Header=BB6_2965 Depth=3
	s_or_b64 exec, exec, s[38:39]
                                        ; implicit-def: $vgpr14
.LBB6_3188:                             ;   in Loop: Header=BB6_2965 Depth=3
	s_andn2_saveexec_b64 s[28:29], s[36:37]
; %bb.3189:                             ;   in Loop: Header=BB6_2965 Depth=3
	v_or_b32_e32 v26, 0x7e, v14
; %bb.3190:                             ;   in Loop: Header=BB6_2965 Depth=3
	s_or_b64 exec, exec, s[28:29]
                                        ; implicit-def: $vgpr8
.LBB6_3191:                             ;   in Loop: Header=BB6_2965 Depth=3
	s_andn2_saveexec_b64 s[28:29], s[34:35]
; %bb.3192:                             ;   in Loop: Header=BB6_2965 Depth=3
	v_or_b32_sdwa v26, v8, s86 dst_sel:DWORD dst_unused:UNUSED_PAD src0_sel:BYTE_3 src1_sel:DWORD
; %bb.3193:                             ;   in Loop: Header=BB6_2965 Depth=3
	s_or_b64 exec, exec, s[28:29]
	v_lshrrev_b32_e32 v8, 16, v10
	v_cmp_ne_u16_sdwa vcc, v8, v51 src0_sel:BYTE_0 src1_sel:DWORD
	v_mov_b32_e32 v9, 0
	s_and_saveexec_b64 s[28:29], vcc
	s_cbranch_execz .LBB6_3199
; %bb.3194:                             ;   in Loop: Header=BB6_2965 Depth=3
	v_cmp_ne_u16_sdwa vcc, v8, s96 src0_sel:BYTE_0 src1_sel:DWORD
	v_bfrev_b32_e32 v9, 1
	s_and_saveexec_b64 s[34:35], vcc
	s_cbranch_execz .LBB6_3198
; %bb.3195:                             ;   in Loop: Header=BB6_2965 Depth=3
	v_bfe_u32 v12, v10, 16, 7
	v_cmp_ne_u32_e32 vcc, s86, v12
	v_mov_b32_e32 v9, 0x7f800001
	s_and_saveexec_b64 s[36:37], vcc
	s_cbranch_execz .LBB6_3197
; %bb.3196:                             ;   in Loop: Header=BB6_2965 Depth=3
	v_and_b32_e32 v9, 7, v8
	v_lshrrev_b32_e32 v14, 3, v12
	v_cmp_gt_u32_e32 vcc, 8, v12
	v_ffbh_u32_e32 v12, v9
	v_min_u32_e32 v27, 32, v12
	v_subrev_u32_e32 v12, 28, v27
	v_lshlrev_b64 v[12:13], v12, v[8:9]
	v_sub_u32_e32 v13, 29, v27
	v_and_b32_e32 v12, 7, v12
	v_cndmask_b32_e32 v13, v14, v13, vcc
	v_cndmask_b32_e32 v9, v9, v12, vcc
	v_lshlrev_b32_e32 v8, 24, v8
	v_bfrev_b32_e32 v12, 60
	v_lshlrev_b32_e32 v9, 20, v9
	v_and_b32_e32 v8, 0x80000000, v8
	v_lshl_add_u32 v12, v13, 23, v12
	v_or3_b32 v9, v8, v12, v9
.LBB6_3197:                             ;   in Loop: Header=BB6_2965 Depth=3
	s_or_b64 exec, exec, s[36:37]
.LBB6_3198:                             ;   in Loop: Header=BB6_2965 Depth=3
	s_or_b64 exec, exec, s[34:35]
.LBB6_3199:                             ;   in Loop: Header=BB6_2965 Depth=3
	s_or_b64 exec, exec, s[28:29]
	v_mul_f32_e32 v8, v17, v9
	v_and_b32_e32 v12, 0x7f800000, v8
	v_mov_b32_e32 v13, v51
	v_cmp_ne_u64_e32 vcc, s[76:77], v[12:13]
                                        ; implicit-def: $vgpr27
	s_and_saveexec_b64 s[28:29], vcc
	s_xor_b64 s[34:35], exec, s[28:29]
	s_cbranch_execz .LBB6_3213
; %bb.3200:                             ;   in Loop: Header=BB6_2965 Depth=3
	v_and_b32_e32 v12, 0x7fffffff, v8
	v_mov_b32_e32 v13, v51
	v_cmp_gt_u64_e32 vcc, s[78:79], v[12:13]
	v_and_b32_sdwa v14, v8, s96 dst_sel:DWORD dst_unused:UNUSED_PAD src0_sel:BYTE_3 src1_sel:DWORD
                                        ; implicit-def: $vgpr27
	s_and_saveexec_b64 s[28:29], vcc
	s_xor_b64 s[36:37], exec, s[28:29]
	s_cbranch_execz .LBB6_3210
; %bb.3201:                             ;   in Loop: Header=BB6_2965 Depth=3
	v_mov_b32_e32 v27, 0
	v_cmp_ne_u32_e32 vcc, 0, v8
	s_and_saveexec_b64 s[38:39], vcc
	s_cbranch_execz .LBB6_3209
; %bb.3202:                             ;   in Loop: Header=BB6_2965 Depth=3
	v_bfe_u32 v27, v8, 23, 8
	v_and_b32_e32 v9, 0x7fffff, v8
	v_cmp_gt_u32_e64 s[28:29], s97, v27
	v_sub_u32_e32 v8, 0x79, v27
	v_cmp_eq_u32_e32 vcc, 0, v27
	v_cndmask_b32_e64 v8, 0, v8, s[28:29]
	v_mov_b32_e32 v13, 0x78
	v_or_b32_e32 v12, 0x800000, v9
	v_cndmask_b32_e32 v28, v8, v13, vcc
	v_cndmask_b32_e32 v8, v12, v9, vcc
	v_add_u32_e32 v12, 20, v28
	v_lshlrev_b64 v[12:13], v12, -1
	v_mov_b32_e32 v9, v51
	v_add_u32_e32 v29, 19, v28
	v_bfi_b32 v12, v12, 0, v8
	v_lshlrev_b64 v[29:30], v29, 1
	v_lshrrev_b64 v[8:9], v28, v[8:9]
	v_bfi_b32 v13, v13, 0, 0
	v_cmp_eq_u64_e64 s[28:29], v[12:13], v[29:30]
	v_mov_b32_e32 v13, v9
	v_mov_b32_e32 v12, v8
	s_and_saveexec_b64 s[48:49], s[28:29]
; %bb.3203:                             ;   in Loop: Header=BB6_2965 Depth=3
	v_bfe_u32 v9, v8, 20, 1
	v_add_co_u32_e64 v9, s[28:29], v8, v9
	v_add_co_u32_e64 v12, s[28:29], -1, v9
; %bb.3204:                             ;   in Loop: Header=BB6_2965 Depth=3
	s_or_b64 exec, exec, s[48:49]
	v_add_u32_e32 v9, 0xffffff81, v27
	v_mov_b32_e32 v13, 0xffffff82
	v_cndmask_b32_e32 v9, v9, v13, vcc
	v_lshrrev_b32_e32 v13, 23, v8
	v_add3_u32 v27, v28, v9, v13
	v_add_u32_e32 v13, 6, v27
	v_and_b32_e32 v9, 0xfffff, v12
	v_add_u32_e32 v8, v9, v8
	v_mov_b32_e32 v9, v51
	v_cmp_ne_u32_e32 vcc, 0, v13
                                        ; implicit-def: $vgpr12
	s_and_saveexec_b64 s[28:29], vcc
	s_xor_b64 s[28:29], exec, s[28:29]
; %bb.3205:                             ;   in Loop: Header=BB6_2965 Depth=3
	v_cmp_lt_u64_e32 vcc, s[88:89], v[8:9]
	v_add_u32_e32 v12, 7, v27
	v_cndmask_b32_e32 v12, v13, v12, vcc
	v_cndmask_b32_e64 v13, 0, 1, vcc
	v_lshrrev_b64 v[8:9], v13, v[8:9]
; %bb.3206:                             ;   in Loop: Header=BB6_2965 Depth=3
	s_andn2_saveexec_b64 s[28:29], s[28:29]
; %bb.3207:                             ;   in Loop: Header=BB6_2965 Depth=3
	v_bfe_u32 v12, v8, 23, 1
; %bb.3208:                             ;   in Loop: Header=BB6_2965 Depth=3
	s_or_b64 exec, exec, s[28:29]
	v_lshrrev_b64 v[8:9], 20, v[8:9]
	v_cmp_gt_i32_e32 vcc, 16, v12
	v_cndmask_b32_e32 v9, 0, v9, vcc
	v_cndmask_b32_e32 v8, 7, v8, vcc
	v_cmp_eq_u64_e64 s[28:29], 0, v[8:9]
	v_min_i32_e32 v9, 15, v12
	v_lshlrev_b32_e32 v9, 3, v9
	v_cmp_eq_u32_e32 vcc, 0, v12
	v_and_b32_e32 v9, 0xf8, v9
	v_and_or_b32 v8, v8, 7, v9
	s_and_b64 s[28:29], vcc, s[28:29]
	v_cndmask_b32_e64 v8, v8, 0, s[28:29]
	v_or_b32_e32 v27, v8, v14
.LBB6_3209:                             ;   in Loop: Header=BB6_2965 Depth=3
	s_or_b64 exec, exec, s[38:39]
                                        ; implicit-def: $vgpr14
.LBB6_3210:                             ;   in Loop: Header=BB6_2965 Depth=3
	s_andn2_saveexec_b64 s[28:29], s[36:37]
; %bb.3211:                             ;   in Loop: Header=BB6_2965 Depth=3
	v_or_b32_e32 v27, 0x7e, v14
; %bb.3212:                             ;   in Loop: Header=BB6_2965 Depth=3
	s_or_b64 exec, exec, s[28:29]
                                        ; implicit-def: $vgpr8
.LBB6_3213:                             ;   in Loop: Header=BB6_2965 Depth=3
	s_andn2_saveexec_b64 s[28:29], s[34:35]
; %bb.3214:                             ;   in Loop: Header=BB6_2965 Depth=3
	v_or_b32_sdwa v27, v8, s86 dst_sel:DWORD dst_unused:UNUSED_PAD src0_sel:BYTE_3 src1_sel:DWORD
; %bb.3215:                             ;   in Loop: Header=BB6_2965 Depth=3
	s_or_b64 exec, exec, s[28:29]
	v_cmp_lt_u32_e32 vcc, s57, v10
	v_mov_b32_e32 v9, 0
	s_and_saveexec_b64 s[28:29], vcc
	s_cbranch_execz .LBB6_3221
; %bb.3216:                             ;   in Loop: Header=BB6_2965 Depth=3
	v_lshrrev_b32_e32 v8, 24, v10
	v_cmp_ne_u32_e32 vcc, s96, v8
	v_bfrev_b32_e32 v9, 1
	s_and_saveexec_b64 s[34:35], vcc
	s_cbranch_execz .LBB6_3220
; %bb.3217:                             ;   in Loop: Header=BB6_2965 Depth=3
	v_bfe_u32 v12, v10, 24, 7
	v_cmp_ne_u32_e32 vcc, s86, v12
	v_mov_b32_e32 v9, 0x7f800001
	s_and_saveexec_b64 s[36:37], vcc
	s_cbranch_execz .LBB6_3219
; %bb.3218:                             ;   in Loop: Header=BB6_2965 Depth=3
	v_and_b32_e32 v9, 7, v8
	v_lshrrev_b32_e32 v14, 3, v12
	v_cmp_gt_u32_e32 vcc, 8, v12
	v_ffbh_u32_e32 v12, v9
	v_min_u32_e32 v28, 32, v12
	v_subrev_u32_e32 v12, 28, v28
	v_lshlrev_b64 v[12:13], v12, v[8:9]
	v_sub_u32_e32 v13, 29, v28
	v_and_b32_e32 v12, 7, v12
	v_cndmask_b32_e32 v13, v14, v13, vcc
	v_cndmask_b32_e32 v9, v9, v12, vcc
	v_lshlrev_b32_e32 v8, 24, v8
	v_bfrev_b32_e32 v12, 60
	v_lshlrev_b32_e32 v9, 20, v9
	v_and_b32_e32 v8, 0x80000000, v8
	v_lshl_add_u32 v12, v13, 23, v12
	v_or3_b32 v9, v8, v12, v9
.LBB6_3219:                             ;   in Loop: Header=BB6_2965 Depth=3
	s_or_b64 exec, exec, s[36:37]
.LBB6_3220:                             ;   in Loop: Header=BB6_2965 Depth=3
	s_or_b64 exec, exec, s[34:35]
.LBB6_3221:                             ;   in Loop: Header=BB6_2965 Depth=3
	s_or_b64 exec, exec, s[28:29]
	v_mul_f32_e32 v8, v17, v9
	v_and_b32_e32 v12, 0x7f800000, v8
	v_mov_b32_e32 v13, v51
	v_cmp_ne_u64_e32 vcc, s[76:77], v[12:13]
                                        ; implicit-def: $vgpr28
	s_and_saveexec_b64 s[28:29], vcc
	s_xor_b64 s[34:35], exec, s[28:29]
	s_cbranch_execz .LBB6_3235
; %bb.3222:                             ;   in Loop: Header=BB6_2965 Depth=3
	v_and_b32_e32 v12, 0x7fffffff, v8
	v_mov_b32_e32 v13, v51
	v_cmp_gt_u64_e32 vcc, s[78:79], v[12:13]
	v_and_b32_sdwa v14, v8, s96 dst_sel:DWORD dst_unused:UNUSED_PAD src0_sel:BYTE_3 src1_sel:DWORD
                                        ; implicit-def: $vgpr28
	s_and_saveexec_b64 s[28:29], vcc
	s_xor_b64 s[36:37], exec, s[28:29]
	s_cbranch_execz .LBB6_3232
; %bb.3223:                             ;   in Loop: Header=BB6_2965 Depth=3
	v_mov_b32_e32 v28, 0
	v_cmp_ne_u32_e32 vcc, 0, v8
	s_and_saveexec_b64 s[38:39], vcc
	s_cbranch_execz .LBB6_3231
; %bb.3224:                             ;   in Loop: Header=BB6_2965 Depth=3
	v_bfe_u32 v28, v8, 23, 8
	v_and_b32_e32 v9, 0x7fffff, v8
	v_cmp_gt_u32_e64 s[28:29], s97, v28
	v_sub_u32_e32 v8, 0x79, v28
	v_cmp_eq_u32_e32 vcc, 0, v28
	v_cndmask_b32_e64 v8, 0, v8, s[28:29]
	v_mov_b32_e32 v13, 0x78
	v_or_b32_e32 v12, 0x800000, v9
	v_cndmask_b32_e32 v29, v8, v13, vcc
	v_cndmask_b32_e32 v8, v12, v9, vcc
	v_add_u32_e32 v12, 20, v29
	v_lshlrev_b64 v[12:13], v12, -1
	v_mov_b32_e32 v9, v51
	v_add_u32_e32 v30, 19, v29
	v_bfi_b32 v12, v12, 0, v8
	v_lshlrev_b64 v[30:31], v30, 1
	v_lshrrev_b64 v[8:9], v29, v[8:9]
	v_bfi_b32 v13, v13, 0, 0
	v_cmp_eq_u64_e64 s[28:29], v[12:13], v[30:31]
	v_mov_b32_e32 v13, v9
	v_mov_b32_e32 v12, v8
	s_and_saveexec_b64 s[48:49], s[28:29]
; %bb.3225:                             ;   in Loop: Header=BB6_2965 Depth=3
	v_bfe_u32 v9, v8, 20, 1
	v_add_co_u32_e64 v9, s[28:29], v8, v9
	v_add_co_u32_e64 v12, s[28:29], -1, v9
; %bb.3226:                             ;   in Loop: Header=BB6_2965 Depth=3
	s_or_b64 exec, exec, s[48:49]
	v_add_u32_e32 v9, 0xffffff81, v28
	v_mov_b32_e32 v13, 0xffffff82
	v_cndmask_b32_e32 v9, v9, v13, vcc
	v_lshrrev_b32_e32 v13, 23, v8
	v_add3_u32 v28, v29, v9, v13
	v_add_u32_e32 v13, 6, v28
	v_and_b32_e32 v9, 0xfffff, v12
	v_add_u32_e32 v8, v9, v8
	v_mov_b32_e32 v9, v51
	v_cmp_ne_u32_e32 vcc, 0, v13
                                        ; implicit-def: $vgpr12
	s_and_saveexec_b64 s[28:29], vcc
	s_xor_b64 s[28:29], exec, s[28:29]
; %bb.3227:                             ;   in Loop: Header=BB6_2965 Depth=3
	v_cmp_lt_u64_e32 vcc, s[88:89], v[8:9]
	v_add_u32_e32 v12, 7, v28
	v_cndmask_b32_e32 v12, v13, v12, vcc
	v_cndmask_b32_e64 v13, 0, 1, vcc
	v_lshrrev_b64 v[8:9], v13, v[8:9]
; %bb.3228:                             ;   in Loop: Header=BB6_2965 Depth=3
	s_andn2_saveexec_b64 s[28:29], s[28:29]
; %bb.3229:                             ;   in Loop: Header=BB6_2965 Depth=3
	v_bfe_u32 v12, v8, 23, 1
; %bb.3230:                             ;   in Loop: Header=BB6_2965 Depth=3
	s_or_b64 exec, exec, s[28:29]
	v_lshrrev_b64 v[8:9], 20, v[8:9]
	v_cmp_gt_i32_e32 vcc, 16, v12
	v_cndmask_b32_e32 v9, 0, v9, vcc
	v_cndmask_b32_e32 v8, 7, v8, vcc
	v_cmp_eq_u64_e64 s[28:29], 0, v[8:9]
	v_min_i32_e32 v9, 15, v12
	v_lshlrev_b32_e32 v9, 3, v9
	v_cmp_eq_u32_e32 vcc, 0, v12
	v_and_b32_e32 v9, 0xf8, v9
	v_and_or_b32 v8, v8, 7, v9
	s_and_b64 s[28:29], vcc, s[28:29]
	v_cndmask_b32_e64 v8, v8, 0, s[28:29]
	v_or_b32_e32 v28, v8, v14
.LBB6_3231:                             ;   in Loop: Header=BB6_2965 Depth=3
	s_or_b64 exec, exec, s[38:39]
                                        ; implicit-def: $vgpr14
.LBB6_3232:                             ;   in Loop: Header=BB6_2965 Depth=3
	s_andn2_saveexec_b64 s[28:29], s[36:37]
; %bb.3233:                             ;   in Loop: Header=BB6_2965 Depth=3
	v_or_b32_e32 v28, 0x7e, v14
; %bb.3234:                             ;   in Loop: Header=BB6_2965 Depth=3
	s_or_b64 exec, exec, s[28:29]
                                        ; implicit-def: $vgpr8
.LBB6_3235:                             ;   in Loop: Header=BB6_2965 Depth=3
	s_andn2_saveexec_b64 s[28:29], s[34:35]
; %bb.3236:                             ;   in Loop: Header=BB6_2965 Depth=3
	v_or_b32_sdwa v28, v8, s86 dst_sel:DWORD dst_unused:UNUSED_PAD src0_sel:BYTE_3 src1_sel:DWORD
; %bb.3237:                             ;   in Loop: Header=BB6_2965 Depth=3
	s_or_b64 exec, exec, s[28:29]
	v_mov_b32_e32 v8, v11
	v_mov_b32_e32 v9, v51
	v_cmp_ne_u16_sdwa vcc, v11, v51 src0_sel:BYTE_0 src1_sel:DWORD
	v_mov_b32_e32 v12, 0
	s_and_saveexec_b64 s[28:29], vcc
	s_cbranch_execz .LBB6_3243
; %bb.3238:                             ;   in Loop: Header=BB6_2965 Depth=3
	v_cmp_ne_u16_sdwa vcc, v11, s96 src0_sel:BYTE_0 src1_sel:DWORD
	v_bfrev_b32_e32 v12, 1
	s_and_saveexec_b64 s[34:35], vcc
	s_cbranch_execz .LBB6_3242
; %bb.3239:                             ;   in Loop: Header=BB6_2965 Depth=3
	v_and_b32_e32 v13, 0x7f, v11
	v_cmp_ne_u32_e32 vcc, s86, v13
	v_mov_b32_e32 v12, 0x7f800001
	s_and_saveexec_b64 s[36:37], vcc
	s_cbranch_execz .LBB6_3241
; %bb.3240:                             ;   in Loop: Header=BB6_2965 Depth=3
	v_and_b32_e32 v12, 7, v11
	v_ffbh_u32_e32 v12, v12
	v_min_u32_e32 v12, 32, v12
	v_lshrrev_b32_e32 v14, 3, v13
	v_cmp_gt_u32_e32 vcc, 8, v13
	v_subrev_u32_e32 v13, 28, v12
	v_sub_u32_e32 v12, 29, v12
	v_cndmask_b32_e32 v14, v14, v12, vcc
	v_cndmask_b32_e32 v12, 0, v13, vcc
	v_lshlrev_b64 v[12:13], v12, v[8:9]
	v_bfrev_b32_e32 v13, 60
	v_lshlrev_b32_e32 v9, 20, v12
	v_lshlrev_b32_e32 v12, 24, v8
	v_and_b32_e32 v9, 0x700000, v9
	v_and_b32_e32 v12, 0x80000000, v12
	v_lshl_add_u32 v13, v14, 23, v13
	v_or3_b32 v12, v12, v13, v9
.LBB6_3241:                             ;   in Loop: Header=BB6_2965 Depth=3
	s_or_b64 exec, exec, s[36:37]
.LBB6_3242:                             ;   in Loop: Header=BB6_2965 Depth=3
	s_or_b64 exec, exec, s[34:35]
.LBB6_3243:                             ;   in Loop: Header=BB6_2965 Depth=3
	s_or_b64 exec, exec, s[28:29]
	v_mul_f32_e32 v12, v17, v12
	v_and_b32_e32 v13, 0x7f800000, v12
	v_mov_b32_e32 v14, v51
	v_cmp_ne_u64_e32 vcc, s[76:77], v[13:14]
                                        ; implicit-def: $vgpr14
	s_and_saveexec_b64 s[28:29], vcc
	s_xor_b64 s[34:35], exec, s[28:29]
	s_cbranch_execz .LBB6_3257
; %bb.3244:                             ;   in Loop: Header=BB6_2965 Depth=3
	v_and_b32_e32 v13, 0x7fffffff, v12
	v_mov_b32_e32 v14, v51
	v_cmp_gt_u64_e32 vcc, s[78:79], v[13:14]
	v_and_b32_sdwa v9, v12, s96 dst_sel:DWORD dst_unused:UNUSED_PAD src0_sel:BYTE_3 src1_sel:DWORD
                                        ; implicit-def: $vgpr14
	s_and_saveexec_b64 s[28:29], vcc
	s_xor_b64 s[36:37], exec, s[28:29]
	s_cbranch_execz .LBB6_3254
; %bb.3245:                             ;   in Loop: Header=BB6_2965 Depth=3
	v_mov_b32_e32 v14, 0
	v_cmp_ne_u32_e32 vcc, 0, v12
	s_and_saveexec_b64 s[38:39], vcc
	s_cbranch_execz .LBB6_3253
; %bb.3246:                             ;   in Loop: Header=BB6_2965 Depth=3
	v_bfe_u32 v29, v12, 23, 8
	v_and_b32_e32 v13, 0x7fffff, v12
	v_cmp_gt_u32_e64 s[28:29], s97, v29
	v_sub_u32_e32 v12, 0x79, v29
	v_cmp_eq_u32_e32 vcc, 0, v29
	v_cndmask_b32_e64 v12, 0, v12, s[28:29]
	v_mov_b32_e32 v30, 0x78
	v_or_b32_e32 v14, 0x800000, v13
	v_cndmask_b32_e32 v30, v12, v30, vcc
	v_cndmask_b32_e32 v12, v14, v13, vcc
	v_add_u32_e32 v14, 20, v30
	v_lshlrev_b64 v[31:32], v14, -1
	v_mov_b32_e32 v13, v51
	v_add_u32_e32 v14, 19, v30
	v_bfi_b32 v31, v31, 0, v12
	v_lshlrev_b64 v[33:34], v14, 1
	v_lshrrev_b64 v[12:13], v30, v[12:13]
	v_bfi_b32 v32, v32, 0, 0
	v_cmp_eq_u64_e64 s[28:29], v[31:32], v[33:34]
	v_mov_b32_e32 v14, v13
	v_mov_b32_e32 v13, v12
	s_and_saveexec_b64 s[48:49], s[28:29]
; %bb.3247:                             ;   in Loop: Header=BB6_2965 Depth=3
	v_bfe_u32 v13, v12, 20, 1
	v_add_co_u32_e64 v13, s[28:29], v12, v13
	v_add_co_u32_e64 v13, s[28:29], -1, v13
; %bb.3248:                             ;   in Loop: Header=BB6_2965 Depth=3
	s_or_b64 exec, exec, s[48:49]
	v_add_u32_e32 v14, 0xffffff81, v29
	v_mov_b32_e32 v29, 0xffffff82
	v_cndmask_b32_e32 v14, v14, v29, vcc
	v_lshrrev_b32_e32 v29, 23, v12
	v_add3_u32 v30, v30, v14, v29
	v_add_u32_e32 v29, 6, v30
	v_and_b32_e32 v13, 0xfffff, v13
	v_add_u32_e32 v12, v13, v12
	v_mov_b32_e32 v13, v51
	v_cmp_ne_u32_e32 vcc, 0, v29
                                        ; implicit-def: $vgpr14
	s_and_saveexec_b64 s[28:29], vcc
	s_xor_b64 s[28:29], exec, s[28:29]
; %bb.3249:                             ;   in Loop: Header=BB6_2965 Depth=3
	v_cmp_lt_u64_e32 vcc, s[88:89], v[12:13]
	v_add_u32_e32 v14, 7, v30
	v_cndmask_b32_e32 v14, v29, v14, vcc
	v_cndmask_b32_e64 v29, 0, 1, vcc
	v_lshrrev_b64 v[12:13], v29, v[12:13]
; %bb.3250:                             ;   in Loop: Header=BB6_2965 Depth=3
	s_andn2_saveexec_b64 s[28:29], s[28:29]
; %bb.3251:                             ;   in Loop: Header=BB6_2965 Depth=3
	v_bfe_u32 v14, v12, 23, 1
; %bb.3252:                             ;   in Loop: Header=BB6_2965 Depth=3
	s_or_b64 exec, exec, s[28:29]
	v_lshrrev_b64 v[12:13], 20, v[12:13]
	v_cmp_gt_i32_e32 vcc, 16, v14
	v_cndmask_b32_e32 v13, 0, v13, vcc
	v_cndmask_b32_e32 v12, 7, v12, vcc
	v_cmp_eq_u64_e64 s[28:29], 0, v[12:13]
	v_min_i32_e32 v13, 15, v14
	v_lshlrev_b32_e32 v13, 3, v13
	v_cmp_eq_u32_e32 vcc, 0, v14
	v_and_b32_e32 v13, 0xf8, v13
	v_and_or_b32 v12, v12, 7, v13
	s_and_b64 s[28:29], vcc, s[28:29]
	v_cndmask_b32_e64 v12, v12, 0, s[28:29]
	v_or_b32_e32 v14, v12, v9
.LBB6_3253:                             ;   in Loop: Header=BB6_2965 Depth=3
	s_or_b64 exec, exec, s[38:39]
                                        ; implicit-def: $vgpr9
.LBB6_3254:                             ;   in Loop: Header=BB6_2965 Depth=3
	s_andn2_saveexec_b64 s[28:29], s[36:37]
; %bb.3255:                             ;   in Loop: Header=BB6_2965 Depth=3
	v_or_b32_e32 v14, 0x7e, v9
; %bb.3256:                             ;   in Loop: Header=BB6_2965 Depth=3
	s_or_b64 exec, exec, s[28:29]
                                        ; implicit-def: $vgpr12
.LBB6_3257:                             ;   in Loop: Header=BB6_2965 Depth=3
	s_andn2_saveexec_b64 s[28:29], s[34:35]
; %bb.3258:                             ;   in Loop: Header=BB6_2965 Depth=3
	v_or_b32_sdwa v14, v12, s86 dst_sel:DWORD dst_unused:UNUSED_PAD src0_sel:BYTE_3 src1_sel:DWORD
; %bb.3259:                             ;   in Loop: Header=BB6_2965 Depth=3
	s_or_b64 exec, exec, s[28:29]
	v_lshrrev_b16_e32 v9, 8, v8
	v_cmp_ne_u16_e32 vcc, 0, v9
	v_mov_b32_e32 v12, 0
	s_and_saveexec_b64 s[28:29], vcc
	s_cbranch_execz .LBB6_3265
; %bb.3260:                             ;   in Loop: Header=BB6_2965 Depth=3
	v_cmp_ne_u16_e32 vcc, s96, v9
	v_bfrev_b32_e32 v12, 1
	s_and_saveexec_b64 s[34:35], vcc
	s_cbranch_execz .LBB6_3264
; %bb.3261:                             ;   in Loop: Header=BB6_2965 Depth=3
	v_and_b32_e32 v13, 0x7f, v9
	v_cmp_ne_u32_e32 vcc, s86, v13
	v_mov_b32_e32 v12, 0x7f800001
	s_and_saveexec_b64 s[36:37], vcc
	s_cbranch_execz .LBB6_3263
; %bb.3262:                             ;   in Loop: Header=BB6_2965 Depth=3
	v_and_b32_e32 v29, 7, v9
	v_ffbh_u32_e32 v12, v29
	v_min_u32_e32 v31, 32, v12
	v_subrev_u32_e32 v12, 28, v31
	v_lshrrev_b32_e32 v30, 3, v13
	v_cmp_gt_u32_e32 vcc, 8, v13
	v_lshlrev_b64 v[12:13], v12, v[9:10]
	v_sub_u32_e32 v9, 29, v31
	v_and_b32_e32 v12, 7, v12
	v_cndmask_b32_e32 v9, v30, v9, vcc
	v_cndmask_b32_e32 v12, v29, v12, vcc
	v_lshlrev_b32_e32 v8, 16, v8
	v_bfrev_b32_e32 v13, 60
	v_lshlrev_b32_e32 v12, 20, v12
	v_and_b32_e32 v8, 0x80000000, v8
	v_lshl_add_u32 v9, v9, 23, v13
	v_or3_b32 v12, v8, v9, v12
.LBB6_3263:                             ;   in Loop: Header=BB6_2965 Depth=3
	s_or_b64 exec, exec, s[36:37]
.LBB6_3264:                             ;   in Loop: Header=BB6_2965 Depth=3
	s_or_b64 exec, exec, s[34:35]
.LBB6_3265:                             ;   in Loop: Header=BB6_2965 Depth=3
	s_or_b64 exec, exec, s[28:29]
	v_mul_f32_e32 v8, v17, v12
	v_and_b32_e32 v12, 0x7f800000, v8
	v_mov_b32_e32 v13, v51
	v_cmp_ne_u64_e32 vcc, s[76:77], v[12:13]
                                        ; implicit-def: $vgpr29
	s_and_saveexec_b64 s[28:29], vcc
	s_xor_b64 s[34:35], exec, s[28:29]
	s_cbranch_execz .LBB6_3279
; %bb.3266:                             ;   in Loop: Header=BB6_2965 Depth=3
	v_and_b32_e32 v12, 0x7fffffff, v8
	v_mov_b32_e32 v13, v51
	v_cmp_gt_u64_e32 vcc, s[78:79], v[12:13]
	v_and_b32_sdwa v30, v8, s96 dst_sel:DWORD dst_unused:UNUSED_PAD src0_sel:BYTE_3 src1_sel:DWORD
                                        ; implicit-def: $vgpr29
	s_and_saveexec_b64 s[28:29], vcc
	s_xor_b64 s[36:37], exec, s[28:29]
	s_cbranch_execz .LBB6_3276
; %bb.3267:                             ;   in Loop: Header=BB6_2965 Depth=3
	v_mov_b32_e32 v29, 0
	v_cmp_ne_u32_e32 vcc, 0, v8
	s_and_saveexec_b64 s[38:39], vcc
	s_cbranch_execz .LBB6_3275
; %bb.3268:                             ;   in Loop: Header=BB6_2965 Depth=3
	v_bfe_u32 v29, v8, 23, 8
	v_and_b32_e32 v9, 0x7fffff, v8
	v_cmp_gt_u32_e64 s[28:29], s97, v29
	v_sub_u32_e32 v8, 0x79, v29
	v_cmp_eq_u32_e32 vcc, 0, v29
	v_cndmask_b32_e64 v8, 0, v8, s[28:29]
	v_mov_b32_e32 v13, 0x78
	v_or_b32_e32 v12, 0x800000, v9
	v_cndmask_b32_e32 v31, v8, v13, vcc
	v_cndmask_b32_e32 v8, v12, v9, vcc
	v_add_u32_e32 v12, 20, v31
	v_lshlrev_b64 v[12:13], v12, -1
	v_mov_b32_e32 v9, v51
	v_add_u32_e32 v32, 19, v31
	v_bfi_b32 v12, v12, 0, v8
	v_lshlrev_b64 v[32:33], v32, 1
	v_lshrrev_b64 v[8:9], v31, v[8:9]
	v_bfi_b32 v13, v13, 0, 0
	v_cmp_eq_u64_e64 s[28:29], v[12:13], v[32:33]
	v_mov_b32_e32 v13, v9
	v_mov_b32_e32 v12, v8
	s_and_saveexec_b64 s[48:49], s[28:29]
; %bb.3269:                             ;   in Loop: Header=BB6_2965 Depth=3
	v_bfe_u32 v9, v8, 20, 1
	v_add_co_u32_e64 v9, s[28:29], v8, v9
	v_add_co_u32_e64 v12, s[28:29], -1, v9
; %bb.3270:                             ;   in Loop: Header=BB6_2965 Depth=3
	s_or_b64 exec, exec, s[48:49]
	v_add_u32_e32 v9, 0xffffff81, v29
	v_mov_b32_e32 v13, 0xffffff82
	v_cndmask_b32_e32 v9, v9, v13, vcc
	v_lshrrev_b32_e32 v13, 23, v8
	v_add3_u32 v29, v31, v9, v13
	v_add_u32_e32 v13, 6, v29
	v_and_b32_e32 v9, 0xfffff, v12
	v_add_u32_e32 v8, v9, v8
	v_mov_b32_e32 v9, v51
	v_cmp_ne_u32_e32 vcc, 0, v13
                                        ; implicit-def: $vgpr12
	s_and_saveexec_b64 s[28:29], vcc
	s_xor_b64 s[28:29], exec, s[28:29]
; %bb.3271:                             ;   in Loop: Header=BB6_2965 Depth=3
	v_cmp_lt_u64_e32 vcc, s[88:89], v[8:9]
	v_add_u32_e32 v12, 7, v29
	v_cndmask_b32_e32 v12, v13, v12, vcc
	v_cndmask_b32_e64 v13, 0, 1, vcc
	v_lshrrev_b64 v[8:9], v13, v[8:9]
; %bb.3272:                             ;   in Loop: Header=BB6_2965 Depth=3
	s_andn2_saveexec_b64 s[28:29], s[28:29]
; %bb.3273:                             ;   in Loop: Header=BB6_2965 Depth=3
	v_bfe_u32 v12, v8, 23, 1
; %bb.3274:                             ;   in Loop: Header=BB6_2965 Depth=3
	s_or_b64 exec, exec, s[28:29]
	v_lshrrev_b64 v[8:9], 20, v[8:9]
	v_cmp_gt_i32_e32 vcc, 16, v12
	v_cndmask_b32_e32 v9, 0, v9, vcc
	v_cndmask_b32_e32 v8, 7, v8, vcc
	v_cmp_eq_u64_e64 s[28:29], 0, v[8:9]
	v_min_i32_e32 v9, 15, v12
	v_lshlrev_b32_e32 v9, 3, v9
	v_cmp_eq_u32_e32 vcc, 0, v12
	v_and_b32_e32 v9, 0xf8, v9
	v_and_or_b32 v8, v8, 7, v9
	s_and_b64 s[28:29], vcc, s[28:29]
	v_cndmask_b32_e64 v8, v8, 0, s[28:29]
	v_or_b32_e32 v29, v8, v30
.LBB6_3275:                             ;   in Loop: Header=BB6_2965 Depth=3
	s_or_b64 exec, exec, s[38:39]
                                        ; implicit-def: $vgpr30
.LBB6_3276:                             ;   in Loop: Header=BB6_2965 Depth=3
	s_andn2_saveexec_b64 s[28:29], s[36:37]
; %bb.3277:                             ;   in Loop: Header=BB6_2965 Depth=3
	v_or_b32_e32 v29, 0x7e, v30
; %bb.3278:                             ;   in Loop: Header=BB6_2965 Depth=3
	s_or_b64 exec, exec, s[28:29]
                                        ; implicit-def: $vgpr8
.LBB6_3279:                             ;   in Loop: Header=BB6_2965 Depth=3
	s_andn2_saveexec_b64 s[28:29], s[34:35]
; %bb.3280:                             ;   in Loop: Header=BB6_2965 Depth=3
	v_or_b32_sdwa v29, v8, s86 dst_sel:DWORD dst_unused:UNUSED_PAD src0_sel:BYTE_3 src1_sel:DWORD
; %bb.3281:                             ;   in Loop: Header=BB6_2965 Depth=3
	s_or_b64 exec, exec, s[28:29]
	v_lshrrev_b32_e32 v8, 16, v11
	v_cmp_ne_u16_sdwa vcc, v8, v51 src0_sel:BYTE_0 src1_sel:DWORD
	v_mov_b32_e32 v9, 0
	s_and_saveexec_b64 s[28:29], vcc
	s_cbranch_execz .LBB6_3287
; %bb.3282:                             ;   in Loop: Header=BB6_2965 Depth=3
	v_cmp_ne_u16_sdwa vcc, v8, s96 src0_sel:BYTE_0 src1_sel:DWORD
	v_bfrev_b32_e32 v9, 1
	s_and_saveexec_b64 s[34:35], vcc
	s_cbranch_execz .LBB6_3286
; %bb.3283:                             ;   in Loop: Header=BB6_2965 Depth=3
	v_bfe_u32 v12, v11, 16, 7
	v_cmp_ne_u32_e32 vcc, s86, v12
	v_mov_b32_e32 v9, 0x7f800001
	s_and_saveexec_b64 s[36:37], vcc
	s_cbranch_execz .LBB6_3285
; %bb.3284:                             ;   in Loop: Header=BB6_2965 Depth=3
	v_and_b32_e32 v9, 7, v8
	v_lshrrev_b32_e32 v30, 3, v12
	v_cmp_gt_u32_e32 vcc, 8, v12
	v_ffbh_u32_e32 v12, v9
	v_min_u32_e32 v31, 32, v12
	v_subrev_u32_e32 v12, 28, v31
	v_lshlrev_b64 v[12:13], v12, v[8:9]
	v_sub_u32_e32 v13, 29, v31
	v_and_b32_e32 v12, 7, v12
	v_cndmask_b32_e32 v13, v30, v13, vcc
	v_cndmask_b32_e32 v9, v9, v12, vcc
	v_lshlrev_b32_e32 v8, 24, v8
	v_bfrev_b32_e32 v12, 60
	v_lshlrev_b32_e32 v9, 20, v9
	v_and_b32_e32 v8, 0x80000000, v8
	v_lshl_add_u32 v12, v13, 23, v12
	v_or3_b32 v9, v8, v12, v9
.LBB6_3285:                             ;   in Loop: Header=BB6_2965 Depth=3
	s_or_b64 exec, exec, s[36:37]
.LBB6_3286:                             ;   in Loop: Header=BB6_2965 Depth=3
	s_or_b64 exec, exec, s[34:35]
.LBB6_3287:                             ;   in Loop: Header=BB6_2965 Depth=3
	s_or_b64 exec, exec, s[28:29]
	v_mul_f32_e32 v8, v17, v9
	v_and_b32_e32 v12, 0x7f800000, v8
	v_mov_b32_e32 v13, v51
	v_cmp_ne_u64_e32 vcc, s[76:77], v[12:13]
                                        ; implicit-def: $vgpr12
	s_and_saveexec_b64 s[28:29], vcc
	s_xor_b64 s[34:35], exec, s[28:29]
	s_cbranch_execz .LBB6_3301
; %bb.3288:                             ;   in Loop: Header=BB6_2965 Depth=3
	v_and_b32_e32 v12, 0x7fffffff, v8
	v_mov_b32_e32 v13, v51
	v_cmp_gt_u64_e32 vcc, s[78:79], v[12:13]
	v_and_b32_sdwa v30, v8, s96 dst_sel:DWORD dst_unused:UNUSED_PAD src0_sel:BYTE_3 src1_sel:DWORD
                                        ; implicit-def: $vgpr12
	s_and_saveexec_b64 s[28:29], vcc
	s_xor_b64 s[36:37], exec, s[28:29]
	s_cbranch_execz .LBB6_3298
; %bb.3289:                             ;   in Loop: Header=BB6_2965 Depth=3
	v_mov_b32_e32 v12, 0
	v_cmp_ne_u32_e32 vcc, 0, v8
	s_and_saveexec_b64 s[38:39], vcc
	s_cbranch_execz .LBB6_3297
; %bb.3290:                             ;   in Loop: Header=BB6_2965 Depth=3
	v_bfe_u32 v31, v8, 23, 8
	v_and_b32_e32 v9, 0x7fffff, v8
	v_cmp_gt_u32_e64 s[28:29], s97, v31
	v_sub_u32_e32 v8, 0x79, v31
	v_cmp_eq_u32_e32 vcc, 0, v31
	v_cndmask_b32_e64 v8, 0, v8, s[28:29]
	v_mov_b32_e32 v13, 0x78
	v_or_b32_e32 v12, 0x800000, v9
	v_cndmask_b32_e32 v32, v8, v13, vcc
	v_cndmask_b32_e32 v8, v12, v9, vcc
	v_add_u32_e32 v12, 20, v32
	v_lshlrev_b64 v[12:13], v12, -1
	v_mov_b32_e32 v9, v51
	v_add_u32_e32 v33, 19, v32
	v_bfi_b32 v12, v12, 0, v8
	v_lshlrev_b64 v[33:34], v33, 1
	v_lshrrev_b64 v[8:9], v32, v[8:9]
	v_bfi_b32 v13, v13, 0, 0
	v_cmp_eq_u64_e64 s[28:29], v[12:13], v[33:34]
	v_mov_b32_e32 v13, v9
	v_mov_b32_e32 v12, v8
	s_and_saveexec_b64 s[48:49], s[28:29]
; %bb.3291:                             ;   in Loop: Header=BB6_2965 Depth=3
	v_bfe_u32 v9, v8, 20, 1
	v_add_co_u32_e64 v9, s[28:29], v8, v9
	v_add_co_u32_e64 v12, s[28:29], -1, v9
; %bb.3292:                             ;   in Loop: Header=BB6_2965 Depth=3
	s_or_b64 exec, exec, s[48:49]
	v_add_u32_e32 v9, 0xffffff81, v31
	v_mov_b32_e32 v13, 0xffffff82
	v_cndmask_b32_e32 v9, v9, v13, vcc
	v_lshrrev_b32_e32 v13, 23, v8
	v_add3_u32 v31, v32, v9, v13
	v_add_u32_e32 v13, 6, v31
	v_and_b32_e32 v9, 0xfffff, v12
	v_add_u32_e32 v8, v9, v8
	v_mov_b32_e32 v9, v51
	v_cmp_ne_u32_e32 vcc, 0, v13
                                        ; implicit-def: $vgpr12
	s_and_saveexec_b64 s[28:29], vcc
	s_xor_b64 s[28:29], exec, s[28:29]
; %bb.3293:                             ;   in Loop: Header=BB6_2965 Depth=3
	v_cmp_lt_u64_e32 vcc, s[88:89], v[8:9]
	v_add_u32_e32 v12, 7, v31
	v_cndmask_b32_e32 v12, v13, v12, vcc
	v_cndmask_b32_e64 v13, 0, 1, vcc
	v_lshrrev_b64 v[8:9], v13, v[8:9]
; %bb.3294:                             ;   in Loop: Header=BB6_2965 Depth=3
	s_andn2_saveexec_b64 s[28:29], s[28:29]
; %bb.3295:                             ;   in Loop: Header=BB6_2965 Depth=3
	v_bfe_u32 v12, v8, 23, 1
; %bb.3296:                             ;   in Loop: Header=BB6_2965 Depth=3
	s_or_b64 exec, exec, s[28:29]
	v_lshrrev_b64 v[8:9], 20, v[8:9]
	v_cmp_gt_i32_e32 vcc, 16, v12
	v_cndmask_b32_e32 v9, 0, v9, vcc
	v_cndmask_b32_e32 v8, 7, v8, vcc
	v_cmp_eq_u64_e64 s[28:29], 0, v[8:9]
	v_min_i32_e32 v9, 15, v12
	v_lshlrev_b32_e32 v9, 3, v9
	v_cmp_eq_u32_e32 vcc, 0, v12
	v_and_b32_e32 v9, 0xf8, v9
	v_and_or_b32 v8, v8, 7, v9
	s_and_b64 s[28:29], vcc, s[28:29]
	v_cndmask_b32_e64 v8, v8, 0, s[28:29]
	v_or_b32_e32 v12, v8, v30
.LBB6_3297:                             ;   in Loop: Header=BB6_2965 Depth=3
	s_or_b64 exec, exec, s[38:39]
                                        ; implicit-def: $vgpr30
.LBB6_3298:                             ;   in Loop: Header=BB6_2965 Depth=3
	s_andn2_saveexec_b64 s[28:29], s[36:37]
; %bb.3299:                             ;   in Loop: Header=BB6_2965 Depth=3
	v_or_b32_e32 v12, 0x7e, v30
; %bb.3300:                             ;   in Loop: Header=BB6_2965 Depth=3
	s_or_b64 exec, exec, s[28:29]
                                        ; implicit-def: $vgpr8
.LBB6_3301:                             ;   in Loop: Header=BB6_2965 Depth=3
	s_andn2_saveexec_b64 s[28:29], s[34:35]
; %bb.3302:                             ;   in Loop: Header=BB6_2965 Depth=3
	v_or_b32_sdwa v12, v8, s86 dst_sel:DWORD dst_unused:UNUSED_PAD src0_sel:BYTE_3 src1_sel:DWORD
; %bb.3303:                             ;   in Loop: Header=BB6_2965 Depth=3
	s_or_b64 exec, exec, s[28:29]
	v_cmp_lt_u64_e32 vcc, s[56:57], v[10:11]
	v_mov_b32_e32 v9, 0
	s_and_saveexec_b64 s[28:29], vcc
	s_cbranch_execz .LBB6_3309
; %bb.3304:                             ;   in Loop: Header=BB6_2965 Depth=3
	v_lshrrev_b32_e32 v8, 24, v11
	v_cmp_ne_u32_e32 vcc, s96, v8
	v_bfrev_b32_e32 v9, 1
	s_and_saveexec_b64 s[34:35], vcc
	s_cbranch_execz .LBB6_3308
; %bb.3305:                             ;   in Loop: Header=BB6_2965 Depth=3
	v_bfe_u32 v10, v11, 24, 7
	v_cmp_ne_u32_e32 vcc, s86, v10
	v_mov_b32_e32 v9, 0x7f800001
	s_and_saveexec_b64 s[36:37], vcc
	s_cbranch_execz .LBB6_3307
; %bb.3306:                             ;   in Loop: Header=BB6_2965 Depth=3
	v_and_b32_e32 v11, 7, v8
	v_ffbh_u32_e32 v9, v11
	v_min_u32_e32 v30, 32, v9
	v_subrev_u32_e32 v9, 28, v30
	v_lshrrev_b32_e32 v13, 3, v10
	v_cmp_gt_u32_e32 vcc, 8, v10
	v_lshlrev_b64 v[9:10], v9, v[8:9]
	v_sub_u32_e32 v10, 29, v30
	v_and_b32_e32 v9, 7, v9
	v_cndmask_b32_e32 v10, v13, v10, vcc
	v_cndmask_b32_e32 v9, v11, v9, vcc
	v_lshlrev_b32_e32 v8, 24, v8
	v_bfrev_b32_e32 v11, 60
	v_lshlrev_b32_e32 v9, 20, v9
	v_and_b32_e32 v8, 0x80000000, v8
	v_lshl_add_u32 v10, v10, 23, v11
	v_or3_b32 v9, v8, v10, v9
.LBB6_3307:                             ;   in Loop: Header=BB6_2965 Depth=3
	s_or_b64 exec, exec, s[36:37]
.LBB6_3308:                             ;   in Loop: Header=BB6_2965 Depth=3
	s_or_b64 exec, exec, s[34:35]
.LBB6_3309:                             ;   in Loop: Header=BB6_2965 Depth=3
	s_or_b64 exec, exec, s[28:29]
	v_mul_f32_e32 v9, v17, v9
	v_and_b32_e32 v10, 0x7f800000, v9
	v_mov_b32_e32 v11, v51
	v_cmp_ne_u64_e32 vcc, s[76:77], v[10:11]
                                        ; implicit-def: $vgpr8
	s_and_saveexec_b64 s[28:29], vcc
	s_xor_b64 s[34:35], exec, s[28:29]
	s_cbranch_execz .LBB6_3323
; %bb.3310:                             ;   in Loop: Header=BB6_2965 Depth=3
	v_and_b32_e32 v10, 0x7fffffff, v9
	v_mov_b32_e32 v11, v51
	v_cmp_gt_u64_e32 vcc, s[78:79], v[10:11]
	v_and_b32_sdwa v11, v9, s96 dst_sel:DWORD dst_unused:UNUSED_PAD src0_sel:BYTE_3 src1_sel:DWORD
                                        ; implicit-def: $vgpr8
	s_and_saveexec_b64 s[28:29], vcc
	s_xor_b64 s[36:37], exec, s[28:29]
	s_cbranch_execz .LBB6_3320
; %bb.3311:                             ;   in Loop: Header=BB6_2965 Depth=3
	v_mov_b32_e32 v8, 0
	v_cmp_ne_u32_e32 vcc, 0, v9
	s_and_saveexec_b64 s[38:39], vcc
	s_cbranch_execz .LBB6_3319
; %bb.3312:                             ;   in Loop: Header=BB6_2965 Depth=3
	v_bfe_u32 v13, v9, 23, 8
	v_and_b32_e32 v8, 0x7fffff, v9
	v_cmp_gt_u32_e64 s[28:29], s97, v13
	v_sub_u32_e32 v9, 0x79, v13
	v_cmp_eq_u32_e32 vcc, 0, v13
	v_cndmask_b32_e64 v9, 0, v9, s[28:29]
	v_mov_b32_e32 v17, 0x78
	v_or_b32_e32 v10, 0x800000, v8
	v_cndmask_b32_e32 v17, v9, v17, vcc
	v_cndmask_b32_e32 v8, v10, v8, vcc
	v_add_u32_e32 v10, 20, v17
	v_lshlrev_b64 v[30:31], v10, -1
	v_mov_b32_e32 v9, v51
	v_add_u32_e32 v10, 19, v17
	v_bfi_b32 v30, v30, 0, v8
	v_lshlrev_b64 v[32:33], v10, 1
	v_lshrrev_b64 v[8:9], v17, v[8:9]
	v_bfi_b32 v31, v31, 0, 0
	v_cmp_eq_u64_e64 s[28:29], v[30:31], v[32:33]
	v_mov_b32_e32 v10, v9
	v_mov_b32_e32 v9, v8
	s_and_saveexec_b64 s[48:49], s[28:29]
; %bb.3313:                             ;   in Loop: Header=BB6_2965 Depth=3
	v_bfe_u32 v9, v8, 20, 1
	v_add_co_u32_e64 v9, s[28:29], v8, v9
	v_add_co_u32_e64 v9, s[28:29], -1, v9
; %bb.3314:                             ;   in Loop: Header=BB6_2965 Depth=3
	s_or_b64 exec, exec, s[48:49]
	v_add_u32_e32 v10, 0xffffff81, v13
	v_mov_b32_e32 v13, 0xffffff82
	v_cndmask_b32_e32 v10, v10, v13, vcc
	v_lshrrev_b32_e32 v13, 23, v8
	v_add3_u32 v17, v17, v10, v13
	v_add_u32_e32 v13, 6, v17
	v_and_b32_e32 v9, 0xfffff, v9
	v_add_u32_e32 v8, v9, v8
	v_mov_b32_e32 v9, v51
	v_cmp_ne_u32_e32 vcc, 0, v13
                                        ; implicit-def: $vgpr10
	s_and_saveexec_b64 s[28:29], vcc
	s_xor_b64 s[28:29], exec, s[28:29]
; %bb.3315:                             ;   in Loop: Header=BB6_2965 Depth=3
	v_cmp_lt_u64_e32 vcc, s[88:89], v[8:9]
	v_add_u32_e32 v10, 7, v17
	v_cndmask_b32_e32 v10, v13, v10, vcc
	v_cndmask_b32_e64 v13, 0, 1, vcc
	v_lshrrev_b64 v[8:9], v13, v[8:9]
; %bb.3316:                             ;   in Loop: Header=BB6_2965 Depth=3
	s_andn2_saveexec_b64 s[28:29], s[28:29]
; %bb.3317:                             ;   in Loop: Header=BB6_2965 Depth=3
	v_bfe_u32 v10, v8, 23, 1
; %bb.3318:                             ;   in Loop: Header=BB6_2965 Depth=3
	s_or_b64 exec, exec, s[28:29]
	v_lshrrev_b64 v[8:9], 20, v[8:9]
	v_cmp_gt_i32_e32 vcc, 16, v10
	v_cndmask_b32_e32 v9, 0, v9, vcc
	v_cndmask_b32_e32 v8, 7, v8, vcc
	v_cmp_eq_u64_e64 s[28:29], 0, v[8:9]
	v_min_i32_e32 v9, 15, v10
	v_lshlrev_b32_e32 v9, 3, v9
	v_cmp_eq_u32_e32 vcc, 0, v10
	v_and_b32_e32 v9, 0xf8, v9
	v_and_or_b32 v8, v8, 7, v9
	s_and_b64 s[28:29], vcc, s[28:29]
	v_cndmask_b32_e64 v8, v8, 0, s[28:29]
	v_or_b32_e32 v8, v8, v11
.LBB6_3319:                             ;   in Loop: Header=BB6_2965 Depth=3
	s_or_b64 exec, exec, s[38:39]
                                        ; implicit-def: $vgpr11
.LBB6_3320:                             ;   in Loop: Header=BB6_2965 Depth=3
	s_andn2_saveexec_b64 s[28:29], s[36:37]
; %bb.3321:                             ;   in Loop: Header=BB6_2965 Depth=3
	v_or_b32_e32 v8, 0x7e, v11
; %bb.3322:                             ;   in Loop: Header=BB6_2965 Depth=3
	s_or_b64 exec, exec, s[28:29]
                                        ; implicit-def: $vgpr9
.LBB6_3323:                             ;   in Loop: Header=BB6_2965 Depth=3
	s_andn2_saveexec_b64 s[28:29], s[34:35]
	s_cbranch_execz .LBB6_2964
; %bb.3324:                             ;   in Loop: Header=BB6_2965 Depth=3
	v_or_b32_sdwa v8, v9, s86 dst_sel:DWORD dst_unused:UNUSED_PAD src0_sel:BYTE_3 src1_sel:DWORD
	s_branch .LBB6_2964
.LBB6_3325:                             ;   in Loop: Header=BB6_57 Depth=2
	s_or_b64 exec, exec, s[30:31]
.LBB6_3326:                             ;   in Loop: Header=BB6_57 Depth=2
	s_or_b64 exec, exec, s[94:95]
	buffer_load_dword v5, off, s[0:3], s33 offset:604 ; 4-byte Folded Reload
	v_cmp_lt_i32_e32 vcc, 0, v4
	s_waitcnt vmcnt(0)
	v_and_b32_e32 v5, 15, v5
	v_sub_u32_e32 v6, v1, v5
	v_cndmask_b32_e64 v6, 0, v6, s[26:27]
	v_add3_u32 v0, v0, v3, v6
	buffer_load_dword v3, off, s[0:3], s33 offset:92 ; 4-byte Folded Reload
	v_cndmask_b32_e64 v1, v1, v5, s[26:27]
	s_waitcnt vmcnt(0)
	v_cndmask_b32_e32 v3, 0, v3, vcc
	v_sub_u32_e32 v3, v3, v4
	v_cmp_ne_u32_e32 vcc, 0, v1
	v_lshl_add_u32 v2, v3, 6, v2
	s_and_b64 s[26:27], vcc, exec
.LBB6_3327:                             ;   in Loop: Header=BB6_57 Depth=2
	s_or_b64 exec, exec, s[92:93]
	buffer_load_dword v44, off, s[0:3], s33 offset:620 ; 4-byte Folded Reload
	buffer_load_dword v45, off, s[0:3], s33 offset:608 ; 4-byte Folded Reload
	;; [unrolled: 1-line block ×6, first 2 shown]
	s_and_saveexec_b64 s[28:29], s[26:27]
	s_cbranch_execz .LBB6_4204
.LBB6_3328:                             ;   in Loop: Header=BB6_57 Depth=2
	s_waitcnt vmcnt(1)
	v_ashrrev_i32_e32 v3, 31, v2
	v_ashrrev_i32_e32 v5, 31, v1
	v_lshrrev_b32_e32 v3, 26, v3
	v_lshrrev_b32_e32 v5, 21, v5
	v_add_u32_e32 v4, v2, v3
	v_add_u32_e32 v5, v1, v5
	v_ashrrev_i32_e32 v3, 6, v4
	v_ashrrev_i32_e32 v7, 11, v5
	v_sub_u32_e32 v6, v7, v3
	v_cmp_lt_i32_e32 vcc, 0, v6
	s_and_saveexec_b64 s[92:93], vcc
	s_cbranch_execz .LBB6_4169
; %bb.3329:                             ;   in Loop: Header=BB6_57 Depth=2
	v_and_b32_e32 v4, 0xffffffc0, v4
	v_sub_u32_e32 v4, v2, v4
	v_lshlrev_b32_e32 v5, 11, v3
	v_add3_u32 v13, v0, v4, v5
	v_ashrrev_i32_e32 v14, 31, v13
	s_mov_b64 s[94:95], 0
	s_branch .LBB6_3331
.LBB6_3330:                             ;   in Loop: Header=BB6_3331 Depth=3
	s_or_b64 exec, exec, s[26:27]
	v_add_co_u32_e32 v52, vcc, v13, v58
	v_addc_co_u32_e32 v53, vcc, v14, v59, vcc
	flat_store_byte v[52:53], v4 glc slc
	flat_store_byte v[52:53], v5 offset:64 glc slc
	flat_store_byte v[52:53], v15 offset:128 glc slc
	;; [unrolled: 1-line block ×31, first 2 shown]
	buffer_load_dword v4, off, s[0:3], s33 offset:92 ; 4-byte Folded Reload
	s_waitcnt vmcnt(0)
	v_sub_u32_e32 v6, v6, v4
	buffer_load_dword v4, off, s[0:3], s33 offset:304 ; 4-byte Folded Reload
	s_waitcnt vmcnt(0)
	v_add_co_u32_e32 v56, vcc, v56, v4
	v_addc_co_u32_e32 v57, vcc, 0, v57, vcc
	v_cmp_gt_i32_e32 vcc, 1, v6
	s_or_b64 s[94:95], vcc, s[94:95]
	v_add_co_u32_e32 v58, vcc, v58, v4
	v_addc_co_u32_e32 v59, vcc, 0, v59, vcc
	s_andn2_b64 exec, exec, s[94:95]
	s_cbranch_execz .LBB6_4168
.LBB6_3331:                             ;   Parent Loop BB6_47 Depth=1
                                        ;     Parent Loop BB6_57 Depth=2
                                        ; =>    This Inner Loop Header: Depth=3
	s_trap 2
	ds_read_b64 v[4:5], v0
	s_waitcnt lgkmcnt(0)
	v_cmp_eq_u32_sdwa vcc, v4, v51 src0_sel:BYTE_0 src1_sel:DWORD
	v_readfirstlane_b32 s26, v4
	v_readfirstlane_b32 s27, v5
	s_and_b64 vcc, exec, vcc
	s_cbranch_vccnz .LBB6_3335
; %bb.3332:                             ;   in Loop: Header=BB6_3331 Depth=3
	v_cmp_eq_u32_sdwa vcc, v4, s96 src0_sel:BYTE_0 src1_sel:DWORD
	s_brev_b32 s45, 1
	s_and_b64 vcc, exec, vcc
	s_cbranch_vccnz .LBB6_3336
; %bb.3333:                             ;   in Loop: Header=BB6_3331 Depth=3
	s_and_b32 vcc_lo, s26, 0x7f
	s_cmpk_eq_i32 vcc_lo, 0x7f
	s_mov_b32 s45, 0x7f800001
	s_cbranch_scc1 .LBB6_3336
; %bb.3334:                             ;   in Loop: Header=BB6_3331 Depth=3
	s_and_b32 s45, s26, 7
	s_flbit_i32_b32 s45, s45
	s_min_u32 s45, s45, 32
	s_lshr_b32 vcc_hi, vcc_lo, 3
	s_sub_i32 s30, s45, 28
	s_sub_i32 s45, 29, s45
	s_cmp_lt_u32 vcc_lo, 8
	s_cselect_b32 s45, s45, vcc_hi
	s_cselect_b32 vcc_lo, s30, 0
	s_lshl_b64 vcc, s[26:27], vcc_lo
	s_lshl_b32 s26, s26, 24
	s_lshl_b32 s45, s45, 23
	s_lshl_b32 s27, vcc_lo, 20
	s_and_b32 s26, s26, 0x80000000
	s_add_i32 s45, s45, 0x3c000000
	s_and_b32 s27, s27, 0x700000
	s_or_b32 s26, s26, s45
	s_or_b32 s45, s26, s27
	s_branch .LBB6_3336
.LBB6_3335:                             ;   in Loop: Header=BB6_3331 Depth=3
	s_mov_b32 s45, 0
.LBB6_3336:                             ;   in Loop: Header=BB6_3331 Depth=3
	v_add_co_u32_e32 v8, vcc, v13, v56
	v_addc_co_u32_e32 v9, vcc, v14, v57, vcc
	flat_load_ubyte v4, v[8:9] glc slc
	v_mov_b32_e32 v5, 0
	s_waitcnt vmcnt(0) lgkmcnt(0)
	v_cmp_ne_u16_e32 vcc, 0, v4
	s_and_saveexec_b64 s[26:27], vcc
	s_cbranch_execz .LBB6_3342
; %bb.3337:                             ;   in Loop: Header=BB6_3331 Depth=3
	v_cmp_ne_u16_e32 vcc, s96, v4
	v_bfrev_b32_e32 v5, 1
	s_and_saveexec_b64 s[30:31], vcc
	s_cbranch_execz .LBB6_3341
; %bb.3338:                             ;   in Loop: Header=BB6_3331 Depth=3
	v_and_b32_e32 v10, 0xffff, v4
	v_and_b32_e32 v11, 0x7f, v10
	v_cmp_ne_u32_e32 vcc, s86, v11
	v_mov_b32_e32 v5, 0x7f800001
	s_and_saveexec_b64 s[34:35], vcc
	s_cbranch_execz .LBB6_3340
; %bb.3339:                             ;   in Loop: Header=BB6_3331 Depth=3
	v_and_b32_e32 v5, 7, v10
	v_lshrrev_b32_e32 v12, 3, v11
	v_cmp_gt_u32_e32 vcc, 8, v11
	v_ffbh_u32_e32 v11, v5
	v_min_u32_e32 v15, 32, v11
	v_subrev_u32_e32 v11, 28, v15
	v_lshlrev_b64 v[10:11], v11, v[10:11]
	v_sub_u32_e32 v11, 29, v15
	v_and_b32_e32 v10, 7, v10
	v_cndmask_b32_e32 v11, v12, v11, vcc
	v_cndmask_b32_e32 v5, v5, v10, vcc
	v_lshlrev_b32_e32 v4, 24, v4
	v_bfrev_b32_e32 v10, 60
	v_lshlrev_b32_e32 v5, 20, v5
	v_and_b32_e32 v4, 0x80000000, v4
	v_lshl_add_u32 v10, v11, 23, v10
	v_or3_b32 v5, v4, v10, v5
.LBB6_3340:                             ;   in Loop: Header=BB6_3331 Depth=3
	s_or_b64 exec, exec, s[34:35]
.LBB6_3341:                             ;   in Loop: Header=BB6_3331 Depth=3
	s_or_b64 exec, exec, s[30:31]
.LBB6_3342:                             ;   in Loop: Header=BB6_3331 Depth=3
	s_or_b64 exec, exec, s[26:27]
	v_mul_f32_e32 v10, s45, v5
	v_and_b32_e32 v4, 0x7f800000, v10
	v_mov_b32_e32 v5, v51
	v_cmp_ne_u64_e32 vcc, s[76:77], v[4:5]
                                        ; implicit-def: $vgpr4
	s_and_saveexec_b64 s[26:27], vcc
	s_xor_b64 s[30:31], exec, s[26:27]
	s_cbranch_execz .LBB6_3360
; %bb.3343:                             ;   in Loop: Header=BB6_3331 Depth=3
	v_and_b32_e32 v4, 0x7fffffff, v10
	v_mov_b32_e32 v5, v51
	v_cmp_gt_u64_e32 vcc, s[78:79], v[4:5]
	v_and_b32_sdwa v5, v10, s96 dst_sel:DWORD dst_unused:UNUSED_PAD src0_sel:BYTE_3 src1_sel:DWORD
                                        ; implicit-def: $vgpr4
	s_and_saveexec_b64 s[26:27], vcc
	s_xor_b64 s[34:35], exec, s[26:27]
	s_cbranch_execz .LBB6_3357
; %bb.3344:                             ;   in Loop: Header=BB6_3331 Depth=3
	v_cmp_ne_u32_e32 vcc, 0, v10
	v_mov_b32_e32 v4, 0
	s_and_saveexec_b64 s[36:37], vcc
	s_cbranch_execz .LBB6_3356
; %bb.3345:                             ;   in Loop: Header=BB6_3331 Depth=3
	v_bfe_u32 v4, v10, 23, 8
	v_and_b32_e32 v11, 0x7fffff, v10
	v_cmp_gt_u32_e64 s[26:27], s97, v4
	v_sub_u32_e32 v10, 0x79, v4
	v_cmp_eq_u32_e32 vcc, 0, v4
	v_cndmask_b32_e64 v10, 0, v10, s[26:27]
	v_mov_b32_e32 v15, 0x78
	v_or_b32_e32 v12, 0x800000, v11
	v_cndmask_b32_e32 v15, v10, v15, vcc
	v_cndmask_b32_e32 v10, v12, v11, vcc
	v_add_u32_e32 v12, 20, v15
	v_lshlrev_b64 v[16:17], v12, -1
	v_mov_b32_e32 v11, v51
	v_add_u32_e32 v12, 19, v15
	v_bfi_b32 v16, v16, 0, v10
	v_lshlrev_b64 v[18:19], v12, 1
	v_lshrrev_b64 v[10:11], v15, v[10:11]
	v_bfi_b32 v17, v17, 0, 0
	v_cmp_eq_u64_e64 s[26:27], v[16:17], v[18:19]
	v_mov_b32_e32 v12, v11
	v_mov_b32_e32 v11, v10
	s_and_saveexec_b64 s[38:39], s[26:27]
; %bb.3346:                             ;   in Loop: Header=BB6_3331 Depth=3
	v_bfe_u32 v11, v10, 20, 1
	v_add_co_u32_e64 v11, s[26:27], v10, v11
	v_add_co_u32_e64 v11, s[26:27], -1, v11
; %bb.3347:                             ;   in Loop: Header=BB6_3331 Depth=3
	s_or_b64 exec, exec, s[38:39]
	v_add_u32_e32 v4, 0xffffff81, v4
	v_mov_b32_e32 v12, 0xffffff82
	v_cndmask_b32_e32 v4, v4, v12, vcc
	v_lshrrev_b32_e32 v12, 23, v10
	v_add3_u32 v15, v15, v4, v12
	v_add_u32_e32 v4, 6, v15
	v_and_b32_e32 v11, 0xfffff, v11
	v_add_u32_e32 v10, v11, v10
	v_mov_b32_e32 v11, v51
	v_cmp_ne_u32_e32 vcc, 0, v4
                                        ; implicit-def: $vgpr12
	s_and_saveexec_b64 s[26:27], vcc
	s_xor_b64 s[26:27], exec, s[26:27]
; %bb.3348:                             ;   in Loop: Header=BB6_3331 Depth=3
	v_cmp_lt_u64_e32 vcc, s[88:89], v[10:11]
	v_add_u32_e32 v12, 7, v15
	v_cndmask_b32_e32 v12, v4, v12, vcc
	v_cndmask_b32_e64 v4, 0, 1, vcc
	v_lshrrev_b64 v[10:11], v4, v[10:11]
; %bb.3349:                             ;   in Loop: Header=BB6_3331 Depth=3
	s_andn2_saveexec_b64 s[26:27], s[26:27]
; %bb.3350:                             ;   in Loop: Header=BB6_3331 Depth=3
	v_bfe_u32 v12, v10, 23, 1
; %bb.3351:                             ;   in Loop: Header=BB6_3331 Depth=3
	s_or_b64 exec, exec, s[26:27]
	v_lshrrev_b64 v[10:11], 20, v[10:11]
	v_cmp_gt_i32_e32 vcc, 16, v12
	v_cndmask_b32_e32 v11, 0, v11, vcc
	v_cndmask_b32_e32 v10, 7, v10, vcc
	v_cmp_ne_u64_e32 vcc, 0, v[10:11]
	v_cmp_ne_u32_e64 s[26:27], 0, v12
	s_or_b64 s[26:27], s[26:27], vcc
                                        ; implicit-def: $vgpr4
	s_and_saveexec_b64 vcc, s[26:27]
	s_xor_b64 s[26:27], exec, vcc
; %bb.3352:                             ;   in Loop: Header=BB6_3331 Depth=3
	v_min_i32_e32 v4, 15, v12
	v_lshl_or_b32 v4, v4, 3, v5
	v_and_or_b32 v4, v10, 7, v4
                                        ; implicit-def: $vgpr5
; %bb.3353:                             ;   in Loop: Header=BB6_3331 Depth=3
	s_andn2_saveexec_b64 s[26:27], s[26:27]
; %bb.3354:                             ;   in Loop: Header=BB6_3331 Depth=3
	v_mov_b32_e32 v4, v5
; %bb.3355:                             ;   in Loop: Header=BB6_3331 Depth=3
	s_or_b64 exec, exec, s[26:27]
.LBB6_3356:                             ;   in Loop: Header=BB6_3331 Depth=3
	s_or_b64 exec, exec, s[36:37]
                                        ; implicit-def: $vgpr5
.LBB6_3357:                             ;   in Loop: Header=BB6_3331 Depth=3
	s_andn2_saveexec_b64 s[26:27], s[34:35]
; %bb.3358:                             ;   in Loop: Header=BB6_3331 Depth=3
	v_or_b32_e32 v4, 0x7e, v5
; %bb.3359:                             ;   in Loop: Header=BB6_3331 Depth=3
	s_or_b64 exec, exec, s[26:27]
                                        ; implicit-def: $vgpr10
.LBB6_3360:                             ;   in Loop: Header=BB6_3331 Depth=3
	s_andn2_saveexec_b64 s[26:27], s[30:31]
; %bb.3361:                             ;   in Loop: Header=BB6_3331 Depth=3
	v_or_b32_sdwa v4, v10, s86 dst_sel:DWORD dst_unused:UNUSED_PAD src0_sel:BYTE_3 src1_sel:DWORD
; %bb.3362:                             ;   in Loop: Header=BB6_3331 Depth=3
	s_or_b64 exec, exec, s[26:27]
	flat_load_ubyte v5, v[8:9] offset:64 glc slc
	v_mov_b32_e32 v11, 0
	s_waitcnt vmcnt(0) lgkmcnt(0)
	v_cmp_ne_u16_e32 vcc, 0, v5
	s_and_saveexec_b64 s[26:27], vcc
	s_cbranch_execz .LBB6_3368
; %bb.3363:                             ;   in Loop: Header=BB6_3331 Depth=3
	v_cmp_ne_u16_e32 vcc, s96, v5
	v_bfrev_b32_e32 v11, 1
	s_and_saveexec_b64 s[30:31], vcc
	s_cbranch_execz .LBB6_3367
; %bb.3364:                             ;   in Loop: Header=BB6_3331 Depth=3
	v_and_b32_e32 v10, 0xffff, v5
	v_and_b32_e32 v12, 0x7f, v10
	v_cmp_ne_u32_e32 vcc, s86, v12
	v_mov_b32_e32 v11, 0x7f800001
	s_and_saveexec_b64 s[34:35], vcc
	s_cbranch_execz .LBB6_3366
; %bb.3365:                             ;   in Loop: Header=BB6_3331 Depth=3
	v_and_b32_e32 v15, 7, v10
	v_ffbh_u32_e32 v11, v15
	v_lshrrev_b32_e32 v16, 3, v12
	v_cmp_gt_u32_e32 vcc, 8, v12
	v_min_u32_e32 v12, 32, v11
	v_subrev_u32_e32 v11, 28, v12
	v_lshlrev_b64 v[10:11], v11, v[10:11]
	v_sub_u32_e32 v11, 29, v12
	v_and_b32_e32 v10, 7, v10
	v_cndmask_b32_e32 v11, v16, v11, vcc
	v_cndmask_b32_e32 v10, v15, v10, vcc
	v_lshlrev_b32_e32 v5, 24, v5
	v_bfrev_b32_e32 v12, 60
	v_lshlrev_b32_e32 v10, 20, v10
	v_and_b32_e32 v5, 0x80000000, v5
	v_lshl_add_u32 v11, v11, 23, v12
	v_or3_b32 v11, v5, v11, v10
.LBB6_3366:                             ;   in Loop: Header=BB6_3331 Depth=3
	s_or_b64 exec, exec, s[34:35]
.LBB6_3367:                             ;   in Loop: Header=BB6_3331 Depth=3
	s_or_b64 exec, exec, s[30:31]
.LBB6_3368:                             ;   in Loop: Header=BB6_3331 Depth=3
	s_or_b64 exec, exec, s[26:27]
	v_mul_f32_e32 v10, s45, v11
	v_and_b32_e32 v11, 0x7f800000, v10
	v_mov_b32_e32 v12, v51
	v_cmp_ne_u64_e32 vcc, s[76:77], v[11:12]
                                        ; implicit-def: $vgpr5
	s_and_saveexec_b64 s[26:27], vcc
	s_xor_b64 s[30:31], exec, s[26:27]
	s_cbranch_execz .LBB6_3386
; %bb.3369:                             ;   in Loop: Header=BB6_3331 Depth=3
	v_and_b32_e32 v11, 0x7fffffff, v10
	v_mov_b32_e32 v12, v51
	v_cmp_gt_u64_e32 vcc, s[78:79], v[11:12]
	v_and_b32_sdwa v15, v10, s96 dst_sel:DWORD dst_unused:UNUSED_PAD src0_sel:BYTE_3 src1_sel:DWORD
                                        ; implicit-def: $vgpr5
	s_and_saveexec_b64 s[26:27], vcc
	s_xor_b64 s[34:35], exec, s[26:27]
	s_cbranch_execz .LBB6_3383
; %bb.3370:                             ;   in Loop: Header=BB6_3331 Depth=3
	v_cmp_ne_u32_e32 vcc, 0, v10
	v_mov_b32_e32 v5, 0
	s_and_saveexec_b64 s[36:37], vcc
	s_cbranch_execz .LBB6_3382
; %bb.3371:                             ;   in Loop: Header=BB6_3331 Depth=3
	v_bfe_u32 v5, v10, 23, 8
	v_and_b32_e32 v11, 0x7fffff, v10
	v_cmp_gt_u32_e64 s[26:27], s97, v5
	v_sub_u32_e32 v10, 0x79, v5
	v_cmp_eq_u32_e32 vcc, 0, v5
	v_cndmask_b32_e64 v10, 0, v10, s[26:27]
	v_mov_b32_e32 v16, 0x78
	v_or_b32_e32 v12, 0x800000, v11
	v_cndmask_b32_e32 v16, v10, v16, vcc
	v_cndmask_b32_e32 v10, v12, v11, vcc
	v_add_u32_e32 v12, 20, v16
	v_lshlrev_b64 v[17:18], v12, -1
	v_mov_b32_e32 v11, v51
	v_add_u32_e32 v12, 19, v16
	v_bfi_b32 v17, v17, 0, v10
	v_lshlrev_b64 v[19:20], v12, 1
	v_lshrrev_b64 v[10:11], v16, v[10:11]
	v_bfi_b32 v18, v18, 0, 0
	v_cmp_eq_u64_e64 s[26:27], v[17:18], v[19:20]
	v_mov_b32_e32 v12, v11
	v_mov_b32_e32 v11, v10
	s_and_saveexec_b64 s[38:39], s[26:27]
; %bb.3372:                             ;   in Loop: Header=BB6_3331 Depth=3
	v_bfe_u32 v11, v10, 20, 1
	v_add_co_u32_e64 v11, s[26:27], v10, v11
	v_add_co_u32_e64 v11, s[26:27], -1, v11
; %bb.3373:                             ;   in Loop: Header=BB6_3331 Depth=3
	s_or_b64 exec, exec, s[38:39]
	v_add_u32_e32 v5, 0xffffff81, v5
	v_mov_b32_e32 v12, 0xffffff82
	v_cndmask_b32_e32 v5, v5, v12, vcc
	v_lshrrev_b32_e32 v12, 23, v10
	v_add3_u32 v16, v16, v5, v12
	v_add_u32_e32 v5, 6, v16
	v_and_b32_e32 v11, 0xfffff, v11
	v_add_u32_e32 v10, v11, v10
	v_mov_b32_e32 v11, v51
	v_cmp_ne_u32_e32 vcc, 0, v5
                                        ; implicit-def: $vgpr12
	s_and_saveexec_b64 s[26:27], vcc
	s_xor_b64 s[26:27], exec, s[26:27]
; %bb.3374:                             ;   in Loop: Header=BB6_3331 Depth=3
	v_cmp_lt_u64_e32 vcc, s[88:89], v[10:11]
	v_add_u32_e32 v12, 7, v16
	v_cndmask_b32_e32 v12, v5, v12, vcc
	v_cndmask_b32_e64 v5, 0, 1, vcc
	v_lshrrev_b64 v[10:11], v5, v[10:11]
; %bb.3375:                             ;   in Loop: Header=BB6_3331 Depth=3
	s_andn2_saveexec_b64 s[26:27], s[26:27]
; %bb.3376:                             ;   in Loop: Header=BB6_3331 Depth=3
	v_bfe_u32 v12, v10, 23, 1
; %bb.3377:                             ;   in Loop: Header=BB6_3331 Depth=3
	s_or_b64 exec, exec, s[26:27]
	v_lshrrev_b64 v[10:11], 20, v[10:11]
	v_cmp_gt_i32_e32 vcc, 16, v12
	v_cndmask_b32_e32 v11, 0, v11, vcc
	v_cndmask_b32_e32 v10, 7, v10, vcc
	v_cmp_ne_u64_e32 vcc, 0, v[10:11]
	v_cmp_ne_u32_e64 s[26:27], 0, v12
	s_or_b64 s[26:27], s[26:27], vcc
                                        ; implicit-def: $vgpr5
	s_and_saveexec_b64 vcc, s[26:27]
	s_xor_b64 s[26:27], exec, vcc
; %bb.3378:                             ;   in Loop: Header=BB6_3331 Depth=3
	v_min_i32_e32 v5, 15, v12
	v_lshl_or_b32 v5, v5, 3, v15
	v_and_or_b32 v5, v10, 7, v5
                                        ; implicit-def: $vgpr15
; %bb.3379:                             ;   in Loop: Header=BB6_3331 Depth=3
	s_andn2_saveexec_b64 s[26:27], s[26:27]
; %bb.3380:                             ;   in Loop: Header=BB6_3331 Depth=3
	v_mov_b32_e32 v5, v15
; %bb.3381:                             ;   in Loop: Header=BB6_3331 Depth=3
	s_or_b64 exec, exec, s[26:27]
.LBB6_3382:                             ;   in Loop: Header=BB6_3331 Depth=3
	s_or_b64 exec, exec, s[36:37]
                                        ; implicit-def: $vgpr15
.LBB6_3383:                             ;   in Loop: Header=BB6_3331 Depth=3
	s_andn2_saveexec_b64 s[26:27], s[34:35]
; %bb.3384:                             ;   in Loop: Header=BB6_3331 Depth=3
	v_or_b32_e32 v5, 0x7e, v15
; %bb.3385:                             ;   in Loop: Header=BB6_3331 Depth=3
	s_or_b64 exec, exec, s[26:27]
                                        ; implicit-def: $vgpr10
.LBB6_3386:                             ;   in Loop: Header=BB6_3331 Depth=3
	s_andn2_saveexec_b64 s[26:27], s[30:31]
; %bb.3387:                             ;   in Loop: Header=BB6_3331 Depth=3
	v_or_b32_sdwa v5, v10, s86 dst_sel:DWORD dst_unused:UNUSED_PAD src0_sel:BYTE_3 src1_sel:DWORD
; %bb.3388:                             ;   in Loop: Header=BB6_3331 Depth=3
	s_or_b64 exec, exec, s[26:27]
	flat_load_ubyte v11, v[8:9] offset:128 glc slc
	v_mov_b32_e32 v12, 0
	s_waitcnt vmcnt(0) lgkmcnt(0)
	v_cmp_ne_u16_e32 vcc, 0, v11
	s_and_saveexec_b64 s[26:27], vcc
	s_cbranch_execz .LBB6_3394
; %bb.3389:                             ;   in Loop: Header=BB6_3331 Depth=3
	v_cmp_ne_u16_e32 vcc, s96, v11
	v_bfrev_b32_e32 v12, 1
	s_and_saveexec_b64 s[30:31], vcc
	s_cbranch_execz .LBB6_3393
; %bb.3390:                             ;   in Loop: Header=BB6_3331 Depth=3
	v_and_b32_e32 v10, 0xffff, v11
	v_and_b32_e32 v15, 0x7f, v10
	v_cmp_ne_u32_e32 vcc, s86, v15
	v_mov_b32_e32 v12, 0x7f800001
	s_and_saveexec_b64 s[34:35], vcc
	s_cbranch_execz .LBB6_3392
; %bb.3391:                             ;   in Loop: Header=BB6_3331 Depth=3
	v_and_b32_e32 v12, 7, v10
	v_lshrrev_b32_e32 v17, 3, v15
	v_cmp_gt_u32_e32 vcc, 8, v15
	v_ffbh_u32_e32 v15, v12
	v_min_u32_e32 v18, 32, v15
	v_subrev_u32_e32 v15, 28, v18
	v_lshlrev_b64 v[15:16], v15, v[10:11]
	v_sub_u32_e32 v10, 29, v18
	v_and_b32_e32 v15, 7, v15
	v_cndmask_b32_e32 v10, v17, v10, vcc
	v_cndmask_b32_e32 v12, v12, v15, vcc
	v_lshlrev_b32_e32 v11, 24, v11
	v_bfrev_b32_e32 v15, 60
	v_lshlrev_b32_e32 v12, 20, v12
	v_and_b32_e32 v11, 0x80000000, v11
	v_lshl_add_u32 v10, v10, 23, v15
	v_or3_b32 v12, v11, v10, v12
.LBB6_3392:                             ;   in Loop: Header=BB6_3331 Depth=3
	s_or_b64 exec, exec, s[34:35]
.LBB6_3393:                             ;   in Loop: Header=BB6_3331 Depth=3
	s_or_b64 exec, exec, s[30:31]
.LBB6_3394:                             ;   in Loop: Header=BB6_3331 Depth=3
	s_or_b64 exec, exec, s[26:27]
	v_mul_f32_e32 v10, s45, v12
	v_and_b32_e32 v11, 0x7f800000, v10
	v_mov_b32_e32 v12, v51
	v_cmp_ne_u64_e32 vcc, s[76:77], v[11:12]
                                        ; implicit-def: $vgpr15
	s_and_saveexec_b64 s[26:27], vcc
	s_xor_b64 s[30:31], exec, s[26:27]
	s_cbranch_execz .LBB6_3412
; %bb.3395:                             ;   in Loop: Header=BB6_3331 Depth=3
	v_and_b32_e32 v11, 0x7fffffff, v10
	v_mov_b32_e32 v12, v51
	v_cmp_gt_u64_e32 vcc, s[78:79], v[11:12]
	v_and_b32_sdwa v16, v10, s96 dst_sel:DWORD dst_unused:UNUSED_PAD src0_sel:BYTE_3 src1_sel:DWORD
                                        ; implicit-def: $vgpr15
	s_and_saveexec_b64 s[26:27], vcc
	s_xor_b64 s[34:35], exec, s[26:27]
	s_cbranch_execz .LBB6_3409
; %bb.3396:                             ;   in Loop: Header=BB6_3331 Depth=3
	v_cmp_ne_u32_e32 vcc, 0, v10
	v_mov_b32_e32 v15, 0
	s_and_saveexec_b64 s[36:37], vcc
	s_cbranch_execz .LBB6_3408
; %bb.3397:                             ;   in Loop: Header=BB6_3331 Depth=3
	v_bfe_u32 v15, v10, 23, 8
	v_and_b32_e32 v11, 0x7fffff, v10
	v_cmp_gt_u32_e64 s[26:27], s97, v15
	v_sub_u32_e32 v10, 0x79, v15
	v_cmp_eq_u32_e32 vcc, 0, v15
	v_cndmask_b32_e64 v10, 0, v10, s[26:27]
	v_mov_b32_e32 v17, 0x78
	v_or_b32_e32 v12, 0x800000, v11
	v_cndmask_b32_e32 v17, v10, v17, vcc
	v_cndmask_b32_e32 v10, v12, v11, vcc
	v_add_u32_e32 v12, 20, v17
	v_lshlrev_b64 v[18:19], v12, -1
	v_mov_b32_e32 v11, v51
	v_add_u32_e32 v12, 19, v17
	v_bfi_b32 v18, v18, 0, v10
	v_lshlrev_b64 v[20:21], v12, 1
	v_lshrrev_b64 v[10:11], v17, v[10:11]
	v_bfi_b32 v19, v19, 0, 0
	v_cmp_eq_u64_e64 s[26:27], v[18:19], v[20:21]
	v_mov_b32_e32 v12, v11
	v_mov_b32_e32 v11, v10
	s_and_saveexec_b64 s[38:39], s[26:27]
; %bb.3398:                             ;   in Loop: Header=BB6_3331 Depth=3
	v_bfe_u32 v11, v10, 20, 1
	v_add_co_u32_e64 v11, s[26:27], v10, v11
	v_add_co_u32_e64 v11, s[26:27], -1, v11
; %bb.3399:                             ;   in Loop: Header=BB6_3331 Depth=3
	s_or_b64 exec, exec, s[38:39]
	v_add_u32_e32 v12, 0xffffff81, v15
	v_mov_b32_e32 v15, 0xffffff82
	v_cndmask_b32_e32 v12, v12, v15, vcc
	v_lshrrev_b32_e32 v15, 23, v10
	v_add3_u32 v17, v17, v12, v15
	v_add_u32_e32 v15, 6, v17
	v_and_b32_e32 v11, 0xfffff, v11
	v_add_u32_e32 v10, v11, v10
	v_mov_b32_e32 v11, v51
	v_cmp_ne_u32_e32 vcc, 0, v15
                                        ; implicit-def: $vgpr12
	s_and_saveexec_b64 s[26:27], vcc
	s_xor_b64 s[26:27], exec, s[26:27]
; %bb.3400:                             ;   in Loop: Header=BB6_3331 Depth=3
	v_cmp_lt_u64_e32 vcc, s[88:89], v[10:11]
	v_add_u32_e32 v12, 7, v17
	v_cndmask_b32_e32 v12, v15, v12, vcc
	v_cndmask_b32_e64 v15, 0, 1, vcc
	v_lshrrev_b64 v[10:11], v15, v[10:11]
; %bb.3401:                             ;   in Loop: Header=BB6_3331 Depth=3
	s_andn2_saveexec_b64 s[26:27], s[26:27]
; %bb.3402:                             ;   in Loop: Header=BB6_3331 Depth=3
	v_bfe_u32 v12, v10, 23, 1
; %bb.3403:                             ;   in Loop: Header=BB6_3331 Depth=3
	s_or_b64 exec, exec, s[26:27]
	v_lshrrev_b64 v[10:11], 20, v[10:11]
	v_cmp_gt_i32_e32 vcc, 16, v12
	v_cndmask_b32_e32 v11, 0, v11, vcc
	v_cndmask_b32_e32 v10, 7, v10, vcc
	v_cmp_ne_u64_e32 vcc, 0, v[10:11]
	v_cmp_ne_u32_e64 s[26:27], 0, v12
	s_or_b64 s[26:27], s[26:27], vcc
                                        ; implicit-def: $vgpr15
	s_and_saveexec_b64 vcc, s[26:27]
	s_xor_b64 s[26:27], exec, vcc
; %bb.3404:                             ;   in Loop: Header=BB6_3331 Depth=3
	v_min_i32_e32 v11, 15, v12
	v_lshl_or_b32 v11, v11, 3, v16
	v_and_or_b32 v15, v10, 7, v11
                                        ; implicit-def: $vgpr16
; %bb.3405:                             ;   in Loop: Header=BB6_3331 Depth=3
	s_andn2_saveexec_b64 s[26:27], s[26:27]
; %bb.3406:                             ;   in Loop: Header=BB6_3331 Depth=3
	v_mov_b32_e32 v15, v16
; %bb.3407:                             ;   in Loop: Header=BB6_3331 Depth=3
	s_or_b64 exec, exec, s[26:27]
.LBB6_3408:                             ;   in Loop: Header=BB6_3331 Depth=3
	s_or_b64 exec, exec, s[36:37]
                                        ; implicit-def: $vgpr16
.LBB6_3409:                             ;   in Loop: Header=BB6_3331 Depth=3
	s_andn2_saveexec_b64 s[26:27], s[34:35]
; %bb.3410:                             ;   in Loop: Header=BB6_3331 Depth=3
	v_or_b32_e32 v15, 0x7e, v16
; %bb.3411:                             ;   in Loop: Header=BB6_3331 Depth=3
	s_or_b64 exec, exec, s[26:27]
                                        ; implicit-def: $vgpr10
.LBB6_3412:                             ;   in Loop: Header=BB6_3331 Depth=3
	s_andn2_saveexec_b64 s[26:27], s[30:31]
; %bb.3413:                             ;   in Loop: Header=BB6_3331 Depth=3
	v_or_b32_sdwa v15, v10, s86 dst_sel:DWORD dst_unused:UNUSED_PAD src0_sel:BYTE_3 src1_sel:DWORD
; %bb.3414:                             ;   in Loop: Header=BB6_3331 Depth=3
	s_or_b64 exec, exec, s[26:27]
	flat_load_ubyte v11, v[8:9] offset:192 glc slc
	v_mov_b32_e32 v12, 0
	s_waitcnt vmcnt(0) lgkmcnt(0)
	v_cmp_ne_u16_e32 vcc, 0, v11
	s_and_saveexec_b64 s[26:27], vcc
	s_cbranch_execz .LBB6_3420
; %bb.3415:                             ;   in Loop: Header=BB6_3331 Depth=3
	v_cmp_ne_u16_e32 vcc, s96, v11
	v_bfrev_b32_e32 v12, 1
	s_and_saveexec_b64 s[30:31], vcc
	s_cbranch_execz .LBB6_3419
; %bb.3416:                             ;   in Loop: Header=BB6_3331 Depth=3
	v_and_b32_e32 v10, 0xffff, v11
	v_and_b32_e32 v16, 0x7f, v10
	v_cmp_ne_u32_e32 vcc, s86, v16
	v_mov_b32_e32 v12, 0x7f800001
	s_and_saveexec_b64 s[34:35], vcc
	s_cbranch_execz .LBB6_3418
; %bb.3417:                             ;   in Loop: Header=BB6_3331 Depth=3
	v_and_b32_e32 v12, 7, v10
	v_lshrrev_b32_e32 v18, 3, v16
	v_cmp_gt_u32_e32 vcc, 8, v16
	v_ffbh_u32_e32 v16, v12
	v_min_u32_e32 v19, 32, v16
	v_subrev_u32_e32 v16, 28, v19
	v_lshlrev_b64 v[16:17], v16, v[10:11]
	v_sub_u32_e32 v10, 29, v19
	v_and_b32_e32 v16, 7, v16
	v_cndmask_b32_e32 v10, v18, v10, vcc
	v_cndmask_b32_e32 v12, v12, v16, vcc
	v_lshlrev_b32_e32 v11, 24, v11
	v_bfrev_b32_e32 v16, 60
	v_lshlrev_b32_e32 v12, 20, v12
	v_and_b32_e32 v11, 0x80000000, v11
	v_lshl_add_u32 v10, v10, 23, v16
	v_or3_b32 v12, v11, v10, v12
.LBB6_3418:                             ;   in Loop: Header=BB6_3331 Depth=3
	s_or_b64 exec, exec, s[34:35]
.LBB6_3419:                             ;   in Loop: Header=BB6_3331 Depth=3
	s_or_b64 exec, exec, s[30:31]
.LBB6_3420:                             ;   in Loop: Header=BB6_3331 Depth=3
	s_or_b64 exec, exec, s[26:27]
	v_mul_f32_e32 v10, s45, v12
	v_and_b32_e32 v11, 0x7f800000, v10
	v_mov_b32_e32 v12, v51
	v_cmp_ne_u64_e32 vcc, s[76:77], v[11:12]
                                        ; implicit-def: $vgpr16
	s_and_saveexec_b64 s[26:27], vcc
	s_xor_b64 s[30:31], exec, s[26:27]
	s_cbranch_execz .LBB6_3438
; %bb.3421:                             ;   in Loop: Header=BB6_3331 Depth=3
	v_and_b32_e32 v11, 0x7fffffff, v10
	v_mov_b32_e32 v12, v51
	v_cmp_gt_u64_e32 vcc, s[78:79], v[11:12]
	v_and_b32_sdwa v17, v10, s96 dst_sel:DWORD dst_unused:UNUSED_PAD src0_sel:BYTE_3 src1_sel:DWORD
                                        ; implicit-def: $vgpr16
	s_and_saveexec_b64 s[26:27], vcc
	s_xor_b64 s[34:35], exec, s[26:27]
	s_cbranch_execz .LBB6_3435
; %bb.3422:                             ;   in Loop: Header=BB6_3331 Depth=3
	v_cmp_ne_u32_e32 vcc, 0, v10
	v_mov_b32_e32 v16, 0
	s_and_saveexec_b64 s[36:37], vcc
	s_cbranch_execz .LBB6_3434
; %bb.3423:                             ;   in Loop: Header=BB6_3331 Depth=3
	v_bfe_u32 v16, v10, 23, 8
	v_and_b32_e32 v11, 0x7fffff, v10
	v_cmp_gt_u32_e64 s[26:27], s97, v16
	v_sub_u32_e32 v10, 0x79, v16
	v_cmp_eq_u32_e32 vcc, 0, v16
	v_cndmask_b32_e64 v10, 0, v10, s[26:27]
	v_mov_b32_e32 v18, 0x78
	v_or_b32_e32 v12, 0x800000, v11
	v_cndmask_b32_e32 v18, v10, v18, vcc
	v_cndmask_b32_e32 v10, v12, v11, vcc
	v_add_u32_e32 v12, 20, v18
	v_lshlrev_b64 v[19:20], v12, -1
	v_mov_b32_e32 v11, v51
	v_add_u32_e32 v12, 19, v18
	v_bfi_b32 v19, v19, 0, v10
	v_lshlrev_b64 v[21:22], v12, 1
	v_lshrrev_b64 v[10:11], v18, v[10:11]
	v_bfi_b32 v20, v20, 0, 0
	v_cmp_eq_u64_e64 s[26:27], v[19:20], v[21:22]
	v_mov_b32_e32 v12, v11
	v_mov_b32_e32 v11, v10
	s_and_saveexec_b64 s[38:39], s[26:27]
; %bb.3424:                             ;   in Loop: Header=BB6_3331 Depth=3
	v_bfe_u32 v11, v10, 20, 1
	v_add_co_u32_e64 v11, s[26:27], v10, v11
	v_add_co_u32_e64 v11, s[26:27], -1, v11
; %bb.3425:                             ;   in Loop: Header=BB6_3331 Depth=3
	s_or_b64 exec, exec, s[38:39]
	v_add_u32_e32 v12, 0xffffff81, v16
	v_mov_b32_e32 v16, 0xffffff82
	v_cndmask_b32_e32 v12, v12, v16, vcc
	v_lshrrev_b32_e32 v16, 23, v10
	v_add3_u32 v18, v18, v12, v16
	v_add_u32_e32 v16, 6, v18
	v_and_b32_e32 v11, 0xfffff, v11
	v_add_u32_e32 v10, v11, v10
	v_mov_b32_e32 v11, v51
	v_cmp_ne_u32_e32 vcc, 0, v16
                                        ; implicit-def: $vgpr12
	s_and_saveexec_b64 s[26:27], vcc
	s_xor_b64 s[26:27], exec, s[26:27]
; %bb.3426:                             ;   in Loop: Header=BB6_3331 Depth=3
	v_cmp_lt_u64_e32 vcc, s[88:89], v[10:11]
	v_add_u32_e32 v12, 7, v18
	v_cndmask_b32_e32 v12, v16, v12, vcc
	v_cndmask_b32_e64 v16, 0, 1, vcc
	v_lshrrev_b64 v[10:11], v16, v[10:11]
; %bb.3427:                             ;   in Loop: Header=BB6_3331 Depth=3
	s_andn2_saveexec_b64 s[26:27], s[26:27]
; %bb.3428:                             ;   in Loop: Header=BB6_3331 Depth=3
	v_bfe_u32 v12, v10, 23, 1
; %bb.3429:                             ;   in Loop: Header=BB6_3331 Depth=3
	s_or_b64 exec, exec, s[26:27]
	v_lshrrev_b64 v[10:11], 20, v[10:11]
	v_cmp_gt_i32_e32 vcc, 16, v12
	v_cndmask_b32_e32 v11, 0, v11, vcc
	v_cndmask_b32_e32 v10, 7, v10, vcc
	v_cmp_ne_u64_e32 vcc, 0, v[10:11]
	v_cmp_ne_u32_e64 s[26:27], 0, v12
	s_or_b64 s[26:27], s[26:27], vcc
                                        ; implicit-def: $vgpr16
	s_and_saveexec_b64 vcc, s[26:27]
	s_xor_b64 s[26:27], exec, vcc
; %bb.3430:                             ;   in Loop: Header=BB6_3331 Depth=3
	v_min_i32_e32 v11, 15, v12
	v_lshl_or_b32 v11, v11, 3, v17
	v_and_or_b32 v16, v10, 7, v11
                                        ; implicit-def: $vgpr17
; %bb.3431:                             ;   in Loop: Header=BB6_3331 Depth=3
	s_andn2_saveexec_b64 s[26:27], s[26:27]
; %bb.3432:                             ;   in Loop: Header=BB6_3331 Depth=3
	v_mov_b32_e32 v16, v17
; %bb.3433:                             ;   in Loop: Header=BB6_3331 Depth=3
	s_or_b64 exec, exec, s[26:27]
.LBB6_3434:                             ;   in Loop: Header=BB6_3331 Depth=3
	s_or_b64 exec, exec, s[36:37]
                                        ; implicit-def: $vgpr17
.LBB6_3435:                             ;   in Loop: Header=BB6_3331 Depth=3
	s_andn2_saveexec_b64 s[26:27], s[34:35]
; %bb.3436:                             ;   in Loop: Header=BB6_3331 Depth=3
	v_or_b32_e32 v16, 0x7e, v17
; %bb.3437:                             ;   in Loop: Header=BB6_3331 Depth=3
	s_or_b64 exec, exec, s[26:27]
                                        ; implicit-def: $vgpr10
.LBB6_3438:                             ;   in Loop: Header=BB6_3331 Depth=3
	s_andn2_saveexec_b64 s[26:27], s[30:31]
; %bb.3439:                             ;   in Loop: Header=BB6_3331 Depth=3
	v_or_b32_sdwa v16, v10, s86 dst_sel:DWORD dst_unused:UNUSED_PAD src0_sel:BYTE_3 src1_sel:DWORD
; %bb.3440:                             ;   in Loop: Header=BB6_3331 Depth=3
	s_or_b64 exec, exec, s[26:27]
	flat_load_ubyte v11, v[8:9] offset:256 glc slc
	v_mov_b32_e32 v12, 0
	s_waitcnt vmcnt(0) lgkmcnt(0)
	v_cmp_ne_u16_e32 vcc, 0, v11
	s_and_saveexec_b64 s[26:27], vcc
	s_cbranch_execz .LBB6_3446
; %bb.3441:                             ;   in Loop: Header=BB6_3331 Depth=3
	v_cmp_ne_u16_e32 vcc, s96, v11
	v_bfrev_b32_e32 v12, 1
	s_and_saveexec_b64 s[30:31], vcc
	s_cbranch_execz .LBB6_3445
; %bb.3442:                             ;   in Loop: Header=BB6_3331 Depth=3
	v_and_b32_e32 v10, 0xffff, v11
	v_and_b32_e32 v17, 0x7f, v10
	v_cmp_ne_u32_e32 vcc, s86, v17
	v_mov_b32_e32 v12, 0x7f800001
	s_and_saveexec_b64 s[34:35], vcc
	s_cbranch_execz .LBB6_3444
; %bb.3443:                             ;   in Loop: Header=BB6_3331 Depth=3
	v_and_b32_e32 v12, 7, v10
	v_lshrrev_b32_e32 v19, 3, v17
	v_cmp_gt_u32_e32 vcc, 8, v17
	v_ffbh_u32_e32 v17, v12
	v_min_u32_e32 v20, 32, v17
	v_subrev_u32_e32 v17, 28, v20
	v_lshlrev_b64 v[17:18], v17, v[10:11]
	v_sub_u32_e32 v10, 29, v20
	v_and_b32_e32 v17, 7, v17
	v_cndmask_b32_e32 v10, v19, v10, vcc
	v_cndmask_b32_e32 v12, v12, v17, vcc
	v_lshlrev_b32_e32 v11, 24, v11
	v_bfrev_b32_e32 v17, 60
	v_lshlrev_b32_e32 v12, 20, v12
	v_and_b32_e32 v11, 0x80000000, v11
	v_lshl_add_u32 v10, v10, 23, v17
	v_or3_b32 v12, v11, v10, v12
.LBB6_3444:                             ;   in Loop: Header=BB6_3331 Depth=3
	s_or_b64 exec, exec, s[34:35]
.LBB6_3445:                             ;   in Loop: Header=BB6_3331 Depth=3
	s_or_b64 exec, exec, s[30:31]
.LBB6_3446:                             ;   in Loop: Header=BB6_3331 Depth=3
	s_or_b64 exec, exec, s[26:27]
	v_mul_f32_e32 v10, s45, v12
	v_and_b32_e32 v11, 0x7f800000, v10
	v_mov_b32_e32 v12, v51
	v_cmp_ne_u64_e32 vcc, s[76:77], v[11:12]
                                        ; implicit-def: $vgpr17
	s_and_saveexec_b64 s[26:27], vcc
	s_xor_b64 s[30:31], exec, s[26:27]
	s_cbranch_execz .LBB6_3464
; %bb.3447:                             ;   in Loop: Header=BB6_3331 Depth=3
	v_and_b32_e32 v11, 0x7fffffff, v10
	v_mov_b32_e32 v12, v51
	v_cmp_gt_u64_e32 vcc, s[78:79], v[11:12]
	v_and_b32_sdwa v18, v10, s96 dst_sel:DWORD dst_unused:UNUSED_PAD src0_sel:BYTE_3 src1_sel:DWORD
                                        ; implicit-def: $vgpr17
	s_and_saveexec_b64 s[26:27], vcc
	s_xor_b64 s[34:35], exec, s[26:27]
	s_cbranch_execz .LBB6_3461
; %bb.3448:                             ;   in Loop: Header=BB6_3331 Depth=3
	v_cmp_ne_u32_e32 vcc, 0, v10
	v_mov_b32_e32 v17, 0
	s_and_saveexec_b64 s[36:37], vcc
	s_cbranch_execz .LBB6_3460
; %bb.3449:                             ;   in Loop: Header=BB6_3331 Depth=3
	v_bfe_u32 v17, v10, 23, 8
	v_and_b32_e32 v11, 0x7fffff, v10
	v_cmp_gt_u32_e64 s[26:27], s97, v17
	v_sub_u32_e32 v10, 0x79, v17
	v_cmp_eq_u32_e32 vcc, 0, v17
	v_cndmask_b32_e64 v10, 0, v10, s[26:27]
	v_mov_b32_e32 v19, 0x78
	v_or_b32_e32 v12, 0x800000, v11
	v_cndmask_b32_e32 v19, v10, v19, vcc
	v_cndmask_b32_e32 v10, v12, v11, vcc
	v_add_u32_e32 v12, 20, v19
	v_lshlrev_b64 v[20:21], v12, -1
	v_mov_b32_e32 v11, v51
	v_add_u32_e32 v12, 19, v19
	v_bfi_b32 v20, v20, 0, v10
	v_lshlrev_b64 v[22:23], v12, 1
	v_lshrrev_b64 v[10:11], v19, v[10:11]
	v_bfi_b32 v21, v21, 0, 0
	v_cmp_eq_u64_e64 s[26:27], v[20:21], v[22:23]
	v_mov_b32_e32 v12, v11
	v_mov_b32_e32 v11, v10
	s_and_saveexec_b64 s[38:39], s[26:27]
; %bb.3450:                             ;   in Loop: Header=BB6_3331 Depth=3
	v_bfe_u32 v11, v10, 20, 1
	v_add_co_u32_e64 v11, s[26:27], v10, v11
	v_add_co_u32_e64 v11, s[26:27], -1, v11
; %bb.3451:                             ;   in Loop: Header=BB6_3331 Depth=3
	s_or_b64 exec, exec, s[38:39]
	v_add_u32_e32 v12, 0xffffff81, v17
	v_mov_b32_e32 v17, 0xffffff82
	v_cndmask_b32_e32 v12, v12, v17, vcc
	v_lshrrev_b32_e32 v17, 23, v10
	v_add3_u32 v19, v19, v12, v17
	v_add_u32_e32 v17, 6, v19
	v_and_b32_e32 v11, 0xfffff, v11
	v_add_u32_e32 v10, v11, v10
	v_mov_b32_e32 v11, v51
	v_cmp_ne_u32_e32 vcc, 0, v17
                                        ; implicit-def: $vgpr12
	s_and_saveexec_b64 s[26:27], vcc
	s_xor_b64 s[26:27], exec, s[26:27]
; %bb.3452:                             ;   in Loop: Header=BB6_3331 Depth=3
	v_cmp_lt_u64_e32 vcc, s[88:89], v[10:11]
	v_add_u32_e32 v12, 7, v19
	v_cndmask_b32_e32 v12, v17, v12, vcc
	v_cndmask_b32_e64 v17, 0, 1, vcc
	v_lshrrev_b64 v[10:11], v17, v[10:11]
; %bb.3453:                             ;   in Loop: Header=BB6_3331 Depth=3
	s_andn2_saveexec_b64 s[26:27], s[26:27]
; %bb.3454:                             ;   in Loop: Header=BB6_3331 Depth=3
	v_bfe_u32 v12, v10, 23, 1
; %bb.3455:                             ;   in Loop: Header=BB6_3331 Depth=3
	s_or_b64 exec, exec, s[26:27]
	v_lshrrev_b64 v[10:11], 20, v[10:11]
	v_cmp_gt_i32_e32 vcc, 16, v12
	v_cndmask_b32_e32 v11, 0, v11, vcc
	v_cndmask_b32_e32 v10, 7, v10, vcc
	v_cmp_ne_u64_e32 vcc, 0, v[10:11]
	v_cmp_ne_u32_e64 s[26:27], 0, v12
	s_or_b64 s[26:27], s[26:27], vcc
                                        ; implicit-def: $vgpr17
	s_and_saveexec_b64 vcc, s[26:27]
	s_xor_b64 s[26:27], exec, vcc
; %bb.3456:                             ;   in Loop: Header=BB6_3331 Depth=3
	v_min_i32_e32 v11, 15, v12
	v_lshl_or_b32 v11, v11, 3, v18
	v_and_or_b32 v17, v10, 7, v11
                                        ; implicit-def: $vgpr18
; %bb.3457:                             ;   in Loop: Header=BB6_3331 Depth=3
	s_andn2_saveexec_b64 s[26:27], s[26:27]
; %bb.3458:                             ;   in Loop: Header=BB6_3331 Depth=3
	v_mov_b32_e32 v17, v18
; %bb.3459:                             ;   in Loop: Header=BB6_3331 Depth=3
	s_or_b64 exec, exec, s[26:27]
.LBB6_3460:                             ;   in Loop: Header=BB6_3331 Depth=3
	s_or_b64 exec, exec, s[36:37]
                                        ; implicit-def: $vgpr18
.LBB6_3461:                             ;   in Loop: Header=BB6_3331 Depth=3
	s_andn2_saveexec_b64 s[26:27], s[34:35]
; %bb.3462:                             ;   in Loop: Header=BB6_3331 Depth=3
	v_or_b32_e32 v17, 0x7e, v18
; %bb.3463:                             ;   in Loop: Header=BB6_3331 Depth=3
	s_or_b64 exec, exec, s[26:27]
                                        ; implicit-def: $vgpr10
.LBB6_3464:                             ;   in Loop: Header=BB6_3331 Depth=3
	s_andn2_saveexec_b64 s[26:27], s[30:31]
; %bb.3465:                             ;   in Loop: Header=BB6_3331 Depth=3
	v_or_b32_sdwa v17, v10, s86 dst_sel:DWORD dst_unused:UNUSED_PAD src0_sel:BYTE_3 src1_sel:DWORD
; %bb.3466:                             ;   in Loop: Header=BB6_3331 Depth=3
	s_or_b64 exec, exec, s[26:27]
	flat_load_ubyte v11, v[8:9] offset:320 glc slc
	v_mov_b32_e32 v12, 0
	s_waitcnt vmcnt(0) lgkmcnt(0)
	v_cmp_ne_u16_e32 vcc, 0, v11
	s_and_saveexec_b64 s[26:27], vcc
	s_cbranch_execz .LBB6_3472
; %bb.3467:                             ;   in Loop: Header=BB6_3331 Depth=3
	v_cmp_ne_u16_e32 vcc, s96, v11
	v_bfrev_b32_e32 v12, 1
	s_and_saveexec_b64 s[30:31], vcc
	s_cbranch_execz .LBB6_3471
; %bb.3468:                             ;   in Loop: Header=BB6_3331 Depth=3
	v_and_b32_e32 v10, 0xffff, v11
	v_and_b32_e32 v18, 0x7f, v10
	v_cmp_ne_u32_e32 vcc, s86, v18
	v_mov_b32_e32 v12, 0x7f800001
	s_and_saveexec_b64 s[34:35], vcc
	s_cbranch_execz .LBB6_3470
; %bb.3469:                             ;   in Loop: Header=BB6_3331 Depth=3
	v_and_b32_e32 v12, 7, v10
	v_lshrrev_b32_e32 v20, 3, v18
	v_cmp_gt_u32_e32 vcc, 8, v18
	v_ffbh_u32_e32 v18, v12
	v_min_u32_e32 v21, 32, v18
	v_subrev_u32_e32 v18, 28, v21
	v_lshlrev_b64 v[18:19], v18, v[10:11]
	v_sub_u32_e32 v10, 29, v21
	v_and_b32_e32 v18, 7, v18
	v_cndmask_b32_e32 v10, v20, v10, vcc
	v_cndmask_b32_e32 v12, v12, v18, vcc
	v_lshlrev_b32_e32 v11, 24, v11
	v_bfrev_b32_e32 v18, 60
	v_lshlrev_b32_e32 v12, 20, v12
	v_and_b32_e32 v11, 0x80000000, v11
	v_lshl_add_u32 v10, v10, 23, v18
	v_or3_b32 v12, v11, v10, v12
.LBB6_3470:                             ;   in Loop: Header=BB6_3331 Depth=3
	s_or_b64 exec, exec, s[34:35]
.LBB6_3471:                             ;   in Loop: Header=BB6_3331 Depth=3
	s_or_b64 exec, exec, s[30:31]
.LBB6_3472:                             ;   in Loop: Header=BB6_3331 Depth=3
	s_or_b64 exec, exec, s[26:27]
	v_mul_f32_e32 v10, s45, v12
	v_and_b32_e32 v11, 0x7f800000, v10
	v_mov_b32_e32 v12, v51
	v_cmp_ne_u64_e32 vcc, s[76:77], v[11:12]
                                        ; implicit-def: $vgpr18
	s_and_saveexec_b64 s[26:27], vcc
	s_xor_b64 s[30:31], exec, s[26:27]
	s_cbranch_execz .LBB6_3490
; %bb.3473:                             ;   in Loop: Header=BB6_3331 Depth=3
	v_and_b32_e32 v11, 0x7fffffff, v10
	v_mov_b32_e32 v12, v51
	v_cmp_gt_u64_e32 vcc, s[78:79], v[11:12]
	v_and_b32_sdwa v19, v10, s96 dst_sel:DWORD dst_unused:UNUSED_PAD src0_sel:BYTE_3 src1_sel:DWORD
                                        ; implicit-def: $vgpr18
	s_and_saveexec_b64 s[26:27], vcc
	s_xor_b64 s[34:35], exec, s[26:27]
	s_cbranch_execz .LBB6_3487
; %bb.3474:                             ;   in Loop: Header=BB6_3331 Depth=3
	v_cmp_ne_u32_e32 vcc, 0, v10
	v_mov_b32_e32 v18, 0
	s_and_saveexec_b64 s[36:37], vcc
	s_cbranch_execz .LBB6_3486
; %bb.3475:                             ;   in Loop: Header=BB6_3331 Depth=3
	v_bfe_u32 v18, v10, 23, 8
	v_and_b32_e32 v11, 0x7fffff, v10
	v_cmp_gt_u32_e64 s[26:27], s97, v18
	v_sub_u32_e32 v10, 0x79, v18
	v_cmp_eq_u32_e32 vcc, 0, v18
	v_cndmask_b32_e64 v10, 0, v10, s[26:27]
	v_mov_b32_e32 v20, 0x78
	v_or_b32_e32 v12, 0x800000, v11
	v_cndmask_b32_e32 v20, v10, v20, vcc
	v_cndmask_b32_e32 v10, v12, v11, vcc
	v_add_u32_e32 v12, 20, v20
	v_lshlrev_b64 v[21:22], v12, -1
	v_mov_b32_e32 v11, v51
	v_add_u32_e32 v12, 19, v20
	v_bfi_b32 v21, v21, 0, v10
	v_lshlrev_b64 v[23:24], v12, 1
	v_lshrrev_b64 v[10:11], v20, v[10:11]
	v_bfi_b32 v22, v22, 0, 0
	v_cmp_eq_u64_e64 s[26:27], v[21:22], v[23:24]
	v_mov_b32_e32 v12, v11
	v_mov_b32_e32 v11, v10
	s_and_saveexec_b64 s[38:39], s[26:27]
; %bb.3476:                             ;   in Loop: Header=BB6_3331 Depth=3
	v_bfe_u32 v11, v10, 20, 1
	v_add_co_u32_e64 v11, s[26:27], v10, v11
	v_add_co_u32_e64 v11, s[26:27], -1, v11
; %bb.3477:                             ;   in Loop: Header=BB6_3331 Depth=3
	s_or_b64 exec, exec, s[38:39]
	v_add_u32_e32 v12, 0xffffff81, v18
	v_mov_b32_e32 v18, 0xffffff82
	v_cndmask_b32_e32 v12, v12, v18, vcc
	v_lshrrev_b32_e32 v18, 23, v10
	v_add3_u32 v20, v20, v12, v18
	v_add_u32_e32 v18, 6, v20
	v_and_b32_e32 v11, 0xfffff, v11
	v_add_u32_e32 v10, v11, v10
	v_mov_b32_e32 v11, v51
	v_cmp_ne_u32_e32 vcc, 0, v18
                                        ; implicit-def: $vgpr12
	s_and_saveexec_b64 s[26:27], vcc
	s_xor_b64 s[26:27], exec, s[26:27]
; %bb.3478:                             ;   in Loop: Header=BB6_3331 Depth=3
	v_cmp_lt_u64_e32 vcc, s[88:89], v[10:11]
	v_add_u32_e32 v12, 7, v20
	v_cndmask_b32_e32 v12, v18, v12, vcc
	v_cndmask_b32_e64 v18, 0, 1, vcc
	v_lshrrev_b64 v[10:11], v18, v[10:11]
; %bb.3479:                             ;   in Loop: Header=BB6_3331 Depth=3
	s_andn2_saveexec_b64 s[26:27], s[26:27]
; %bb.3480:                             ;   in Loop: Header=BB6_3331 Depth=3
	v_bfe_u32 v12, v10, 23, 1
; %bb.3481:                             ;   in Loop: Header=BB6_3331 Depth=3
	s_or_b64 exec, exec, s[26:27]
	v_lshrrev_b64 v[10:11], 20, v[10:11]
	v_cmp_gt_i32_e32 vcc, 16, v12
	v_cndmask_b32_e32 v11, 0, v11, vcc
	v_cndmask_b32_e32 v10, 7, v10, vcc
	v_cmp_ne_u64_e32 vcc, 0, v[10:11]
	v_cmp_ne_u32_e64 s[26:27], 0, v12
	s_or_b64 s[26:27], s[26:27], vcc
                                        ; implicit-def: $vgpr18
	s_and_saveexec_b64 vcc, s[26:27]
	s_xor_b64 s[26:27], exec, vcc
; %bb.3482:                             ;   in Loop: Header=BB6_3331 Depth=3
	v_min_i32_e32 v11, 15, v12
	v_lshl_or_b32 v11, v11, 3, v19
	v_and_or_b32 v18, v10, 7, v11
                                        ; implicit-def: $vgpr19
; %bb.3483:                             ;   in Loop: Header=BB6_3331 Depth=3
	s_andn2_saveexec_b64 s[26:27], s[26:27]
; %bb.3484:                             ;   in Loop: Header=BB6_3331 Depth=3
	v_mov_b32_e32 v18, v19
; %bb.3485:                             ;   in Loop: Header=BB6_3331 Depth=3
	s_or_b64 exec, exec, s[26:27]
.LBB6_3486:                             ;   in Loop: Header=BB6_3331 Depth=3
	s_or_b64 exec, exec, s[36:37]
                                        ; implicit-def: $vgpr19
.LBB6_3487:                             ;   in Loop: Header=BB6_3331 Depth=3
	s_andn2_saveexec_b64 s[26:27], s[34:35]
; %bb.3488:                             ;   in Loop: Header=BB6_3331 Depth=3
	v_or_b32_e32 v18, 0x7e, v19
; %bb.3489:                             ;   in Loop: Header=BB6_3331 Depth=3
	s_or_b64 exec, exec, s[26:27]
                                        ; implicit-def: $vgpr10
.LBB6_3490:                             ;   in Loop: Header=BB6_3331 Depth=3
	s_andn2_saveexec_b64 s[26:27], s[30:31]
; %bb.3491:                             ;   in Loop: Header=BB6_3331 Depth=3
	v_or_b32_sdwa v18, v10, s86 dst_sel:DWORD dst_unused:UNUSED_PAD src0_sel:BYTE_3 src1_sel:DWORD
; %bb.3492:                             ;   in Loop: Header=BB6_3331 Depth=3
	s_or_b64 exec, exec, s[26:27]
	flat_load_ubyte v11, v[8:9] offset:384 glc slc
	v_mov_b32_e32 v12, 0
	s_waitcnt vmcnt(0) lgkmcnt(0)
	v_cmp_ne_u16_e32 vcc, 0, v11
	s_and_saveexec_b64 s[26:27], vcc
	s_cbranch_execz .LBB6_3498
; %bb.3493:                             ;   in Loop: Header=BB6_3331 Depth=3
	v_cmp_ne_u16_e32 vcc, s96, v11
	v_bfrev_b32_e32 v12, 1
	s_and_saveexec_b64 s[30:31], vcc
	s_cbranch_execz .LBB6_3497
; %bb.3494:                             ;   in Loop: Header=BB6_3331 Depth=3
	v_and_b32_e32 v10, 0xffff, v11
	v_and_b32_e32 v19, 0x7f, v10
	v_cmp_ne_u32_e32 vcc, s86, v19
	v_mov_b32_e32 v12, 0x7f800001
	s_and_saveexec_b64 s[34:35], vcc
	s_cbranch_execz .LBB6_3496
; %bb.3495:                             ;   in Loop: Header=BB6_3331 Depth=3
	v_and_b32_e32 v12, 7, v10
	v_lshrrev_b32_e32 v21, 3, v19
	v_cmp_gt_u32_e32 vcc, 8, v19
	v_ffbh_u32_e32 v19, v12
	v_min_u32_e32 v22, 32, v19
	v_subrev_u32_e32 v19, 28, v22
	v_lshlrev_b64 v[19:20], v19, v[10:11]
	v_sub_u32_e32 v10, 29, v22
	v_and_b32_e32 v19, 7, v19
	v_cndmask_b32_e32 v10, v21, v10, vcc
	v_cndmask_b32_e32 v12, v12, v19, vcc
	v_lshlrev_b32_e32 v11, 24, v11
	v_bfrev_b32_e32 v19, 60
	v_lshlrev_b32_e32 v12, 20, v12
	v_and_b32_e32 v11, 0x80000000, v11
	v_lshl_add_u32 v10, v10, 23, v19
	v_or3_b32 v12, v11, v10, v12
.LBB6_3496:                             ;   in Loop: Header=BB6_3331 Depth=3
	s_or_b64 exec, exec, s[34:35]
.LBB6_3497:                             ;   in Loop: Header=BB6_3331 Depth=3
	s_or_b64 exec, exec, s[30:31]
.LBB6_3498:                             ;   in Loop: Header=BB6_3331 Depth=3
	s_or_b64 exec, exec, s[26:27]
	v_mul_f32_e32 v10, s45, v12
	v_and_b32_e32 v11, 0x7f800000, v10
	v_mov_b32_e32 v12, v51
	v_cmp_ne_u64_e32 vcc, s[76:77], v[11:12]
                                        ; implicit-def: $vgpr19
	s_and_saveexec_b64 s[26:27], vcc
	s_xor_b64 s[30:31], exec, s[26:27]
	s_cbranch_execz .LBB6_3516
; %bb.3499:                             ;   in Loop: Header=BB6_3331 Depth=3
	v_and_b32_e32 v11, 0x7fffffff, v10
	v_mov_b32_e32 v12, v51
	v_cmp_gt_u64_e32 vcc, s[78:79], v[11:12]
	v_and_b32_sdwa v20, v10, s96 dst_sel:DWORD dst_unused:UNUSED_PAD src0_sel:BYTE_3 src1_sel:DWORD
                                        ; implicit-def: $vgpr19
	s_and_saveexec_b64 s[26:27], vcc
	s_xor_b64 s[34:35], exec, s[26:27]
	s_cbranch_execz .LBB6_3513
; %bb.3500:                             ;   in Loop: Header=BB6_3331 Depth=3
	v_cmp_ne_u32_e32 vcc, 0, v10
	v_mov_b32_e32 v19, 0
	s_and_saveexec_b64 s[36:37], vcc
	s_cbranch_execz .LBB6_3512
; %bb.3501:                             ;   in Loop: Header=BB6_3331 Depth=3
	v_bfe_u32 v19, v10, 23, 8
	v_and_b32_e32 v11, 0x7fffff, v10
	v_cmp_gt_u32_e64 s[26:27], s97, v19
	v_sub_u32_e32 v10, 0x79, v19
	v_cmp_eq_u32_e32 vcc, 0, v19
	v_cndmask_b32_e64 v10, 0, v10, s[26:27]
	v_mov_b32_e32 v21, 0x78
	v_or_b32_e32 v12, 0x800000, v11
	v_cndmask_b32_e32 v21, v10, v21, vcc
	v_cndmask_b32_e32 v10, v12, v11, vcc
	v_add_u32_e32 v12, 20, v21
	v_lshlrev_b64 v[22:23], v12, -1
	v_mov_b32_e32 v11, v51
	v_add_u32_e32 v12, 19, v21
	v_bfi_b32 v22, v22, 0, v10
	v_lshlrev_b64 v[24:25], v12, 1
	v_lshrrev_b64 v[10:11], v21, v[10:11]
	v_bfi_b32 v23, v23, 0, 0
	v_cmp_eq_u64_e64 s[26:27], v[22:23], v[24:25]
	v_mov_b32_e32 v12, v11
	v_mov_b32_e32 v11, v10
	s_and_saveexec_b64 s[38:39], s[26:27]
; %bb.3502:                             ;   in Loop: Header=BB6_3331 Depth=3
	v_bfe_u32 v11, v10, 20, 1
	v_add_co_u32_e64 v11, s[26:27], v10, v11
	v_add_co_u32_e64 v11, s[26:27], -1, v11
; %bb.3503:                             ;   in Loop: Header=BB6_3331 Depth=3
	s_or_b64 exec, exec, s[38:39]
	v_add_u32_e32 v12, 0xffffff81, v19
	v_mov_b32_e32 v19, 0xffffff82
	v_cndmask_b32_e32 v12, v12, v19, vcc
	v_lshrrev_b32_e32 v19, 23, v10
	v_add3_u32 v21, v21, v12, v19
	v_add_u32_e32 v19, 6, v21
	v_and_b32_e32 v11, 0xfffff, v11
	v_add_u32_e32 v10, v11, v10
	v_mov_b32_e32 v11, v51
	v_cmp_ne_u32_e32 vcc, 0, v19
                                        ; implicit-def: $vgpr12
	s_and_saveexec_b64 s[26:27], vcc
	s_xor_b64 s[26:27], exec, s[26:27]
; %bb.3504:                             ;   in Loop: Header=BB6_3331 Depth=3
	v_cmp_lt_u64_e32 vcc, s[88:89], v[10:11]
	v_add_u32_e32 v12, 7, v21
	v_cndmask_b32_e32 v12, v19, v12, vcc
	v_cndmask_b32_e64 v19, 0, 1, vcc
	v_lshrrev_b64 v[10:11], v19, v[10:11]
; %bb.3505:                             ;   in Loop: Header=BB6_3331 Depth=3
	s_andn2_saveexec_b64 s[26:27], s[26:27]
; %bb.3506:                             ;   in Loop: Header=BB6_3331 Depth=3
	v_bfe_u32 v12, v10, 23, 1
; %bb.3507:                             ;   in Loop: Header=BB6_3331 Depth=3
	s_or_b64 exec, exec, s[26:27]
	v_lshrrev_b64 v[10:11], 20, v[10:11]
	v_cmp_gt_i32_e32 vcc, 16, v12
	v_cndmask_b32_e32 v11, 0, v11, vcc
	v_cndmask_b32_e32 v10, 7, v10, vcc
	v_cmp_ne_u64_e32 vcc, 0, v[10:11]
	v_cmp_ne_u32_e64 s[26:27], 0, v12
	s_or_b64 s[26:27], s[26:27], vcc
                                        ; implicit-def: $vgpr19
	s_and_saveexec_b64 vcc, s[26:27]
	s_xor_b64 s[26:27], exec, vcc
; %bb.3508:                             ;   in Loop: Header=BB6_3331 Depth=3
	v_min_i32_e32 v11, 15, v12
	v_lshl_or_b32 v11, v11, 3, v20
	v_and_or_b32 v19, v10, 7, v11
                                        ; implicit-def: $vgpr20
; %bb.3509:                             ;   in Loop: Header=BB6_3331 Depth=3
	s_andn2_saveexec_b64 s[26:27], s[26:27]
; %bb.3510:                             ;   in Loop: Header=BB6_3331 Depth=3
	v_mov_b32_e32 v19, v20
; %bb.3511:                             ;   in Loop: Header=BB6_3331 Depth=3
	s_or_b64 exec, exec, s[26:27]
.LBB6_3512:                             ;   in Loop: Header=BB6_3331 Depth=3
	s_or_b64 exec, exec, s[36:37]
                                        ; implicit-def: $vgpr20
.LBB6_3513:                             ;   in Loop: Header=BB6_3331 Depth=3
	s_andn2_saveexec_b64 s[26:27], s[34:35]
; %bb.3514:                             ;   in Loop: Header=BB6_3331 Depth=3
	v_or_b32_e32 v19, 0x7e, v20
; %bb.3515:                             ;   in Loop: Header=BB6_3331 Depth=3
	s_or_b64 exec, exec, s[26:27]
                                        ; implicit-def: $vgpr10
.LBB6_3516:                             ;   in Loop: Header=BB6_3331 Depth=3
	s_andn2_saveexec_b64 s[26:27], s[30:31]
; %bb.3517:                             ;   in Loop: Header=BB6_3331 Depth=3
	v_or_b32_sdwa v19, v10, s86 dst_sel:DWORD dst_unused:UNUSED_PAD src0_sel:BYTE_3 src1_sel:DWORD
; %bb.3518:                             ;   in Loop: Header=BB6_3331 Depth=3
	s_or_b64 exec, exec, s[26:27]
	flat_load_ubyte v11, v[8:9] offset:448 glc slc
	v_mov_b32_e32 v12, 0
	s_waitcnt vmcnt(0) lgkmcnt(0)
	v_cmp_ne_u16_e32 vcc, 0, v11
	s_and_saveexec_b64 s[26:27], vcc
	s_cbranch_execz .LBB6_3524
; %bb.3519:                             ;   in Loop: Header=BB6_3331 Depth=3
	v_cmp_ne_u16_e32 vcc, s96, v11
	v_bfrev_b32_e32 v12, 1
	s_and_saveexec_b64 s[30:31], vcc
	s_cbranch_execz .LBB6_3523
; %bb.3520:                             ;   in Loop: Header=BB6_3331 Depth=3
	v_and_b32_e32 v10, 0xffff, v11
	v_and_b32_e32 v20, 0x7f, v10
	v_cmp_ne_u32_e32 vcc, s86, v20
	v_mov_b32_e32 v12, 0x7f800001
	s_and_saveexec_b64 s[34:35], vcc
	s_cbranch_execz .LBB6_3522
; %bb.3521:                             ;   in Loop: Header=BB6_3331 Depth=3
	v_and_b32_e32 v12, 7, v10
	v_lshrrev_b32_e32 v22, 3, v20
	v_cmp_gt_u32_e32 vcc, 8, v20
	v_ffbh_u32_e32 v20, v12
	v_min_u32_e32 v23, 32, v20
	v_subrev_u32_e32 v20, 28, v23
	v_lshlrev_b64 v[20:21], v20, v[10:11]
	v_sub_u32_e32 v10, 29, v23
	v_and_b32_e32 v20, 7, v20
	v_cndmask_b32_e32 v10, v22, v10, vcc
	v_cndmask_b32_e32 v12, v12, v20, vcc
	v_lshlrev_b32_e32 v11, 24, v11
	v_bfrev_b32_e32 v20, 60
	v_lshlrev_b32_e32 v12, 20, v12
	v_and_b32_e32 v11, 0x80000000, v11
	v_lshl_add_u32 v10, v10, 23, v20
	v_or3_b32 v12, v11, v10, v12
.LBB6_3522:                             ;   in Loop: Header=BB6_3331 Depth=3
	s_or_b64 exec, exec, s[34:35]
.LBB6_3523:                             ;   in Loop: Header=BB6_3331 Depth=3
	s_or_b64 exec, exec, s[30:31]
.LBB6_3524:                             ;   in Loop: Header=BB6_3331 Depth=3
	s_or_b64 exec, exec, s[26:27]
	v_mul_f32_e32 v10, s45, v12
	v_and_b32_e32 v11, 0x7f800000, v10
	v_mov_b32_e32 v12, v51
	v_cmp_ne_u64_e32 vcc, s[76:77], v[11:12]
                                        ; implicit-def: $vgpr20
	s_and_saveexec_b64 s[26:27], vcc
	s_xor_b64 s[30:31], exec, s[26:27]
	s_cbranch_execz .LBB6_3542
; %bb.3525:                             ;   in Loop: Header=BB6_3331 Depth=3
	v_and_b32_e32 v11, 0x7fffffff, v10
	v_mov_b32_e32 v12, v51
	v_cmp_gt_u64_e32 vcc, s[78:79], v[11:12]
	v_and_b32_sdwa v21, v10, s96 dst_sel:DWORD dst_unused:UNUSED_PAD src0_sel:BYTE_3 src1_sel:DWORD
                                        ; implicit-def: $vgpr20
	s_and_saveexec_b64 s[26:27], vcc
	s_xor_b64 s[34:35], exec, s[26:27]
	s_cbranch_execz .LBB6_3539
; %bb.3526:                             ;   in Loop: Header=BB6_3331 Depth=3
	v_cmp_ne_u32_e32 vcc, 0, v10
	v_mov_b32_e32 v20, 0
	s_and_saveexec_b64 s[36:37], vcc
	s_cbranch_execz .LBB6_3538
; %bb.3527:                             ;   in Loop: Header=BB6_3331 Depth=3
	v_bfe_u32 v20, v10, 23, 8
	v_and_b32_e32 v11, 0x7fffff, v10
	v_cmp_gt_u32_e64 s[26:27], s97, v20
	v_sub_u32_e32 v10, 0x79, v20
	v_cmp_eq_u32_e32 vcc, 0, v20
	v_cndmask_b32_e64 v10, 0, v10, s[26:27]
	v_mov_b32_e32 v22, 0x78
	v_or_b32_e32 v12, 0x800000, v11
	v_cndmask_b32_e32 v22, v10, v22, vcc
	v_cndmask_b32_e32 v10, v12, v11, vcc
	v_add_u32_e32 v12, 20, v22
	v_lshlrev_b64 v[23:24], v12, -1
	v_mov_b32_e32 v11, v51
	v_add_u32_e32 v12, 19, v22
	v_bfi_b32 v23, v23, 0, v10
	v_lshlrev_b64 v[25:26], v12, 1
	v_lshrrev_b64 v[10:11], v22, v[10:11]
	v_bfi_b32 v24, v24, 0, 0
	v_cmp_eq_u64_e64 s[26:27], v[23:24], v[25:26]
	v_mov_b32_e32 v12, v11
	v_mov_b32_e32 v11, v10
	s_and_saveexec_b64 s[38:39], s[26:27]
; %bb.3528:                             ;   in Loop: Header=BB6_3331 Depth=3
	v_bfe_u32 v11, v10, 20, 1
	v_add_co_u32_e64 v11, s[26:27], v10, v11
	v_add_co_u32_e64 v11, s[26:27], -1, v11
; %bb.3529:                             ;   in Loop: Header=BB6_3331 Depth=3
	s_or_b64 exec, exec, s[38:39]
	v_add_u32_e32 v12, 0xffffff81, v20
	v_mov_b32_e32 v20, 0xffffff82
	v_cndmask_b32_e32 v12, v12, v20, vcc
	v_lshrrev_b32_e32 v20, 23, v10
	v_add3_u32 v22, v22, v12, v20
	v_add_u32_e32 v20, 6, v22
	v_and_b32_e32 v11, 0xfffff, v11
	v_add_u32_e32 v10, v11, v10
	v_mov_b32_e32 v11, v51
	v_cmp_ne_u32_e32 vcc, 0, v20
                                        ; implicit-def: $vgpr12
	s_and_saveexec_b64 s[26:27], vcc
	s_xor_b64 s[26:27], exec, s[26:27]
; %bb.3530:                             ;   in Loop: Header=BB6_3331 Depth=3
	v_cmp_lt_u64_e32 vcc, s[88:89], v[10:11]
	v_add_u32_e32 v12, 7, v22
	v_cndmask_b32_e32 v12, v20, v12, vcc
	v_cndmask_b32_e64 v20, 0, 1, vcc
	v_lshrrev_b64 v[10:11], v20, v[10:11]
; %bb.3531:                             ;   in Loop: Header=BB6_3331 Depth=3
	s_andn2_saveexec_b64 s[26:27], s[26:27]
; %bb.3532:                             ;   in Loop: Header=BB6_3331 Depth=3
	v_bfe_u32 v12, v10, 23, 1
; %bb.3533:                             ;   in Loop: Header=BB6_3331 Depth=3
	s_or_b64 exec, exec, s[26:27]
	v_lshrrev_b64 v[10:11], 20, v[10:11]
	v_cmp_gt_i32_e32 vcc, 16, v12
	v_cndmask_b32_e32 v11, 0, v11, vcc
	v_cndmask_b32_e32 v10, 7, v10, vcc
	v_cmp_ne_u64_e32 vcc, 0, v[10:11]
	v_cmp_ne_u32_e64 s[26:27], 0, v12
	s_or_b64 s[26:27], s[26:27], vcc
                                        ; implicit-def: $vgpr20
	s_and_saveexec_b64 vcc, s[26:27]
	s_xor_b64 s[26:27], exec, vcc
; %bb.3534:                             ;   in Loop: Header=BB6_3331 Depth=3
	v_min_i32_e32 v11, 15, v12
	v_lshl_or_b32 v11, v11, 3, v21
	v_and_or_b32 v20, v10, 7, v11
                                        ; implicit-def: $vgpr21
; %bb.3535:                             ;   in Loop: Header=BB6_3331 Depth=3
	s_andn2_saveexec_b64 s[26:27], s[26:27]
; %bb.3536:                             ;   in Loop: Header=BB6_3331 Depth=3
	v_mov_b32_e32 v20, v21
; %bb.3537:                             ;   in Loop: Header=BB6_3331 Depth=3
	s_or_b64 exec, exec, s[26:27]
.LBB6_3538:                             ;   in Loop: Header=BB6_3331 Depth=3
	s_or_b64 exec, exec, s[36:37]
                                        ; implicit-def: $vgpr21
.LBB6_3539:                             ;   in Loop: Header=BB6_3331 Depth=3
	s_andn2_saveexec_b64 s[26:27], s[34:35]
; %bb.3540:                             ;   in Loop: Header=BB6_3331 Depth=3
	v_or_b32_e32 v20, 0x7e, v21
; %bb.3541:                             ;   in Loop: Header=BB6_3331 Depth=3
	s_or_b64 exec, exec, s[26:27]
                                        ; implicit-def: $vgpr10
.LBB6_3542:                             ;   in Loop: Header=BB6_3331 Depth=3
	s_andn2_saveexec_b64 s[26:27], s[30:31]
; %bb.3543:                             ;   in Loop: Header=BB6_3331 Depth=3
	v_or_b32_sdwa v20, v10, s86 dst_sel:DWORD dst_unused:UNUSED_PAD src0_sel:BYTE_3 src1_sel:DWORD
; %bb.3544:                             ;   in Loop: Header=BB6_3331 Depth=3
	s_or_b64 exec, exec, s[26:27]
	flat_load_ubyte v11, v[8:9] offset:512 glc slc
	v_mov_b32_e32 v12, 0
	s_waitcnt vmcnt(0) lgkmcnt(0)
	v_cmp_ne_u16_e32 vcc, 0, v11
	s_and_saveexec_b64 s[26:27], vcc
	s_cbranch_execz .LBB6_3550
; %bb.3545:                             ;   in Loop: Header=BB6_3331 Depth=3
	v_cmp_ne_u16_e32 vcc, s96, v11
	v_bfrev_b32_e32 v12, 1
	s_and_saveexec_b64 s[30:31], vcc
	s_cbranch_execz .LBB6_3549
; %bb.3546:                             ;   in Loop: Header=BB6_3331 Depth=3
	v_and_b32_e32 v10, 0xffff, v11
	v_and_b32_e32 v21, 0x7f, v10
	v_cmp_ne_u32_e32 vcc, s86, v21
	v_mov_b32_e32 v12, 0x7f800001
	s_and_saveexec_b64 s[34:35], vcc
	s_cbranch_execz .LBB6_3548
; %bb.3547:                             ;   in Loop: Header=BB6_3331 Depth=3
	v_and_b32_e32 v12, 7, v10
	v_lshrrev_b32_e32 v23, 3, v21
	v_cmp_gt_u32_e32 vcc, 8, v21
	v_ffbh_u32_e32 v21, v12
	v_min_u32_e32 v24, 32, v21
	v_subrev_u32_e32 v21, 28, v24
	v_lshlrev_b64 v[21:22], v21, v[10:11]
	v_sub_u32_e32 v10, 29, v24
	v_and_b32_e32 v21, 7, v21
	v_cndmask_b32_e32 v10, v23, v10, vcc
	v_cndmask_b32_e32 v12, v12, v21, vcc
	v_lshlrev_b32_e32 v11, 24, v11
	v_bfrev_b32_e32 v21, 60
	v_lshlrev_b32_e32 v12, 20, v12
	v_and_b32_e32 v11, 0x80000000, v11
	v_lshl_add_u32 v10, v10, 23, v21
	v_or3_b32 v12, v11, v10, v12
.LBB6_3548:                             ;   in Loop: Header=BB6_3331 Depth=3
	s_or_b64 exec, exec, s[34:35]
.LBB6_3549:                             ;   in Loop: Header=BB6_3331 Depth=3
	s_or_b64 exec, exec, s[30:31]
.LBB6_3550:                             ;   in Loop: Header=BB6_3331 Depth=3
	s_or_b64 exec, exec, s[26:27]
	v_mul_f32_e32 v10, s45, v12
	v_and_b32_e32 v11, 0x7f800000, v10
	v_mov_b32_e32 v12, v51
	v_cmp_ne_u64_e32 vcc, s[76:77], v[11:12]
                                        ; implicit-def: $vgpr21
	s_and_saveexec_b64 s[26:27], vcc
	s_xor_b64 s[30:31], exec, s[26:27]
	s_cbranch_execz .LBB6_3568
; %bb.3551:                             ;   in Loop: Header=BB6_3331 Depth=3
	v_and_b32_e32 v11, 0x7fffffff, v10
	v_mov_b32_e32 v12, v51
	v_cmp_gt_u64_e32 vcc, s[78:79], v[11:12]
	v_and_b32_sdwa v22, v10, s96 dst_sel:DWORD dst_unused:UNUSED_PAD src0_sel:BYTE_3 src1_sel:DWORD
                                        ; implicit-def: $vgpr21
	s_and_saveexec_b64 s[26:27], vcc
	s_xor_b64 s[34:35], exec, s[26:27]
	s_cbranch_execz .LBB6_3565
; %bb.3552:                             ;   in Loop: Header=BB6_3331 Depth=3
	v_cmp_ne_u32_e32 vcc, 0, v10
	v_mov_b32_e32 v21, 0
	s_and_saveexec_b64 s[36:37], vcc
	s_cbranch_execz .LBB6_3564
; %bb.3553:                             ;   in Loop: Header=BB6_3331 Depth=3
	v_bfe_u32 v21, v10, 23, 8
	v_and_b32_e32 v11, 0x7fffff, v10
	v_cmp_gt_u32_e64 s[26:27], s97, v21
	v_sub_u32_e32 v10, 0x79, v21
	v_cmp_eq_u32_e32 vcc, 0, v21
	v_cndmask_b32_e64 v10, 0, v10, s[26:27]
	v_mov_b32_e32 v23, 0x78
	v_or_b32_e32 v12, 0x800000, v11
	v_cndmask_b32_e32 v23, v10, v23, vcc
	v_cndmask_b32_e32 v10, v12, v11, vcc
	v_add_u32_e32 v12, 20, v23
	v_lshlrev_b64 v[24:25], v12, -1
	v_mov_b32_e32 v11, v51
	v_add_u32_e32 v12, 19, v23
	v_bfi_b32 v24, v24, 0, v10
	v_lshlrev_b64 v[26:27], v12, 1
	v_lshrrev_b64 v[10:11], v23, v[10:11]
	v_bfi_b32 v25, v25, 0, 0
	v_cmp_eq_u64_e64 s[26:27], v[24:25], v[26:27]
	v_mov_b32_e32 v12, v11
	v_mov_b32_e32 v11, v10
	s_and_saveexec_b64 s[38:39], s[26:27]
; %bb.3554:                             ;   in Loop: Header=BB6_3331 Depth=3
	v_bfe_u32 v11, v10, 20, 1
	v_add_co_u32_e64 v11, s[26:27], v10, v11
	v_add_co_u32_e64 v11, s[26:27], -1, v11
; %bb.3555:                             ;   in Loop: Header=BB6_3331 Depth=3
	s_or_b64 exec, exec, s[38:39]
	v_add_u32_e32 v12, 0xffffff81, v21
	v_mov_b32_e32 v21, 0xffffff82
	v_cndmask_b32_e32 v12, v12, v21, vcc
	v_lshrrev_b32_e32 v21, 23, v10
	v_add3_u32 v23, v23, v12, v21
	v_add_u32_e32 v21, 6, v23
	v_and_b32_e32 v11, 0xfffff, v11
	v_add_u32_e32 v10, v11, v10
	v_mov_b32_e32 v11, v51
	v_cmp_ne_u32_e32 vcc, 0, v21
                                        ; implicit-def: $vgpr12
	s_and_saveexec_b64 s[26:27], vcc
	s_xor_b64 s[26:27], exec, s[26:27]
; %bb.3556:                             ;   in Loop: Header=BB6_3331 Depth=3
	v_cmp_lt_u64_e32 vcc, s[88:89], v[10:11]
	v_add_u32_e32 v12, 7, v23
	v_cndmask_b32_e32 v12, v21, v12, vcc
	v_cndmask_b32_e64 v21, 0, 1, vcc
	v_lshrrev_b64 v[10:11], v21, v[10:11]
; %bb.3557:                             ;   in Loop: Header=BB6_3331 Depth=3
	s_andn2_saveexec_b64 s[26:27], s[26:27]
; %bb.3558:                             ;   in Loop: Header=BB6_3331 Depth=3
	v_bfe_u32 v12, v10, 23, 1
; %bb.3559:                             ;   in Loop: Header=BB6_3331 Depth=3
	s_or_b64 exec, exec, s[26:27]
	v_lshrrev_b64 v[10:11], 20, v[10:11]
	v_cmp_gt_i32_e32 vcc, 16, v12
	v_cndmask_b32_e32 v11, 0, v11, vcc
	v_cndmask_b32_e32 v10, 7, v10, vcc
	v_cmp_ne_u64_e32 vcc, 0, v[10:11]
	v_cmp_ne_u32_e64 s[26:27], 0, v12
	s_or_b64 s[26:27], s[26:27], vcc
                                        ; implicit-def: $vgpr21
	s_and_saveexec_b64 vcc, s[26:27]
	s_xor_b64 s[26:27], exec, vcc
; %bb.3560:                             ;   in Loop: Header=BB6_3331 Depth=3
	v_min_i32_e32 v11, 15, v12
	v_lshl_or_b32 v11, v11, 3, v22
	v_and_or_b32 v21, v10, 7, v11
                                        ; implicit-def: $vgpr22
; %bb.3561:                             ;   in Loop: Header=BB6_3331 Depth=3
	s_andn2_saveexec_b64 s[26:27], s[26:27]
; %bb.3562:                             ;   in Loop: Header=BB6_3331 Depth=3
	v_mov_b32_e32 v21, v22
; %bb.3563:                             ;   in Loop: Header=BB6_3331 Depth=3
	s_or_b64 exec, exec, s[26:27]
.LBB6_3564:                             ;   in Loop: Header=BB6_3331 Depth=3
	s_or_b64 exec, exec, s[36:37]
                                        ; implicit-def: $vgpr22
.LBB6_3565:                             ;   in Loop: Header=BB6_3331 Depth=3
	s_andn2_saveexec_b64 s[26:27], s[34:35]
; %bb.3566:                             ;   in Loop: Header=BB6_3331 Depth=3
	v_or_b32_e32 v21, 0x7e, v22
; %bb.3567:                             ;   in Loop: Header=BB6_3331 Depth=3
	s_or_b64 exec, exec, s[26:27]
                                        ; implicit-def: $vgpr10
.LBB6_3568:                             ;   in Loop: Header=BB6_3331 Depth=3
	s_andn2_saveexec_b64 s[26:27], s[30:31]
; %bb.3569:                             ;   in Loop: Header=BB6_3331 Depth=3
	v_or_b32_sdwa v21, v10, s86 dst_sel:DWORD dst_unused:UNUSED_PAD src0_sel:BYTE_3 src1_sel:DWORD
; %bb.3570:                             ;   in Loop: Header=BB6_3331 Depth=3
	s_or_b64 exec, exec, s[26:27]
	flat_load_ubyte v11, v[8:9] offset:576 glc slc
	v_mov_b32_e32 v12, 0
	s_waitcnt vmcnt(0) lgkmcnt(0)
	v_cmp_ne_u16_e32 vcc, 0, v11
	s_and_saveexec_b64 s[26:27], vcc
	s_cbranch_execz .LBB6_3576
; %bb.3571:                             ;   in Loop: Header=BB6_3331 Depth=3
	v_cmp_ne_u16_e32 vcc, s96, v11
	v_bfrev_b32_e32 v12, 1
	s_and_saveexec_b64 s[30:31], vcc
	s_cbranch_execz .LBB6_3575
; %bb.3572:                             ;   in Loop: Header=BB6_3331 Depth=3
	v_and_b32_e32 v10, 0xffff, v11
	v_and_b32_e32 v22, 0x7f, v10
	v_cmp_ne_u32_e32 vcc, s86, v22
	v_mov_b32_e32 v12, 0x7f800001
	s_and_saveexec_b64 s[34:35], vcc
	s_cbranch_execz .LBB6_3574
; %bb.3573:                             ;   in Loop: Header=BB6_3331 Depth=3
	v_and_b32_e32 v12, 7, v10
	v_lshrrev_b32_e32 v24, 3, v22
	v_cmp_gt_u32_e32 vcc, 8, v22
	v_ffbh_u32_e32 v22, v12
	v_min_u32_e32 v25, 32, v22
	v_subrev_u32_e32 v22, 28, v25
	v_lshlrev_b64 v[22:23], v22, v[10:11]
	v_sub_u32_e32 v10, 29, v25
	v_and_b32_e32 v22, 7, v22
	v_cndmask_b32_e32 v10, v24, v10, vcc
	v_cndmask_b32_e32 v12, v12, v22, vcc
	v_lshlrev_b32_e32 v11, 24, v11
	v_bfrev_b32_e32 v22, 60
	v_lshlrev_b32_e32 v12, 20, v12
	v_and_b32_e32 v11, 0x80000000, v11
	v_lshl_add_u32 v10, v10, 23, v22
	v_or3_b32 v12, v11, v10, v12
.LBB6_3574:                             ;   in Loop: Header=BB6_3331 Depth=3
	s_or_b64 exec, exec, s[34:35]
.LBB6_3575:                             ;   in Loop: Header=BB6_3331 Depth=3
	s_or_b64 exec, exec, s[30:31]
.LBB6_3576:                             ;   in Loop: Header=BB6_3331 Depth=3
	s_or_b64 exec, exec, s[26:27]
	v_mul_f32_e32 v10, s45, v12
	v_and_b32_e32 v11, 0x7f800000, v10
	v_mov_b32_e32 v12, v51
	v_cmp_ne_u64_e32 vcc, s[76:77], v[11:12]
                                        ; implicit-def: $vgpr22
	s_and_saveexec_b64 s[26:27], vcc
	s_xor_b64 s[30:31], exec, s[26:27]
	s_cbranch_execz .LBB6_3594
; %bb.3577:                             ;   in Loop: Header=BB6_3331 Depth=3
	v_and_b32_e32 v11, 0x7fffffff, v10
	v_mov_b32_e32 v12, v51
	v_cmp_gt_u64_e32 vcc, s[78:79], v[11:12]
	v_and_b32_sdwa v23, v10, s96 dst_sel:DWORD dst_unused:UNUSED_PAD src0_sel:BYTE_3 src1_sel:DWORD
                                        ; implicit-def: $vgpr22
	s_and_saveexec_b64 s[26:27], vcc
	s_xor_b64 s[34:35], exec, s[26:27]
	s_cbranch_execz .LBB6_3591
; %bb.3578:                             ;   in Loop: Header=BB6_3331 Depth=3
	v_cmp_ne_u32_e32 vcc, 0, v10
	v_mov_b32_e32 v22, 0
	s_and_saveexec_b64 s[36:37], vcc
	s_cbranch_execz .LBB6_3590
; %bb.3579:                             ;   in Loop: Header=BB6_3331 Depth=3
	v_bfe_u32 v22, v10, 23, 8
	v_and_b32_e32 v11, 0x7fffff, v10
	v_cmp_gt_u32_e64 s[26:27], s97, v22
	v_sub_u32_e32 v10, 0x79, v22
	v_cmp_eq_u32_e32 vcc, 0, v22
	v_cndmask_b32_e64 v10, 0, v10, s[26:27]
	v_mov_b32_e32 v24, 0x78
	v_or_b32_e32 v12, 0x800000, v11
	v_cndmask_b32_e32 v24, v10, v24, vcc
	v_cndmask_b32_e32 v10, v12, v11, vcc
	v_add_u32_e32 v12, 20, v24
	v_lshlrev_b64 v[25:26], v12, -1
	v_mov_b32_e32 v11, v51
	v_add_u32_e32 v12, 19, v24
	v_bfi_b32 v25, v25, 0, v10
	v_lshlrev_b64 v[27:28], v12, 1
	v_lshrrev_b64 v[10:11], v24, v[10:11]
	v_bfi_b32 v26, v26, 0, 0
	v_cmp_eq_u64_e64 s[26:27], v[25:26], v[27:28]
	v_mov_b32_e32 v12, v11
	v_mov_b32_e32 v11, v10
	s_and_saveexec_b64 s[38:39], s[26:27]
; %bb.3580:                             ;   in Loop: Header=BB6_3331 Depth=3
	v_bfe_u32 v11, v10, 20, 1
	v_add_co_u32_e64 v11, s[26:27], v10, v11
	v_add_co_u32_e64 v11, s[26:27], -1, v11
; %bb.3581:                             ;   in Loop: Header=BB6_3331 Depth=3
	s_or_b64 exec, exec, s[38:39]
	v_add_u32_e32 v12, 0xffffff81, v22
	v_mov_b32_e32 v22, 0xffffff82
	v_cndmask_b32_e32 v12, v12, v22, vcc
	v_lshrrev_b32_e32 v22, 23, v10
	v_add3_u32 v24, v24, v12, v22
	v_add_u32_e32 v22, 6, v24
	v_and_b32_e32 v11, 0xfffff, v11
	v_add_u32_e32 v10, v11, v10
	v_mov_b32_e32 v11, v51
	v_cmp_ne_u32_e32 vcc, 0, v22
                                        ; implicit-def: $vgpr12
	s_and_saveexec_b64 s[26:27], vcc
	s_xor_b64 s[26:27], exec, s[26:27]
; %bb.3582:                             ;   in Loop: Header=BB6_3331 Depth=3
	v_cmp_lt_u64_e32 vcc, s[88:89], v[10:11]
	v_add_u32_e32 v12, 7, v24
	v_cndmask_b32_e32 v12, v22, v12, vcc
	v_cndmask_b32_e64 v22, 0, 1, vcc
	v_lshrrev_b64 v[10:11], v22, v[10:11]
; %bb.3583:                             ;   in Loop: Header=BB6_3331 Depth=3
	s_andn2_saveexec_b64 s[26:27], s[26:27]
; %bb.3584:                             ;   in Loop: Header=BB6_3331 Depth=3
	v_bfe_u32 v12, v10, 23, 1
; %bb.3585:                             ;   in Loop: Header=BB6_3331 Depth=3
	s_or_b64 exec, exec, s[26:27]
	v_lshrrev_b64 v[10:11], 20, v[10:11]
	v_cmp_gt_i32_e32 vcc, 16, v12
	v_cndmask_b32_e32 v11, 0, v11, vcc
	v_cndmask_b32_e32 v10, 7, v10, vcc
	v_cmp_ne_u64_e32 vcc, 0, v[10:11]
	v_cmp_ne_u32_e64 s[26:27], 0, v12
	s_or_b64 s[26:27], s[26:27], vcc
                                        ; implicit-def: $vgpr22
	s_and_saveexec_b64 vcc, s[26:27]
	s_xor_b64 s[26:27], exec, vcc
; %bb.3586:                             ;   in Loop: Header=BB6_3331 Depth=3
	v_min_i32_e32 v11, 15, v12
	v_lshl_or_b32 v11, v11, 3, v23
	v_and_or_b32 v22, v10, 7, v11
                                        ; implicit-def: $vgpr23
; %bb.3587:                             ;   in Loop: Header=BB6_3331 Depth=3
	s_andn2_saveexec_b64 s[26:27], s[26:27]
; %bb.3588:                             ;   in Loop: Header=BB6_3331 Depth=3
	v_mov_b32_e32 v22, v23
; %bb.3589:                             ;   in Loop: Header=BB6_3331 Depth=3
	s_or_b64 exec, exec, s[26:27]
.LBB6_3590:                             ;   in Loop: Header=BB6_3331 Depth=3
	s_or_b64 exec, exec, s[36:37]
                                        ; implicit-def: $vgpr23
.LBB6_3591:                             ;   in Loop: Header=BB6_3331 Depth=3
	s_andn2_saveexec_b64 s[26:27], s[34:35]
; %bb.3592:                             ;   in Loop: Header=BB6_3331 Depth=3
	v_or_b32_e32 v22, 0x7e, v23
; %bb.3593:                             ;   in Loop: Header=BB6_3331 Depth=3
	s_or_b64 exec, exec, s[26:27]
                                        ; implicit-def: $vgpr10
.LBB6_3594:                             ;   in Loop: Header=BB6_3331 Depth=3
	s_andn2_saveexec_b64 s[26:27], s[30:31]
; %bb.3595:                             ;   in Loop: Header=BB6_3331 Depth=3
	v_or_b32_sdwa v22, v10, s86 dst_sel:DWORD dst_unused:UNUSED_PAD src0_sel:BYTE_3 src1_sel:DWORD
; %bb.3596:                             ;   in Loop: Header=BB6_3331 Depth=3
	s_or_b64 exec, exec, s[26:27]
	flat_load_ubyte v11, v[8:9] offset:640 glc slc
	v_mov_b32_e32 v12, 0
	s_waitcnt vmcnt(0) lgkmcnt(0)
	v_cmp_ne_u16_e32 vcc, 0, v11
	s_and_saveexec_b64 s[26:27], vcc
	s_cbranch_execz .LBB6_3602
; %bb.3597:                             ;   in Loop: Header=BB6_3331 Depth=3
	v_cmp_ne_u16_e32 vcc, s96, v11
	v_bfrev_b32_e32 v12, 1
	s_and_saveexec_b64 s[30:31], vcc
	s_cbranch_execz .LBB6_3601
; %bb.3598:                             ;   in Loop: Header=BB6_3331 Depth=3
	v_and_b32_e32 v10, 0xffff, v11
	v_and_b32_e32 v23, 0x7f, v10
	v_cmp_ne_u32_e32 vcc, s86, v23
	v_mov_b32_e32 v12, 0x7f800001
	s_and_saveexec_b64 s[34:35], vcc
	s_cbranch_execz .LBB6_3600
; %bb.3599:                             ;   in Loop: Header=BB6_3331 Depth=3
	v_and_b32_e32 v12, 7, v10
	v_lshrrev_b32_e32 v25, 3, v23
	v_cmp_gt_u32_e32 vcc, 8, v23
	v_ffbh_u32_e32 v23, v12
	v_min_u32_e32 v26, 32, v23
	v_subrev_u32_e32 v23, 28, v26
	v_lshlrev_b64 v[23:24], v23, v[10:11]
	v_sub_u32_e32 v10, 29, v26
	v_and_b32_e32 v23, 7, v23
	v_cndmask_b32_e32 v10, v25, v10, vcc
	v_cndmask_b32_e32 v12, v12, v23, vcc
	v_lshlrev_b32_e32 v11, 24, v11
	v_bfrev_b32_e32 v23, 60
	v_lshlrev_b32_e32 v12, 20, v12
	v_and_b32_e32 v11, 0x80000000, v11
	v_lshl_add_u32 v10, v10, 23, v23
	v_or3_b32 v12, v11, v10, v12
.LBB6_3600:                             ;   in Loop: Header=BB6_3331 Depth=3
	s_or_b64 exec, exec, s[34:35]
.LBB6_3601:                             ;   in Loop: Header=BB6_3331 Depth=3
	s_or_b64 exec, exec, s[30:31]
.LBB6_3602:                             ;   in Loop: Header=BB6_3331 Depth=3
	s_or_b64 exec, exec, s[26:27]
	v_mul_f32_e32 v10, s45, v12
	v_and_b32_e32 v11, 0x7f800000, v10
	v_mov_b32_e32 v12, v51
	v_cmp_ne_u64_e32 vcc, s[76:77], v[11:12]
                                        ; implicit-def: $vgpr23
	s_and_saveexec_b64 s[26:27], vcc
	s_xor_b64 s[30:31], exec, s[26:27]
	s_cbranch_execz .LBB6_3620
; %bb.3603:                             ;   in Loop: Header=BB6_3331 Depth=3
	v_and_b32_e32 v11, 0x7fffffff, v10
	v_mov_b32_e32 v12, v51
	v_cmp_gt_u64_e32 vcc, s[78:79], v[11:12]
	v_and_b32_sdwa v24, v10, s96 dst_sel:DWORD dst_unused:UNUSED_PAD src0_sel:BYTE_3 src1_sel:DWORD
                                        ; implicit-def: $vgpr23
	s_and_saveexec_b64 s[26:27], vcc
	s_xor_b64 s[34:35], exec, s[26:27]
	s_cbranch_execz .LBB6_3617
; %bb.3604:                             ;   in Loop: Header=BB6_3331 Depth=3
	v_cmp_ne_u32_e32 vcc, 0, v10
	v_mov_b32_e32 v23, 0
	s_and_saveexec_b64 s[36:37], vcc
	s_cbranch_execz .LBB6_3616
; %bb.3605:                             ;   in Loop: Header=BB6_3331 Depth=3
	v_bfe_u32 v23, v10, 23, 8
	v_and_b32_e32 v11, 0x7fffff, v10
	v_cmp_gt_u32_e64 s[26:27], s97, v23
	v_sub_u32_e32 v10, 0x79, v23
	v_cmp_eq_u32_e32 vcc, 0, v23
	v_cndmask_b32_e64 v10, 0, v10, s[26:27]
	v_mov_b32_e32 v25, 0x78
	v_or_b32_e32 v12, 0x800000, v11
	v_cndmask_b32_e32 v25, v10, v25, vcc
	v_cndmask_b32_e32 v10, v12, v11, vcc
	v_add_u32_e32 v12, 20, v25
	v_lshlrev_b64 v[26:27], v12, -1
	v_mov_b32_e32 v11, v51
	v_add_u32_e32 v12, 19, v25
	v_bfi_b32 v26, v26, 0, v10
	v_lshlrev_b64 v[28:29], v12, 1
	v_lshrrev_b64 v[10:11], v25, v[10:11]
	v_bfi_b32 v27, v27, 0, 0
	v_cmp_eq_u64_e64 s[26:27], v[26:27], v[28:29]
	v_mov_b32_e32 v12, v11
	v_mov_b32_e32 v11, v10
	s_and_saveexec_b64 s[38:39], s[26:27]
; %bb.3606:                             ;   in Loop: Header=BB6_3331 Depth=3
	v_bfe_u32 v11, v10, 20, 1
	v_add_co_u32_e64 v11, s[26:27], v10, v11
	v_add_co_u32_e64 v11, s[26:27], -1, v11
; %bb.3607:                             ;   in Loop: Header=BB6_3331 Depth=3
	s_or_b64 exec, exec, s[38:39]
	v_add_u32_e32 v12, 0xffffff81, v23
	v_mov_b32_e32 v23, 0xffffff82
	v_cndmask_b32_e32 v12, v12, v23, vcc
	v_lshrrev_b32_e32 v23, 23, v10
	v_add3_u32 v25, v25, v12, v23
	v_add_u32_e32 v23, 6, v25
	v_and_b32_e32 v11, 0xfffff, v11
	v_add_u32_e32 v10, v11, v10
	v_mov_b32_e32 v11, v51
	v_cmp_ne_u32_e32 vcc, 0, v23
                                        ; implicit-def: $vgpr12
	s_and_saveexec_b64 s[26:27], vcc
	s_xor_b64 s[26:27], exec, s[26:27]
; %bb.3608:                             ;   in Loop: Header=BB6_3331 Depth=3
	v_cmp_lt_u64_e32 vcc, s[88:89], v[10:11]
	v_add_u32_e32 v12, 7, v25
	v_cndmask_b32_e32 v12, v23, v12, vcc
	v_cndmask_b32_e64 v23, 0, 1, vcc
	v_lshrrev_b64 v[10:11], v23, v[10:11]
; %bb.3609:                             ;   in Loop: Header=BB6_3331 Depth=3
	s_andn2_saveexec_b64 s[26:27], s[26:27]
; %bb.3610:                             ;   in Loop: Header=BB6_3331 Depth=3
	v_bfe_u32 v12, v10, 23, 1
; %bb.3611:                             ;   in Loop: Header=BB6_3331 Depth=3
	s_or_b64 exec, exec, s[26:27]
	v_lshrrev_b64 v[10:11], 20, v[10:11]
	v_cmp_gt_i32_e32 vcc, 16, v12
	v_cndmask_b32_e32 v11, 0, v11, vcc
	v_cndmask_b32_e32 v10, 7, v10, vcc
	v_cmp_ne_u64_e32 vcc, 0, v[10:11]
	v_cmp_ne_u32_e64 s[26:27], 0, v12
	s_or_b64 s[26:27], s[26:27], vcc
                                        ; implicit-def: $vgpr23
	s_and_saveexec_b64 vcc, s[26:27]
	s_xor_b64 s[26:27], exec, vcc
; %bb.3612:                             ;   in Loop: Header=BB6_3331 Depth=3
	v_min_i32_e32 v11, 15, v12
	v_lshl_or_b32 v11, v11, 3, v24
	v_and_or_b32 v23, v10, 7, v11
                                        ; implicit-def: $vgpr24
; %bb.3613:                             ;   in Loop: Header=BB6_3331 Depth=3
	s_andn2_saveexec_b64 s[26:27], s[26:27]
; %bb.3614:                             ;   in Loop: Header=BB6_3331 Depth=3
	v_mov_b32_e32 v23, v24
; %bb.3615:                             ;   in Loop: Header=BB6_3331 Depth=3
	s_or_b64 exec, exec, s[26:27]
.LBB6_3616:                             ;   in Loop: Header=BB6_3331 Depth=3
	s_or_b64 exec, exec, s[36:37]
                                        ; implicit-def: $vgpr24
.LBB6_3617:                             ;   in Loop: Header=BB6_3331 Depth=3
	s_andn2_saveexec_b64 s[26:27], s[34:35]
; %bb.3618:                             ;   in Loop: Header=BB6_3331 Depth=3
	v_or_b32_e32 v23, 0x7e, v24
; %bb.3619:                             ;   in Loop: Header=BB6_3331 Depth=3
	s_or_b64 exec, exec, s[26:27]
                                        ; implicit-def: $vgpr10
.LBB6_3620:                             ;   in Loop: Header=BB6_3331 Depth=3
	s_andn2_saveexec_b64 s[26:27], s[30:31]
; %bb.3621:                             ;   in Loop: Header=BB6_3331 Depth=3
	v_or_b32_sdwa v23, v10, s86 dst_sel:DWORD dst_unused:UNUSED_PAD src0_sel:BYTE_3 src1_sel:DWORD
; %bb.3622:                             ;   in Loop: Header=BB6_3331 Depth=3
	s_or_b64 exec, exec, s[26:27]
	flat_load_ubyte v11, v[8:9] offset:704 glc slc
	v_mov_b32_e32 v12, 0
	s_waitcnt vmcnt(0) lgkmcnt(0)
	v_cmp_ne_u16_e32 vcc, 0, v11
	s_and_saveexec_b64 s[26:27], vcc
	s_cbranch_execz .LBB6_3628
; %bb.3623:                             ;   in Loop: Header=BB6_3331 Depth=3
	v_cmp_ne_u16_e32 vcc, s96, v11
	v_bfrev_b32_e32 v12, 1
	s_and_saveexec_b64 s[30:31], vcc
	s_cbranch_execz .LBB6_3627
; %bb.3624:                             ;   in Loop: Header=BB6_3331 Depth=3
	v_and_b32_e32 v10, 0xffff, v11
	v_and_b32_e32 v24, 0x7f, v10
	v_cmp_ne_u32_e32 vcc, s86, v24
	v_mov_b32_e32 v12, 0x7f800001
	s_and_saveexec_b64 s[34:35], vcc
	s_cbranch_execz .LBB6_3626
; %bb.3625:                             ;   in Loop: Header=BB6_3331 Depth=3
	v_and_b32_e32 v12, 7, v10
	v_lshrrev_b32_e32 v26, 3, v24
	v_cmp_gt_u32_e32 vcc, 8, v24
	v_ffbh_u32_e32 v24, v12
	v_min_u32_e32 v27, 32, v24
	v_subrev_u32_e32 v24, 28, v27
	v_lshlrev_b64 v[24:25], v24, v[10:11]
	v_sub_u32_e32 v10, 29, v27
	v_and_b32_e32 v24, 7, v24
	v_cndmask_b32_e32 v10, v26, v10, vcc
	v_cndmask_b32_e32 v12, v12, v24, vcc
	v_lshlrev_b32_e32 v11, 24, v11
	v_bfrev_b32_e32 v24, 60
	v_lshlrev_b32_e32 v12, 20, v12
	v_and_b32_e32 v11, 0x80000000, v11
	v_lshl_add_u32 v10, v10, 23, v24
	v_or3_b32 v12, v11, v10, v12
.LBB6_3626:                             ;   in Loop: Header=BB6_3331 Depth=3
	s_or_b64 exec, exec, s[34:35]
.LBB6_3627:                             ;   in Loop: Header=BB6_3331 Depth=3
	s_or_b64 exec, exec, s[30:31]
.LBB6_3628:                             ;   in Loop: Header=BB6_3331 Depth=3
	s_or_b64 exec, exec, s[26:27]
	v_mul_f32_e32 v10, s45, v12
	v_and_b32_e32 v11, 0x7f800000, v10
	v_mov_b32_e32 v12, v51
	v_cmp_ne_u64_e32 vcc, s[76:77], v[11:12]
                                        ; implicit-def: $vgpr24
	s_and_saveexec_b64 s[26:27], vcc
	s_xor_b64 s[30:31], exec, s[26:27]
	s_cbranch_execz .LBB6_3646
; %bb.3629:                             ;   in Loop: Header=BB6_3331 Depth=3
	v_and_b32_e32 v11, 0x7fffffff, v10
	v_mov_b32_e32 v12, v51
	v_cmp_gt_u64_e32 vcc, s[78:79], v[11:12]
	v_and_b32_sdwa v25, v10, s96 dst_sel:DWORD dst_unused:UNUSED_PAD src0_sel:BYTE_3 src1_sel:DWORD
                                        ; implicit-def: $vgpr24
	s_and_saveexec_b64 s[26:27], vcc
	s_xor_b64 s[34:35], exec, s[26:27]
	s_cbranch_execz .LBB6_3643
; %bb.3630:                             ;   in Loop: Header=BB6_3331 Depth=3
	v_cmp_ne_u32_e32 vcc, 0, v10
	v_mov_b32_e32 v24, 0
	s_and_saveexec_b64 s[36:37], vcc
	s_cbranch_execz .LBB6_3642
; %bb.3631:                             ;   in Loop: Header=BB6_3331 Depth=3
	v_bfe_u32 v24, v10, 23, 8
	v_and_b32_e32 v11, 0x7fffff, v10
	v_cmp_gt_u32_e64 s[26:27], s97, v24
	v_sub_u32_e32 v10, 0x79, v24
	v_cmp_eq_u32_e32 vcc, 0, v24
	v_cndmask_b32_e64 v10, 0, v10, s[26:27]
	v_mov_b32_e32 v26, 0x78
	v_or_b32_e32 v12, 0x800000, v11
	v_cndmask_b32_e32 v26, v10, v26, vcc
	v_cndmask_b32_e32 v10, v12, v11, vcc
	v_add_u32_e32 v12, 20, v26
	v_lshlrev_b64 v[27:28], v12, -1
	v_mov_b32_e32 v11, v51
	v_add_u32_e32 v12, 19, v26
	v_bfi_b32 v27, v27, 0, v10
	v_lshlrev_b64 v[29:30], v12, 1
	v_lshrrev_b64 v[10:11], v26, v[10:11]
	v_bfi_b32 v28, v28, 0, 0
	v_cmp_eq_u64_e64 s[26:27], v[27:28], v[29:30]
	v_mov_b32_e32 v12, v11
	v_mov_b32_e32 v11, v10
	s_and_saveexec_b64 s[38:39], s[26:27]
; %bb.3632:                             ;   in Loop: Header=BB6_3331 Depth=3
	v_bfe_u32 v11, v10, 20, 1
	v_add_co_u32_e64 v11, s[26:27], v10, v11
	v_add_co_u32_e64 v11, s[26:27], -1, v11
; %bb.3633:                             ;   in Loop: Header=BB6_3331 Depth=3
	s_or_b64 exec, exec, s[38:39]
	v_add_u32_e32 v12, 0xffffff81, v24
	v_mov_b32_e32 v24, 0xffffff82
	v_cndmask_b32_e32 v12, v12, v24, vcc
	v_lshrrev_b32_e32 v24, 23, v10
	v_add3_u32 v26, v26, v12, v24
	v_add_u32_e32 v24, 6, v26
	v_and_b32_e32 v11, 0xfffff, v11
	v_add_u32_e32 v10, v11, v10
	v_mov_b32_e32 v11, v51
	v_cmp_ne_u32_e32 vcc, 0, v24
                                        ; implicit-def: $vgpr12
	s_and_saveexec_b64 s[26:27], vcc
	s_xor_b64 s[26:27], exec, s[26:27]
; %bb.3634:                             ;   in Loop: Header=BB6_3331 Depth=3
	v_cmp_lt_u64_e32 vcc, s[88:89], v[10:11]
	v_add_u32_e32 v12, 7, v26
	v_cndmask_b32_e32 v12, v24, v12, vcc
	v_cndmask_b32_e64 v24, 0, 1, vcc
	v_lshrrev_b64 v[10:11], v24, v[10:11]
; %bb.3635:                             ;   in Loop: Header=BB6_3331 Depth=3
	s_andn2_saveexec_b64 s[26:27], s[26:27]
; %bb.3636:                             ;   in Loop: Header=BB6_3331 Depth=3
	v_bfe_u32 v12, v10, 23, 1
; %bb.3637:                             ;   in Loop: Header=BB6_3331 Depth=3
	s_or_b64 exec, exec, s[26:27]
	v_lshrrev_b64 v[10:11], 20, v[10:11]
	v_cmp_gt_i32_e32 vcc, 16, v12
	v_cndmask_b32_e32 v11, 0, v11, vcc
	v_cndmask_b32_e32 v10, 7, v10, vcc
	v_cmp_ne_u64_e32 vcc, 0, v[10:11]
	v_cmp_ne_u32_e64 s[26:27], 0, v12
	s_or_b64 s[26:27], s[26:27], vcc
                                        ; implicit-def: $vgpr24
	s_and_saveexec_b64 vcc, s[26:27]
	s_xor_b64 s[26:27], exec, vcc
; %bb.3638:                             ;   in Loop: Header=BB6_3331 Depth=3
	v_min_i32_e32 v11, 15, v12
	v_lshl_or_b32 v11, v11, 3, v25
	v_and_or_b32 v24, v10, 7, v11
                                        ; implicit-def: $vgpr25
; %bb.3639:                             ;   in Loop: Header=BB6_3331 Depth=3
	s_andn2_saveexec_b64 s[26:27], s[26:27]
; %bb.3640:                             ;   in Loop: Header=BB6_3331 Depth=3
	v_mov_b32_e32 v24, v25
; %bb.3641:                             ;   in Loop: Header=BB6_3331 Depth=3
	s_or_b64 exec, exec, s[26:27]
.LBB6_3642:                             ;   in Loop: Header=BB6_3331 Depth=3
	s_or_b64 exec, exec, s[36:37]
                                        ; implicit-def: $vgpr25
.LBB6_3643:                             ;   in Loop: Header=BB6_3331 Depth=3
	s_andn2_saveexec_b64 s[26:27], s[34:35]
; %bb.3644:                             ;   in Loop: Header=BB6_3331 Depth=3
	v_or_b32_e32 v24, 0x7e, v25
; %bb.3645:                             ;   in Loop: Header=BB6_3331 Depth=3
	s_or_b64 exec, exec, s[26:27]
                                        ; implicit-def: $vgpr10
.LBB6_3646:                             ;   in Loop: Header=BB6_3331 Depth=3
	s_andn2_saveexec_b64 s[26:27], s[30:31]
; %bb.3647:                             ;   in Loop: Header=BB6_3331 Depth=3
	v_or_b32_sdwa v24, v10, s86 dst_sel:DWORD dst_unused:UNUSED_PAD src0_sel:BYTE_3 src1_sel:DWORD
; %bb.3648:                             ;   in Loop: Header=BB6_3331 Depth=3
	s_or_b64 exec, exec, s[26:27]
	flat_load_ubyte v11, v[8:9] offset:768 glc slc
	v_mov_b32_e32 v12, 0
	s_waitcnt vmcnt(0) lgkmcnt(0)
	v_cmp_ne_u16_e32 vcc, 0, v11
	s_and_saveexec_b64 s[26:27], vcc
	s_cbranch_execz .LBB6_3654
; %bb.3649:                             ;   in Loop: Header=BB6_3331 Depth=3
	v_cmp_ne_u16_e32 vcc, s96, v11
	v_bfrev_b32_e32 v12, 1
	s_and_saveexec_b64 s[30:31], vcc
	s_cbranch_execz .LBB6_3653
; %bb.3650:                             ;   in Loop: Header=BB6_3331 Depth=3
	v_and_b32_e32 v10, 0xffff, v11
	v_and_b32_e32 v25, 0x7f, v10
	v_cmp_ne_u32_e32 vcc, s86, v25
	v_mov_b32_e32 v12, 0x7f800001
	s_and_saveexec_b64 s[34:35], vcc
	s_cbranch_execz .LBB6_3652
; %bb.3651:                             ;   in Loop: Header=BB6_3331 Depth=3
	v_and_b32_e32 v12, 7, v10
	v_lshrrev_b32_e32 v27, 3, v25
	v_cmp_gt_u32_e32 vcc, 8, v25
	v_ffbh_u32_e32 v25, v12
	v_min_u32_e32 v28, 32, v25
	v_subrev_u32_e32 v25, 28, v28
	v_lshlrev_b64 v[25:26], v25, v[10:11]
	v_sub_u32_e32 v10, 29, v28
	v_and_b32_e32 v25, 7, v25
	v_cndmask_b32_e32 v10, v27, v10, vcc
	v_cndmask_b32_e32 v12, v12, v25, vcc
	v_lshlrev_b32_e32 v11, 24, v11
	v_bfrev_b32_e32 v25, 60
	v_lshlrev_b32_e32 v12, 20, v12
	v_and_b32_e32 v11, 0x80000000, v11
	v_lshl_add_u32 v10, v10, 23, v25
	v_or3_b32 v12, v11, v10, v12
.LBB6_3652:                             ;   in Loop: Header=BB6_3331 Depth=3
	s_or_b64 exec, exec, s[34:35]
.LBB6_3653:                             ;   in Loop: Header=BB6_3331 Depth=3
	s_or_b64 exec, exec, s[30:31]
.LBB6_3654:                             ;   in Loop: Header=BB6_3331 Depth=3
	s_or_b64 exec, exec, s[26:27]
	v_mul_f32_e32 v10, s45, v12
	v_and_b32_e32 v11, 0x7f800000, v10
	v_mov_b32_e32 v12, v51
	v_cmp_ne_u64_e32 vcc, s[76:77], v[11:12]
                                        ; implicit-def: $vgpr26
	s_and_saveexec_b64 s[26:27], vcc
	s_xor_b64 s[30:31], exec, s[26:27]
	s_cbranch_execz .LBB6_3672
; %bb.3655:                             ;   in Loop: Header=BB6_3331 Depth=3
	v_and_b32_e32 v11, 0x7fffffff, v10
	v_mov_b32_e32 v12, v51
	v_cmp_gt_u64_e32 vcc, s[78:79], v[11:12]
	v_and_b32_sdwa v25, v10, s96 dst_sel:DWORD dst_unused:UNUSED_PAD src0_sel:BYTE_3 src1_sel:DWORD
                                        ; implicit-def: $vgpr26
	s_and_saveexec_b64 s[26:27], vcc
	s_xor_b64 s[34:35], exec, s[26:27]
	s_cbranch_execz .LBB6_3669
; %bb.3656:                             ;   in Loop: Header=BB6_3331 Depth=3
	v_cmp_ne_u32_e32 vcc, 0, v10
	v_mov_b32_e32 v26, 0
	s_and_saveexec_b64 s[36:37], vcc
	s_cbranch_execz .LBB6_3668
; %bb.3657:                             ;   in Loop: Header=BB6_3331 Depth=3
	v_bfe_u32 v26, v10, 23, 8
	v_and_b32_e32 v11, 0x7fffff, v10
	v_cmp_gt_u32_e64 s[26:27], s97, v26
	v_sub_u32_e32 v10, 0x79, v26
	v_cmp_eq_u32_e32 vcc, 0, v26
	v_cndmask_b32_e64 v10, 0, v10, s[26:27]
	v_mov_b32_e32 v27, 0x78
	v_or_b32_e32 v12, 0x800000, v11
	v_cndmask_b32_e32 v27, v10, v27, vcc
	v_cndmask_b32_e32 v10, v12, v11, vcc
	v_add_u32_e32 v12, 20, v27
	v_lshlrev_b64 v[28:29], v12, -1
	v_mov_b32_e32 v11, v51
	v_add_u32_e32 v12, 19, v27
	v_bfi_b32 v28, v28, 0, v10
	v_lshlrev_b64 v[30:31], v12, 1
	v_lshrrev_b64 v[10:11], v27, v[10:11]
	v_bfi_b32 v29, v29, 0, 0
	v_cmp_eq_u64_e64 s[26:27], v[28:29], v[30:31]
	v_mov_b32_e32 v12, v11
	v_mov_b32_e32 v11, v10
	s_and_saveexec_b64 s[38:39], s[26:27]
; %bb.3658:                             ;   in Loop: Header=BB6_3331 Depth=3
	v_bfe_u32 v11, v10, 20, 1
	v_add_co_u32_e64 v11, s[26:27], v10, v11
	v_add_co_u32_e64 v11, s[26:27], -1, v11
; %bb.3659:                             ;   in Loop: Header=BB6_3331 Depth=3
	s_or_b64 exec, exec, s[38:39]
	v_add_u32_e32 v12, 0xffffff81, v26
	v_mov_b32_e32 v26, 0xffffff82
	v_cndmask_b32_e32 v12, v12, v26, vcc
	v_lshrrev_b32_e32 v26, 23, v10
	v_add3_u32 v27, v27, v12, v26
	v_add_u32_e32 v26, 6, v27
	v_and_b32_e32 v11, 0xfffff, v11
	v_add_u32_e32 v10, v11, v10
	v_mov_b32_e32 v11, v51
	v_cmp_ne_u32_e32 vcc, 0, v26
                                        ; implicit-def: $vgpr12
	s_and_saveexec_b64 s[26:27], vcc
	s_xor_b64 s[26:27], exec, s[26:27]
; %bb.3660:                             ;   in Loop: Header=BB6_3331 Depth=3
	v_cmp_lt_u64_e32 vcc, s[88:89], v[10:11]
	v_add_u32_e32 v12, 7, v27
	v_cndmask_b32_e32 v12, v26, v12, vcc
	v_cndmask_b32_e64 v26, 0, 1, vcc
	v_lshrrev_b64 v[10:11], v26, v[10:11]
; %bb.3661:                             ;   in Loop: Header=BB6_3331 Depth=3
	s_andn2_saveexec_b64 s[26:27], s[26:27]
; %bb.3662:                             ;   in Loop: Header=BB6_3331 Depth=3
	v_bfe_u32 v12, v10, 23, 1
; %bb.3663:                             ;   in Loop: Header=BB6_3331 Depth=3
	s_or_b64 exec, exec, s[26:27]
	v_lshrrev_b64 v[10:11], 20, v[10:11]
	v_cmp_gt_i32_e32 vcc, 16, v12
	v_cndmask_b32_e32 v11, 0, v11, vcc
	v_cndmask_b32_e32 v10, 7, v10, vcc
	v_cmp_ne_u64_e32 vcc, 0, v[10:11]
	v_cmp_ne_u32_e64 s[26:27], 0, v12
	s_or_b64 s[26:27], s[26:27], vcc
                                        ; implicit-def: $vgpr26
	s_and_saveexec_b64 vcc, s[26:27]
	s_xor_b64 s[26:27], exec, vcc
; %bb.3664:                             ;   in Loop: Header=BB6_3331 Depth=3
	v_min_i32_e32 v11, 15, v12
	v_lshl_or_b32 v11, v11, 3, v25
	v_and_or_b32 v26, v10, 7, v11
                                        ; implicit-def: $vgpr25
; %bb.3665:                             ;   in Loop: Header=BB6_3331 Depth=3
	s_andn2_saveexec_b64 s[26:27], s[26:27]
; %bb.3666:                             ;   in Loop: Header=BB6_3331 Depth=3
	v_mov_b32_e32 v26, v25
; %bb.3667:                             ;   in Loop: Header=BB6_3331 Depth=3
	s_or_b64 exec, exec, s[26:27]
.LBB6_3668:                             ;   in Loop: Header=BB6_3331 Depth=3
	s_or_b64 exec, exec, s[36:37]
                                        ; implicit-def: $vgpr25
.LBB6_3669:                             ;   in Loop: Header=BB6_3331 Depth=3
	s_andn2_saveexec_b64 s[26:27], s[34:35]
; %bb.3670:                             ;   in Loop: Header=BB6_3331 Depth=3
	v_or_b32_e32 v26, 0x7e, v25
; %bb.3671:                             ;   in Loop: Header=BB6_3331 Depth=3
	s_or_b64 exec, exec, s[26:27]
                                        ; implicit-def: $vgpr10
.LBB6_3672:                             ;   in Loop: Header=BB6_3331 Depth=3
	s_andn2_saveexec_b64 s[26:27], s[30:31]
; %bb.3673:                             ;   in Loop: Header=BB6_3331 Depth=3
	v_or_b32_sdwa v26, v10, s86 dst_sel:DWORD dst_unused:UNUSED_PAD src0_sel:BYTE_3 src1_sel:DWORD
; %bb.3674:                             ;   in Loop: Header=BB6_3331 Depth=3
	s_or_b64 exec, exec, s[26:27]
	flat_load_ubyte v11, v[8:9] offset:832 glc slc
	v_mov_b32_e32 v12, 0
	s_waitcnt vmcnt(0) lgkmcnt(0)
	v_cmp_ne_u16_e32 vcc, 0, v11
	s_and_saveexec_b64 s[26:27], vcc
	s_cbranch_execz .LBB6_3680
; %bb.3675:                             ;   in Loop: Header=BB6_3331 Depth=3
	v_cmp_ne_u16_e32 vcc, s96, v11
	v_bfrev_b32_e32 v12, 1
	s_and_saveexec_b64 s[30:31], vcc
	s_cbranch_execz .LBB6_3679
; %bb.3676:                             ;   in Loop: Header=BB6_3331 Depth=3
	v_and_b32_e32 v10, 0xffff, v11
	v_and_b32_e32 v25, 0x7f, v10
	v_cmp_ne_u32_e32 vcc, s86, v25
	v_mov_b32_e32 v12, 0x7f800001
	s_and_saveexec_b64 s[34:35], vcc
	s_cbranch_execz .LBB6_3678
; %bb.3677:                             ;   in Loop: Header=BB6_3331 Depth=3
	v_and_b32_e32 v12, 7, v10
	v_lshrrev_b32_e32 v29, 3, v25
	v_cmp_gt_u32_e32 vcc, 8, v25
	v_ffbh_u32_e32 v25, v12
	v_min_u32_e32 v25, 32, v25
	v_subrev_u32_e32 v27, 28, v25
	v_lshlrev_b64 v[27:28], v27, v[10:11]
	v_sub_u32_e32 v10, 29, v25
	v_and_b32_e32 v25, 7, v27
	v_cndmask_b32_e32 v10, v29, v10, vcc
	v_cndmask_b32_e32 v12, v12, v25, vcc
	v_lshlrev_b32_e32 v11, 24, v11
	v_bfrev_b32_e32 v25, 60
	v_lshlrev_b32_e32 v12, 20, v12
	v_and_b32_e32 v11, 0x80000000, v11
	v_lshl_add_u32 v10, v10, 23, v25
	v_or3_b32 v12, v11, v10, v12
.LBB6_3678:                             ;   in Loop: Header=BB6_3331 Depth=3
	s_or_b64 exec, exec, s[34:35]
.LBB6_3679:                             ;   in Loop: Header=BB6_3331 Depth=3
	s_or_b64 exec, exec, s[30:31]
.LBB6_3680:                             ;   in Loop: Header=BB6_3331 Depth=3
	s_or_b64 exec, exec, s[26:27]
	v_mul_f32_e32 v10, s45, v12
	v_and_b32_e32 v11, 0x7f800000, v10
	v_mov_b32_e32 v12, v51
	v_cmp_ne_u64_e32 vcc, s[76:77], v[11:12]
                                        ; implicit-def: $vgpr27
	s_and_saveexec_b64 s[26:27], vcc
	s_xor_b64 s[30:31], exec, s[26:27]
	s_cbranch_execz .LBB6_3698
; %bb.3681:                             ;   in Loop: Header=BB6_3331 Depth=3
	v_and_b32_e32 v11, 0x7fffffff, v10
	v_mov_b32_e32 v12, v51
	v_cmp_gt_u64_e32 vcc, s[78:79], v[11:12]
	v_and_b32_sdwa v25, v10, s96 dst_sel:DWORD dst_unused:UNUSED_PAD src0_sel:BYTE_3 src1_sel:DWORD
                                        ; implicit-def: $vgpr27
	s_and_saveexec_b64 s[26:27], vcc
	s_xor_b64 s[34:35], exec, s[26:27]
	s_cbranch_execz .LBB6_3695
; %bb.3682:                             ;   in Loop: Header=BB6_3331 Depth=3
	v_cmp_ne_u32_e32 vcc, 0, v10
	v_mov_b32_e32 v27, 0
	s_and_saveexec_b64 s[36:37], vcc
	s_cbranch_execz .LBB6_3694
; %bb.3683:                             ;   in Loop: Header=BB6_3331 Depth=3
	v_bfe_u32 v27, v10, 23, 8
	v_and_b32_e32 v11, 0x7fffff, v10
	v_cmp_gt_u32_e64 s[26:27], s97, v27
	v_sub_u32_e32 v10, 0x79, v27
	v_cmp_eq_u32_e32 vcc, 0, v27
	v_cndmask_b32_e64 v10, 0, v10, s[26:27]
	v_mov_b32_e32 v28, 0x78
	v_or_b32_e32 v12, 0x800000, v11
	v_cndmask_b32_e32 v28, v10, v28, vcc
	v_cndmask_b32_e32 v10, v12, v11, vcc
	v_add_u32_e32 v12, 20, v28
	v_lshlrev_b64 v[29:30], v12, -1
	v_mov_b32_e32 v11, v51
	v_add_u32_e32 v12, 19, v28
	v_bfi_b32 v29, v29, 0, v10
	v_lshlrev_b64 v[31:32], v12, 1
	v_lshrrev_b64 v[10:11], v28, v[10:11]
	v_bfi_b32 v30, v30, 0, 0
	v_cmp_eq_u64_e64 s[26:27], v[29:30], v[31:32]
	v_mov_b32_e32 v12, v11
	v_mov_b32_e32 v11, v10
	s_and_saveexec_b64 s[38:39], s[26:27]
; %bb.3684:                             ;   in Loop: Header=BB6_3331 Depth=3
	v_bfe_u32 v11, v10, 20, 1
	v_add_co_u32_e64 v11, s[26:27], v10, v11
	v_add_co_u32_e64 v11, s[26:27], -1, v11
; %bb.3685:                             ;   in Loop: Header=BB6_3331 Depth=3
	s_or_b64 exec, exec, s[38:39]
	v_add_u32_e32 v12, 0xffffff81, v27
	v_mov_b32_e32 v27, 0xffffff82
	v_cndmask_b32_e32 v12, v12, v27, vcc
	v_lshrrev_b32_e32 v27, 23, v10
	v_add3_u32 v28, v28, v12, v27
	v_add_u32_e32 v27, 6, v28
	v_and_b32_e32 v11, 0xfffff, v11
	v_add_u32_e32 v10, v11, v10
	v_mov_b32_e32 v11, v51
	v_cmp_ne_u32_e32 vcc, 0, v27
                                        ; implicit-def: $vgpr12
	s_and_saveexec_b64 s[26:27], vcc
	s_xor_b64 s[26:27], exec, s[26:27]
; %bb.3686:                             ;   in Loop: Header=BB6_3331 Depth=3
	v_cmp_lt_u64_e32 vcc, s[88:89], v[10:11]
	v_add_u32_e32 v12, 7, v28
	v_cndmask_b32_e32 v12, v27, v12, vcc
	v_cndmask_b32_e64 v27, 0, 1, vcc
	v_lshrrev_b64 v[10:11], v27, v[10:11]
; %bb.3687:                             ;   in Loop: Header=BB6_3331 Depth=3
	s_andn2_saveexec_b64 s[26:27], s[26:27]
; %bb.3688:                             ;   in Loop: Header=BB6_3331 Depth=3
	v_bfe_u32 v12, v10, 23, 1
; %bb.3689:                             ;   in Loop: Header=BB6_3331 Depth=3
	s_or_b64 exec, exec, s[26:27]
	v_lshrrev_b64 v[10:11], 20, v[10:11]
	v_cmp_gt_i32_e32 vcc, 16, v12
	v_cndmask_b32_e32 v11, 0, v11, vcc
	v_cndmask_b32_e32 v10, 7, v10, vcc
	v_cmp_ne_u64_e32 vcc, 0, v[10:11]
	v_cmp_ne_u32_e64 s[26:27], 0, v12
	s_or_b64 s[26:27], s[26:27], vcc
                                        ; implicit-def: $vgpr27
	s_and_saveexec_b64 vcc, s[26:27]
	s_xor_b64 s[26:27], exec, vcc
; %bb.3690:                             ;   in Loop: Header=BB6_3331 Depth=3
	v_min_i32_e32 v11, 15, v12
	v_lshl_or_b32 v11, v11, 3, v25
	v_and_or_b32 v27, v10, 7, v11
                                        ; implicit-def: $vgpr25
; %bb.3691:                             ;   in Loop: Header=BB6_3331 Depth=3
	s_andn2_saveexec_b64 s[26:27], s[26:27]
; %bb.3692:                             ;   in Loop: Header=BB6_3331 Depth=3
	v_mov_b32_e32 v27, v25
; %bb.3693:                             ;   in Loop: Header=BB6_3331 Depth=3
	s_or_b64 exec, exec, s[26:27]
.LBB6_3694:                             ;   in Loop: Header=BB6_3331 Depth=3
	s_or_b64 exec, exec, s[36:37]
                                        ; implicit-def: $vgpr25
.LBB6_3695:                             ;   in Loop: Header=BB6_3331 Depth=3
	s_andn2_saveexec_b64 s[26:27], s[34:35]
; %bb.3696:                             ;   in Loop: Header=BB6_3331 Depth=3
	v_or_b32_e32 v27, 0x7e, v25
; %bb.3697:                             ;   in Loop: Header=BB6_3331 Depth=3
	s_or_b64 exec, exec, s[26:27]
                                        ; implicit-def: $vgpr10
.LBB6_3698:                             ;   in Loop: Header=BB6_3331 Depth=3
	s_andn2_saveexec_b64 s[26:27], s[30:31]
; %bb.3699:                             ;   in Loop: Header=BB6_3331 Depth=3
	v_or_b32_sdwa v27, v10, s86 dst_sel:DWORD dst_unused:UNUSED_PAD src0_sel:BYTE_3 src1_sel:DWORD
; %bb.3700:                             ;   in Loop: Header=BB6_3331 Depth=3
	s_or_b64 exec, exec, s[26:27]
	flat_load_ubyte v11, v[8:9] offset:896 glc slc
	v_mov_b32_e32 v12, 0
	s_waitcnt vmcnt(0) lgkmcnt(0)
	v_cmp_ne_u16_e32 vcc, 0, v11
	s_and_saveexec_b64 s[26:27], vcc
	s_cbranch_execz .LBB6_3706
; %bb.3701:                             ;   in Loop: Header=BB6_3331 Depth=3
	v_cmp_ne_u16_e32 vcc, s96, v11
	v_bfrev_b32_e32 v12, 1
	s_and_saveexec_b64 s[30:31], vcc
	s_cbranch_execz .LBB6_3705
; %bb.3702:                             ;   in Loop: Header=BB6_3331 Depth=3
	v_and_b32_e32 v10, 0xffff, v11
	v_and_b32_e32 v25, 0x7f, v10
	v_cmp_ne_u32_e32 vcc, s86, v25
	v_mov_b32_e32 v12, 0x7f800001
	s_and_saveexec_b64 s[34:35], vcc
	s_cbranch_execz .LBB6_3704
; %bb.3703:                             ;   in Loop: Header=BB6_3331 Depth=3
	v_and_b32_e32 v12, 7, v10
	v_lshrrev_b32_e32 v30, 3, v25
	v_cmp_gt_u32_e32 vcc, 8, v25
	v_ffbh_u32_e32 v25, v12
	v_min_u32_e32 v25, 32, v25
	v_subrev_u32_e32 v28, 28, v25
	v_lshlrev_b64 v[28:29], v28, v[10:11]
	v_sub_u32_e32 v10, 29, v25
	v_and_b32_e32 v25, 7, v28
	v_cndmask_b32_e32 v10, v30, v10, vcc
	v_cndmask_b32_e32 v12, v12, v25, vcc
	v_lshlrev_b32_e32 v11, 24, v11
	v_bfrev_b32_e32 v25, 60
	v_lshlrev_b32_e32 v12, 20, v12
	v_and_b32_e32 v11, 0x80000000, v11
	v_lshl_add_u32 v10, v10, 23, v25
	v_or3_b32 v12, v11, v10, v12
.LBB6_3704:                             ;   in Loop: Header=BB6_3331 Depth=3
	s_or_b64 exec, exec, s[34:35]
.LBB6_3705:                             ;   in Loop: Header=BB6_3331 Depth=3
	s_or_b64 exec, exec, s[30:31]
.LBB6_3706:                             ;   in Loop: Header=BB6_3331 Depth=3
	s_or_b64 exec, exec, s[26:27]
	v_mul_f32_e32 v10, s45, v12
	v_and_b32_e32 v11, 0x7f800000, v10
	v_mov_b32_e32 v12, v51
	v_cmp_ne_u64_e32 vcc, s[76:77], v[11:12]
                                        ; implicit-def: $vgpr28
	s_and_saveexec_b64 s[26:27], vcc
	s_xor_b64 s[30:31], exec, s[26:27]
	s_cbranch_execz .LBB6_3724
; %bb.3707:                             ;   in Loop: Header=BB6_3331 Depth=3
	v_and_b32_e32 v11, 0x7fffffff, v10
	v_mov_b32_e32 v12, v51
	v_cmp_gt_u64_e32 vcc, s[78:79], v[11:12]
	v_and_b32_sdwa v25, v10, s96 dst_sel:DWORD dst_unused:UNUSED_PAD src0_sel:BYTE_3 src1_sel:DWORD
                                        ; implicit-def: $vgpr28
	s_and_saveexec_b64 s[26:27], vcc
	s_xor_b64 s[34:35], exec, s[26:27]
	s_cbranch_execz .LBB6_3721
; %bb.3708:                             ;   in Loop: Header=BB6_3331 Depth=3
	v_cmp_ne_u32_e32 vcc, 0, v10
	v_mov_b32_e32 v28, 0
	s_and_saveexec_b64 s[36:37], vcc
	s_cbranch_execz .LBB6_3720
; %bb.3709:                             ;   in Loop: Header=BB6_3331 Depth=3
	v_bfe_u32 v28, v10, 23, 8
	v_and_b32_e32 v11, 0x7fffff, v10
	v_cmp_gt_u32_e64 s[26:27], s97, v28
	v_sub_u32_e32 v10, 0x79, v28
	v_cmp_eq_u32_e32 vcc, 0, v28
	v_cndmask_b32_e64 v10, 0, v10, s[26:27]
	v_mov_b32_e32 v29, 0x78
	v_or_b32_e32 v12, 0x800000, v11
	v_cndmask_b32_e32 v29, v10, v29, vcc
	v_cndmask_b32_e32 v10, v12, v11, vcc
	v_add_u32_e32 v12, 20, v29
	v_lshlrev_b64 v[30:31], v12, -1
	v_mov_b32_e32 v11, v51
	v_add_u32_e32 v12, 19, v29
	v_bfi_b32 v30, v30, 0, v10
	v_lshlrev_b64 v[32:33], v12, 1
	v_lshrrev_b64 v[10:11], v29, v[10:11]
	v_bfi_b32 v31, v31, 0, 0
	v_cmp_eq_u64_e64 s[26:27], v[30:31], v[32:33]
	v_mov_b32_e32 v12, v11
	v_mov_b32_e32 v11, v10
	s_and_saveexec_b64 s[38:39], s[26:27]
; %bb.3710:                             ;   in Loop: Header=BB6_3331 Depth=3
	v_bfe_u32 v11, v10, 20, 1
	v_add_co_u32_e64 v11, s[26:27], v10, v11
	v_add_co_u32_e64 v11, s[26:27], -1, v11
; %bb.3711:                             ;   in Loop: Header=BB6_3331 Depth=3
	s_or_b64 exec, exec, s[38:39]
	v_add_u32_e32 v12, 0xffffff81, v28
	v_mov_b32_e32 v28, 0xffffff82
	v_cndmask_b32_e32 v12, v12, v28, vcc
	v_lshrrev_b32_e32 v28, 23, v10
	v_add3_u32 v29, v29, v12, v28
	v_add_u32_e32 v28, 6, v29
	v_and_b32_e32 v11, 0xfffff, v11
	v_add_u32_e32 v10, v11, v10
	v_mov_b32_e32 v11, v51
	v_cmp_ne_u32_e32 vcc, 0, v28
                                        ; implicit-def: $vgpr12
	s_and_saveexec_b64 s[26:27], vcc
	s_xor_b64 s[26:27], exec, s[26:27]
; %bb.3712:                             ;   in Loop: Header=BB6_3331 Depth=3
	v_cmp_lt_u64_e32 vcc, s[88:89], v[10:11]
	v_add_u32_e32 v12, 7, v29
	v_cndmask_b32_e32 v12, v28, v12, vcc
	v_cndmask_b32_e64 v28, 0, 1, vcc
	v_lshrrev_b64 v[10:11], v28, v[10:11]
; %bb.3713:                             ;   in Loop: Header=BB6_3331 Depth=3
	s_andn2_saveexec_b64 s[26:27], s[26:27]
; %bb.3714:                             ;   in Loop: Header=BB6_3331 Depth=3
	v_bfe_u32 v12, v10, 23, 1
; %bb.3715:                             ;   in Loop: Header=BB6_3331 Depth=3
	s_or_b64 exec, exec, s[26:27]
	v_lshrrev_b64 v[10:11], 20, v[10:11]
	v_cmp_gt_i32_e32 vcc, 16, v12
	v_cndmask_b32_e32 v11, 0, v11, vcc
	v_cndmask_b32_e32 v10, 7, v10, vcc
	v_cmp_ne_u64_e32 vcc, 0, v[10:11]
	v_cmp_ne_u32_e64 s[26:27], 0, v12
	s_or_b64 s[26:27], s[26:27], vcc
                                        ; implicit-def: $vgpr28
	s_and_saveexec_b64 vcc, s[26:27]
	s_xor_b64 s[26:27], exec, vcc
; %bb.3716:                             ;   in Loop: Header=BB6_3331 Depth=3
	v_min_i32_e32 v11, 15, v12
	v_lshl_or_b32 v11, v11, 3, v25
	v_and_or_b32 v28, v10, 7, v11
                                        ; implicit-def: $vgpr25
; %bb.3717:                             ;   in Loop: Header=BB6_3331 Depth=3
	s_andn2_saveexec_b64 s[26:27], s[26:27]
; %bb.3718:                             ;   in Loop: Header=BB6_3331 Depth=3
	v_mov_b32_e32 v28, v25
; %bb.3719:                             ;   in Loop: Header=BB6_3331 Depth=3
	s_or_b64 exec, exec, s[26:27]
.LBB6_3720:                             ;   in Loop: Header=BB6_3331 Depth=3
	s_or_b64 exec, exec, s[36:37]
                                        ; implicit-def: $vgpr25
.LBB6_3721:                             ;   in Loop: Header=BB6_3331 Depth=3
	s_andn2_saveexec_b64 s[26:27], s[34:35]
; %bb.3722:                             ;   in Loop: Header=BB6_3331 Depth=3
	v_or_b32_e32 v28, 0x7e, v25
; %bb.3723:                             ;   in Loop: Header=BB6_3331 Depth=3
	s_or_b64 exec, exec, s[26:27]
                                        ; implicit-def: $vgpr10
.LBB6_3724:                             ;   in Loop: Header=BB6_3331 Depth=3
	s_andn2_saveexec_b64 s[26:27], s[30:31]
; %bb.3725:                             ;   in Loop: Header=BB6_3331 Depth=3
	v_or_b32_sdwa v28, v10, s86 dst_sel:DWORD dst_unused:UNUSED_PAD src0_sel:BYTE_3 src1_sel:DWORD
; %bb.3726:                             ;   in Loop: Header=BB6_3331 Depth=3
	s_or_b64 exec, exec, s[26:27]
	flat_load_ubyte v11, v[8:9] offset:960 glc slc
	v_mov_b32_e32 v12, 0
	s_waitcnt vmcnt(0) lgkmcnt(0)
	v_cmp_ne_u16_e32 vcc, 0, v11
	s_and_saveexec_b64 s[26:27], vcc
	s_cbranch_execz .LBB6_3732
; %bb.3727:                             ;   in Loop: Header=BB6_3331 Depth=3
	v_cmp_ne_u16_e32 vcc, s96, v11
	v_bfrev_b32_e32 v12, 1
	s_and_saveexec_b64 s[30:31], vcc
	s_cbranch_execz .LBB6_3731
; %bb.3728:                             ;   in Loop: Header=BB6_3331 Depth=3
	v_and_b32_e32 v10, 0xffff, v11
	v_and_b32_e32 v25, 0x7f, v10
	v_cmp_ne_u32_e32 vcc, s86, v25
	v_mov_b32_e32 v12, 0x7f800001
	s_and_saveexec_b64 s[34:35], vcc
	s_cbranch_execz .LBB6_3730
; %bb.3729:                             ;   in Loop: Header=BB6_3331 Depth=3
	v_and_b32_e32 v12, 7, v10
	v_lshrrev_b32_e32 v31, 3, v25
	v_cmp_gt_u32_e32 vcc, 8, v25
	v_ffbh_u32_e32 v25, v12
	v_min_u32_e32 v25, 32, v25
	v_subrev_u32_e32 v29, 28, v25
	v_lshlrev_b64 v[29:30], v29, v[10:11]
	v_sub_u32_e32 v10, 29, v25
	v_and_b32_e32 v25, 7, v29
	v_cndmask_b32_e32 v10, v31, v10, vcc
	v_cndmask_b32_e32 v12, v12, v25, vcc
	v_lshlrev_b32_e32 v11, 24, v11
	v_bfrev_b32_e32 v25, 60
	v_lshlrev_b32_e32 v12, 20, v12
	v_and_b32_e32 v11, 0x80000000, v11
	v_lshl_add_u32 v10, v10, 23, v25
	v_or3_b32 v12, v11, v10, v12
.LBB6_3730:                             ;   in Loop: Header=BB6_3331 Depth=3
	s_or_b64 exec, exec, s[34:35]
.LBB6_3731:                             ;   in Loop: Header=BB6_3331 Depth=3
	s_or_b64 exec, exec, s[30:31]
.LBB6_3732:                             ;   in Loop: Header=BB6_3331 Depth=3
	s_or_b64 exec, exec, s[26:27]
	v_mul_f32_e32 v10, s45, v12
	v_and_b32_e32 v11, 0x7f800000, v10
	v_mov_b32_e32 v12, v51
	v_cmp_ne_u64_e32 vcc, s[76:77], v[11:12]
                                        ; implicit-def: $vgpr29
	s_and_saveexec_b64 s[26:27], vcc
	s_xor_b64 s[30:31], exec, s[26:27]
	s_cbranch_execz .LBB6_3750
; %bb.3733:                             ;   in Loop: Header=BB6_3331 Depth=3
	v_and_b32_e32 v11, 0x7fffffff, v10
	v_mov_b32_e32 v12, v51
	v_cmp_gt_u64_e32 vcc, s[78:79], v[11:12]
	v_and_b32_sdwa v25, v10, s96 dst_sel:DWORD dst_unused:UNUSED_PAD src0_sel:BYTE_3 src1_sel:DWORD
                                        ; implicit-def: $vgpr29
	s_and_saveexec_b64 s[26:27], vcc
	s_xor_b64 s[34:35], exec, s[26:27]
	s_cbranch_execz .LBB6_3747
; %bb.3734:                             ;   in Loop: Header=BB6_3331 Depth=3
	v_cmp_ne_u32_e32 vcc, 0, v10
	v_mov_b32_e32 v29, 0
	s_and_saveexec_b64 s[36:37], vcc
	s_cbranch_execz .LBB6_3746
; %bb.3735:                             ;   in Loop: Header=BB6_3331 Depth=3
	v_bfe_u32 v29, v10, 23, 8
	v_and_b32_e32 v11, 0x7fffff, v10
	v_cmp_gt_u32_e64 s[26:27], s97, v29
	v_sub_u32_e32 v10, 0x79, v29
	v_cmp_eq_u32_e32 vcc, 0, v29
	v_cndmask_b32_e64 v10, 0, v10, s[26:27]
	v_mov_b32_e32 v30, 0x78
	v_or_b32_e32 v12, 0x800000, v11
	v_cndmask_b32_e32 v30, v10, v30, vcc
	v_cndmask_b32_e32 v10, v12, v11, vcc
	v_add_u32_e32 v12, 20, v30
	v_lshlrev_b64 v[31:32], v12, -1
	v_mov_b32_e32 v11, v51
	v_add_u32_e32 v12, 19, v30
	v_bfi_b32 v31, v31, 0, v10
	v_lshlrev_b64 v[33:34], v12, 1
	v_lshrrev_b64 v[10:11], v30, v[10:11]
	v_bfi_b32 v32, v32, 0, 0
	v_cmp_eq_u64_e64 s[26:27], v[31:32], v[33:34]
	v_mov_b32_e32 v12, v11
	v_mov_b32_e32 v11, v10
	s_and_saveexec_b64 s[38:39], s[26:27]
; %bb.3736:                             ;   in Loop: Header=BB6_3331 Depth=3
	v_bfe_u32 v11, v10, 20, 1
	v_add_co_u32_e64 v11, s[26:27], v10, v11
	v_add_co_u32_e64 v11, s[26:27], -1, v11
; %bb.3737:                             ;   in Loop: Header=BB6_3331 Depth=3
	s_or_b64 exec, exec, s[38:39]
	v_add_u32_e32 v12, 0xffffff81, v29
	v_mov_b32_e32 v29, 0xffffff82
	v_cndmask_b32_e32 v12, v12, v29, vcc
	v_lshrrev_b32_e32 v29, 23, v10
	v_add3_u32 v30, v30, v12, v29
	v_add_u32_e32 v29, 6, v30
	v_and_b32_e32 v11, 0xfffff, v11
	v_add_u32_e32 v10, v11, v10
	v_mov_b32_e32 v11, v51
	v_cmp_ne_u32_e32 vcc, 0, v29
                                        ; implicit-def: $vgpr12
	s_and_saveexec_b64 s[26:27], vcc
	s_xor_b64 s[26:27], exec, s[26:27]
; %bb.3738:                             ;   in Loop: Header=BB6_3331 Depth=3
	v_cmp_lt_u64_e32 vcc, s[88:89], v[10:11]
	v_add_u32_e32 v12, 7, v30
	v_cndmask_b32_e32 v12, v29, v12, vcc
	v_cndmask_b32_e64 v29, 0, 1, vcc
	v_lshrrev_b64 v[10:11], v29, v[10:11]
; %bb.3739:                             ;   in Loop: Header=BB6_3331 Depth=3
	s_andn2_saveexec_b64 s[26:27], s[26:27]
; %bb.3740:                             ;   in Loop: Header=BB6_3331 Depth=3
	v_bfe_u32 v12, v10, 23, 1
; %bb.3741:                             ;   in Loop: Header=BB6_3331 Depth=3
	s_or_b64 exec, exec, s[26:27]
	v_lshrrev_b64 v[10:11], 20, v[10:11]
	v_cmp_gt_i32_e32 vcc, 16, v12
	v_cndmask_b32_e32 v11, 0, v11, vcc
	v_cndmask_b32_e32 v10, 7, v10, vcc
	v_cmp_ne_u64_e32 vcc, 0, v[10:11]
	v_cmp_ne_u32_e64 s[26:27], 0, v12
	s_or_b64 s[26:27], s[26:27], vcc
                                        ; implicit-def: $vgpr29
	s_and_saveexec_b64 vcc, s[26:27]
	s_xor_b64 s[26:27], exec, vcc
; %bb.3742:                             ;   in Loop: Header=BB6_3331 Depth=3
	v_min_i32_e32 v11, 15, v12
	v_lshl_or_b32 v11, v11, 3, v25
	v_and_or_b32 v29, v10, 7, v11
                                        ; implicit-def: $vgpr25
; %bb.3743:                             ;   in Loop: Header=BB6_3331 Depth=3
	s_andn2_saveexec_b64 s[26:27], s[26:27]
; %bb.3744:                             ;   in Loop: Header=BB6_3331 Depth=3
	v_mov_b32_e32 v29, v25
; %bb.3745:                             ;   in Loop: Header=BB6_3331 Depth=3
	s_or_b64 exec, exec, s[26:27]
.LBB6_3746:                             ;   in Loop: Header=BB6_3331 Depth=3
	s_or_b64 exec, exec, s[36:37]
                                        ; implicit-def: $vgpr25
.LBB6_3747:                             ;   in Loop: Header=BB6_3331 Depth=3
	s_andn2_saveexec_b64 s[26:27], s[34:35]
; %bb.3748:                             ;   in Loop: Header=BB6_3331 Depth=3
	v_or_b32_e32 v29, 0x7e, v25
; %bb.3749:                             ;   in Loop: Header=BB6_3331 Depth=3
	s_or_b64 exec, exec, s[26:27]
                                        ; implicit-def: $vgpr10
.LBB6_3750:                             ;   in Loop: Header=BB6_3331 Depth=3
	s_andn2_saveexec_b64 s[26:27], s[30:31]
; %bb.3751:                             ;   in Loop: Header=BB6_3331 Depth=3
	v_or_b32_sdwa v29, v10, s86 dst_sel:DWORD dst_unused:UNUSED_PAD src0_sel:BYTE_3 src1_sel:DWORD
; %bb.3752:                             ;   in Loop: Header=BB6_3331 Depth=3
	s_or_b64 exec, exec, s[26:27]
	flat_load_ubyte v11, v[8:9] offset:1024 glc slc
	v_mov_b32_e32 v12, 0
	s_waitcnt vmcnt(0) lgkmcnt(0)
	v_cmp_ne_u16_e32 vcc, 0, v11
	s_and_saveexec_b64 s[26:27], vcc
	s_cbranch_execz .LBB6_3758
; %bb.3753:                             ;   in Loop: Header=BB6_3331 Depth=3
	v_cmp_ne_u16_e32 vcc, s96, v11
	v_bfrev_b32_e32 v12, 1
	s_and_saveexec_b64 s[30:31], vcc
	s_cbranch_execz .LBB6_3757
; %bb.3754:                             ;   in Loop: Header=BB6_3331 Depth=3
	v_and_b32_e32 v10, 0xffff, v11
	v_and_b32_e32 v25, 0x7f, v10
	v_cmp_ne_u32_e32 vcc, s86, v25
	v_mov_b32_e32 v12, 0x7f800001
	s_and_saveexec_b64 s[34:35], vcc
	s_cbranch_execz .LBB6_3756
; %bb.3755:                             ;   in Loop: Header=BB6_3331 Depth=3
	v_and_b32_e32 v12, 7, v10
	v_lshrrev_b32_e32 v32, 3, v25
	v_cmp_gt_u32_e32 vcc, 8, v25
	v_ffbh_u32_e32 v25, v12
	v_min_u32_e32 v25, 32, v25
	v_subrev_u32_e32 v30, 28, v25
	v_lshlrev_b64 v[30:31], v30, v[10:11]
	v_sub_u32_e32 v10, 29, v25
	v_and_b32_e32 v25, 7, v30
	v_cndmask_b32_e32 v10, v32, v10, vcc
	v_cndmask_b32_e32 v12, v12, v25, vcc
	v_lshlrev_b32_e32 v11, 24, v11
	v_bfrev_b32_e32 v25, 60
	v_lshlrev_b32_e32 v12, 20, v12
	v_and_b32_e32 v11, 0x80000000, v11
	v_lshl_add_u32 v10, v10, 23, v25
	v_or3_b32 v12, v11, v10, v12
.LBB6_3756:                             ;   in Loop: Header=BB6_3331 Depth=3
	s_or_b64 exec, exec, s[34:35]
.LBB6_3757:                             ;   in Loop: Header=BB6_3331 Depth=3
	s_or_b64 exec, exec, s[30:31]
.LBB6_3758:                             ;   in Loop: Header=BB6_3331 Depth=3
	s_or_b64 exec, exec, s[26:27]
	v_mul_f32_e32 v10, s45, v12
	v_and_b32_e32 v11, 0x7f800000, v10
	v_mov_b32_e32 v12, v51
	v_cmp_ne_u64_e32 vcc, s[76:77], v[11:12]
                                        ; implicit-def: $vgpr30
	s_and_saveexec_b64 s[26:27], vcc
	s_xor_b64 s[30:31], exec, s[26:27]
	s_cbranch_execz .LBB6_3776
; %bb.3759:                             ;   in Loop: Header=BB6_3331 Depth=3
	v_and_b32_e32 v11, 0x7fffffff, v10
	v_mov_b32_e32 v12, v51
	v_cmp_gt_u64_e32 vcc, s[78:79], v[11:12]
	v_and_b32_sdwa v25, v10, s96 dst_sel:DWORD dst_unused:UNUSED_PAD src0_sel:BYTE_3 src1_sel:DWORD
                                        ; implicit-def: $vgpr30
	s_and_saveexec_b64 s[26:27], vcc
	s_xor_b64 s[34:35], exec, s[26:27]
	s_cbranch_execz .LBB6_3773
; %bb.3760:                             ;   in Loop: Header=BB6_3331 Depth=3
	v_cmp_ne_u32_e32 vcc, 0, v10
	v_mov_b32_e32 v30, 0
	s_and_saveexec_b64 s[36:37], vcc
	s_cbranch_execz .LBB6_3772
; %bb.3761:                             ;   in Loop: Header=BB6_3331 Depth=3
	v_bfe_u32 v30, v10, 23, 8
	v_and_b32_e32 v11, 0x7fffff, v10
	v_cmp_gt_u32_e64 s[26:27], s97, v30
	v_sub_u32_e32 v10, 0x79, v30
	v_cmp_eq_u32_e32 vcc, 0, v30
	v_cndmask_b32_e64 v10, 0, v10, s[26:27]
	v_mov_b32_e32 v31, 0x78
	v_or_b32_e32 v12, 0x800000, v11
	v_cndmask_b32_e32 v31, v10, v31, vcc
	v_cndmask_b32_e32 v10, v12, v11, vcc
	v_add_u32_e32 v12, 20, v31
	v_lshlrev_b64 v[32:33], v12, -1
	v_mov_b32_e32 v11, v51
	v_add_u32_e32 v12, 19, v31
	v_bfi_b32 v32, v32, 0, v10
	v_lshlrev_b64 v[34:35], v12, 1
	v_lshrrev_b64 v[10:11], v31, v[10:11]
	v_bfi_b32 v33, v33, 0, 0
	v_cmp_eq_u64_e64 s[26:27], v[32:33], v[34:35]
	v_mov_b32_e32 v12, v11
	v_mov_b32_e32 v11, v10
	s_and_saveexec_b64 s[38:39], s[26:27]
; %bb.3762:                             ;   in Loop: Header=BB6_3331 Depth=3
	v_bfe_u32 v11, v10, 20, 1
	v_add_co_u32_e64 v11, s[26:27], v10, v11
	v_add_co_u32_e64 v11, s[26:27], -1, v11
; %bb.3763:                             ;   in Loop: Header=BB6_3331 Depth=3
	s_or_b64 exec, exec, s[38:39]
	v_add_u32_e32 v12, 0xffffff81, v30
	v_mov_b32_e32 v30, 0xffffff82
	v_cndmask_b32_e32 v12, v12, v30, vcc
	v_lshrrev_b32_e32 v30, 23, v10
	v_add3_u32 v31, v31, v12, v30
	v_add_u32_e32 v30, 6, v31
	v_and_b32_e32 v11, 0xfffff, v11
	v_add_u32_e32 v10, v11, v10
	v_mov_b32_e32 v11, v51
	v_cmp_ne_u32_e32 vcc, 0, v30
                                        ; implicit-def: $vgpr12
	s_and_saveexec_b64 s[26:27], vcc
	s_xor_b64 s[26:27], exec, s[26:27]
; %bb.3764:                             ;   in Loop: Header=BB6_3331 Depth=3
	v_cmp_lt_u64_e32 vcc, s[88:89], v[10:11]
	v_add_u32_e32 v12, 7, v31
	v_cndmask_b32_e32 v12, v30, v12, vcc
	v_cndmask_b32_e64 v30, 0, 1, vcc
	v_lshrrev_b64 v[10:11], v30, v[10:11]
; %bb.3765:                             ;   in Loop: Header=BB6_3331 Depth=3
	s_andn2_saveexec_b64 s[26:27], s[26:27]
; %bb.3766:                             ;   in Loop: Header=BB6_3331 Depth=3
	v_bfe_u32 v12, v10, 23, 1
; %bb.3767:                             ;   in Loop: Header=BB6_3331 Depth=3
	s_or_b64 exec, exec, s[26:27]
	v_lshrrev_b64 v[10:11], 20, v[10:11]
	v_cmp_gt_i32_e32 vcc, 16, v12
	v_cndmask_b32_e32 v11, 0, v11, vcc
	v_cndmask_b32_e32 v10, 7, v10, vcc
	v_cmp_ne_u64_e32 vcc, 0, v[10:11]
	v_cmp_ne_u32_e64 s[26:27], 0, v12
	s_or_b64 s[26:27], s[26:27], vcc
                                        ; implicit-def: $vgpr30
	s_and_saveexec_b64 vcc, s[26:27]
	s_xor_b64 s[26:27], exec, vcc
; %bb.3768:                             ;   in Loop: Header=BB6_3331 Depth=3
	v_min_i32_e32 v11, 15, v12
	v_lshl_or_b32 v11, v11, 3, v25
	v_and_or_b32 v30, v10, 7, v11
                                        ; implicit-def: $vgpr25
; %bb.3769:                             ;   in Loop: Header=BB6_3331 Depth=3
	s_andn2_saveexec_b64 s[26:27], s[26:27]
; %bb.3770:                             ;   in Loop: Header=BB6_3331 Depth=3
	v_mov_b32_e32 v30, v25
; %bb.3771:                             ;   in Loop: Header=BB6_3331 Depth=3
	s_or_b64 exec, exec, s[26:27]
.LBB6_3772:                             ;   in Loop: Header=BB6_3331 Depth=3
	s_or_b64 exec, exec, s[36:37]
                                        ; implicit-def: $vgpr25
.LBB6_3773:                             ;   in Loop: Header=BB6_3331 Depth=3
	s_andn2_saveexec_b64 s[26:27], s[34:35]
; %bb.3774:                             ;   in Loop: Header=BB6_3331 Depth=3
	v_or_b32_e32 v30, 0x7e, v25
; %bb.3775:                             ;   in Loop: Header=BB6_3331 Depth=3
	s_or_b64 exec, exec, s[26:27]
                                        ; implicit-def: $vgpr10
.LBB6_3776:                             ;   in Loop: Header=BB6_3331 Depth=3
	s_andn2_saveexec_b64 s[26:27], s[30:31]
; %bb.3777:                             ;   in Loop: Header=BB6_3331 Depth=3
	v_or_b32_sdwa v30, v10, s86 dst_sel:DWORD dst_unused:UNUSED_PAD src0_sel:BYTE_3 src1_sel:DWORD
; %bb.3778:                             ;   in Loop: Header=BB6_3331 Depth=3
	s_or_b64 exec, exec, s[26:27]
	flat_load_ubyte v11, v[8:9] offset:1088 glc slc
	v_mov_b32_e32 v12, 0
	s_waitcnt vmcnt(0) lgkmcnt(0)
	v_cmp_ne_u16_e32 vcc, 0, v11
	s_and_saveexec_b64 s[26:27], vcc
	s_cbranch_execz .LBB6_3784
; %bb.3779:                             ;   in Loop: Header=BB6_3331 Depth=3
	v_cmp_ne_u16_e32 vcc, s96, v11
	v_bfrev_b32_e32 v12, 1
	s_and_saveexec_b64 s[30:31], vcc
	s_cbranch_execz .LBB6_3783
; %bb.3780:                             ;   in Loop: Header=BB6_3331 Depth=3
	v_and_b32_e32 v10, 0xffff, v11
	v_and_b32_e32 v25, 0x7f, v10
	v_cmp_ne_u32_e32 vcc, s86, v25
	v_mov_b32_e32 v12, 0x7f800001
	s_and_saveexec_b64 s[34:35], vcc
	s_cbranch_execz .LBB6_3782
; %bb.3781:                             ;   in Loop: Header=BB6_3331 Depth=3
	v_and_b32_e32 v12, 7, v10
	v_lshrrev_b32_e32 v33, 3, v25
	v_cmp_gt_u32_e32 vcc, 8, v25
	v_ffbh_u32_e32 v25, v12
	v_min_u32_e32 v25, 32, v25
	v_subrev_u32_e32 v31, 28, v25
	v_lshlrev_b64 v[31:32], v31, v[10:11]
	v_sub_u32_e32 v10, 29, v25
	v_and_b32_e32 v25, 7, v31
	v_cndmask_b32_e32 v10, v33, v10, vcc
	v_cndmask_b32_e32 v12, v12, v25, vcc
	v_lshlrev_b32_e32 v11, 24, v11
	v_bfrev_b32_e32 v25, 60
	v_lshlrev_b32_e32 v12, 20, v12
	v_and_b32_e32 v11, 0x80000000, v11
	v_lshl_add_u32 v10, v10, 23, v25
	v_or3_b32 v12, v11, v10, v12
.LBB6_3782:                             ;   in Loop: Header=BB6_3331 Depth=3
	s_or_b64 exec, exec, s[34:35]
.LBB6_3783:                             ;   in Loop: Header=BB6_3331 Depth=3
	s_or_b64 exec, exec, s[30:31]
.LBB6_3784:                             ;   in Loop: Header=BB6_3331 Depth=3
	s_or_b64 exec, exec, s[26:27]
	v_mul_f32_e32 v10, s45, v12
	v_and_b32_e32 v11, 0x7f800000, v10
	v_mov_b32_e32 v12, v51
	v_cmp_ne_u64_e32 vcc, s[76:77], v[11:12]
                                        ; implicit-def: $vgpr25
	s_and_saveexec_b64 s[26:27], vcc
	s_xor_b64 s[30:31], exec, s[26:27]
	s_cbranch_execz .LBB6_3802
; %bb.3785:                             ;   in Loop: Header=BB6_3331 Depth=3
	v_and_b32_e32 v11, 0x7fffffff, v10
	v_mov_b32_e32 v12, v51
	v_cmp_gt_u64_e32 vcc, s[78:79], v[11:12]
	v_and_b32_sdwa v31, v10, s96 dst_sel:DWORD dst_unused:UNUSED_PAD src0_sel:BYTE_3 src1_sel:DWORD
                                        ; implicit-def: $vgpr25
	s_and_saveexec_b64 s[26:27], vcc
	s_xor_b64 s[34:35], exec, s[26:27]
	s_cbranch_execz .LBB6_3799
; %bb.3786:                             ;   in Loop: Header=BB6_3331 Depth=3
	v_cmp_ne_u32_e32 vcc, 0, v10
	v_mov_b32_e32 v25, 0
	s_and_saveexec_b64 s[36:37], vcc
	s_cbranch_execz .LBB6_3798
; %bb.3787:                             ;   in Loop: Header=BB6_3331 Depth=3
	v_bfe_u32 v25, v10, 23, 8
	v_and_b32_e32 v11, 0x7fffff, v10
	v_cmp_gt_u32_e64 s[26:27], s97, v25
	v_sub_u32_e32 v10, 0x79, v25
	v_cmp_eq_u32_e32 vcc, 0, v25
	v_cndmask_b32_e64 v10, 0, v10, s[26:27]
	v_mov_b32_e32 v32, 0x78
	v_or_b32_e32 v12, 0x800000, v11
	v_cndmask_b32_e32 v32, v10, v32, vcc
	v_cndmask_b32_e32 v10, v12, v11, vcc
	v_add_u32_e32 v12, 20, v32
	v_lshlrev_b64 v[33:34], v12, -1
	v_mov_b32_e32 v11, v51
	v_add_u32_e32 v12, 19, v32
	v_bfi_b32 v33, v33, 0, v10
	v_lshlrev_b64 v[35:36], v12, 1
	v_lshrrev_b64 v[10:11], v32, v[10:11]
	v_bfi_b32 v34, v34, 0, 0
	v_cmp_eq_u64_e64 s[26:27], v[33:34], v[35:36]
	v_mov_b32_e32 v12, v11
	v_mov_b32_e32 v11, v10
	s_and_saveexec_b64 s[38:39], s[26:27]
; %bb.3788:                             ;   in Loop: Header=BB6_3331 Depth=3
	v_bfe_u32 v11, v10, 20, 1
	v_add_co_u32_e64 v11, s[26:27], v10, v11
	v_add_co_u32_e64 v11, s[26:27], -1, v11
; %bb.3789:                             ;   in Loop: Header=BB6_3331 Depth=3
	s_or_b64 exec, exec, s[38:39]
	v_add_u32_e32 v12, 0xffffff81, v25
	v_mov_b32_e32 v25, 0xffffff82
	v_cndmask_b32_e32 v12, v12, v25, vcc
	v_lshrrev_b32_e32 v25, 23, v10
	v_add3_u32 v32, v32, v12, v25
	v_add_u32_e32 v25, 6, v32
	v_and_b32_e32 v11, 0xfffff, v11
	v_add_u32_e32 v10, v11, v10
	v_mov_b32_e32 v11, v51
	v_cmp_ne_u32_e32 vcc, 0, v25
                                        ; implicit-def: $vgpr12
	s_and_saveexec_b64 s[26:27], vcc
	s_xor_b64 s[26:27], exec, s[26:27]
; %bb.3790:                             ;   in Loop: Header=BB6_3331 Depth=3
	v_cmp_lt_u64_e32 vcc, s[88:89], v[10:11]
	v_add_u32_e32 v12, 7, v32
	v_cndmask_b32_e32 v12, v25, v12, vcc
	v_cndmask_b32_e64 v25, 0, 1, vcc
	v_lshrrev_b64 v[10:11], v25, v[10:11]
; %bb.3791:                             ;   in Loop: Header=BB6_3331 Depth=3
	s_andn2_saveexec_b64 s[26:27], s[26:27]
; %bb.3792:                             ;   in Loop: Header=BB6_3331 Depth=3
	v_bfe_u32 v12, v10, 23, 1
; %bb.3793:                             ;   in Loop: Header=BB6_3331 Depth=3
	s_or_b64 exec, exec, s[26:27]
	v_lshrrev_b64 v[10:11], 20, v[10:11]
	v_cmp_gt_i32_e32 vcc, 16, v12
	v_cndmask_b32_e32 v11, 0, v11, vcc
	v_cndmask_b32_e32 v10, 7, v10, vcc
	v_cmp_ne_u64_e32 vcc, 0, v[10:11]
	v_cmp_ne_u32_e64 s[26:27], 0, v12
	s_or_b64 s[26:27], s[26:27], vcc
                                        ; implicit-def: $vgpr25
	s_and_saveexec_b64 vcc, s[26:27]
	s_xor_b64 s[26:27], exec, vcc
; %bb.3794:                             ;   in Loop: Header=BB6_3331 Depth=3
	v_min_i32_e32 v11, 15, v12
	v_lshl_or_b32 v11, v11, 3, v31
	v_and_or_b32 v25, v10, 7, v11
                                        ; implicit-def: $vgpr31
; %bb.3795:                             ;   in Loop: Header=BB6_3331 Depth=3
	s_andn2_saveexec_b64 s[26:27], s[26:27]
; %bb.3796:                             ;   in Loop: Header=BB6_3331 Depth=3
	v_mov_b32_e32 v25, v31
; %bb.3797:                             ;   in Loop: Header=BB6_3331 Depth=3
	s_or_b64 exec, exec, s[26:27]
.LBB6_3798:                             ;   in Loop: Header=BB6_3331 Depth=3
	s_or_b64 exec, exec, s[36:37]
                                        ; implicit-def: $vgpr31
.LBB6_3799:                             ;   in Loop: Header=BB6_3331 Depth=3
	s_andn2_saveexec_b64 s[26:27], s[34:35]
; %bb.3800:                             ;   in Loop: Header=BB6_3331 Depth=3
	v_or_b32_e32 v25, 0x7e, v31
; %bb.3801:                             ;   in Loop: Header=BB6_3331 Depth=3
	s_or_b64 exec, exec, s[26:27]
                                        ; implicit-def: $vgpr10
.LBB6_3802:                             ;   in Loop: Header=BB6_3331 Depth=3
	s_andn2_saveexec_b64 s[26:27], s[30:31]
; %bb.3803:                             ;   in Loop: Header=BB6_3331 Depth=3
	v_or_b32_sdwa v25, v10, s86 dst_sel:DWORD dst_unused:UNUSED_PAD src0_sel:BYTE_3 src1_sel:DWORD
; %bb.3804:                             ;   in Loop: Header=BB6_3331 Depth=3
	s_or_b64 exec, exec, s[26:27]
	flat_load_ubyte v11, v[8:9] offset:1152 glc slc
	v_mov_b32_e32 v12, 0
	s_waitcnt vmcnt(0) lgkmcnt(0)
	v_cmp_ne_u16_e32 vcc, 0, v11
	s_and_saveexec_b64 s[26:27], vcc
	s_cbranch_execz .LBB6_3810
; %bb.3805:                             ;   in Loop: Header=BB6_3331 Depth=3
	v_cmp_ne_u16_e32 vcc, s96, v11
	v_bfrev_b32_e32 v12, 1
	s_and_saveexec_b64 s[30:31], vcc
	s_cbranch_execz .LBB6_3809
; %bb.3806:                             ;   in Loop: Header=BB6_3331 Depth=3
	v_and_b32_e32 v10, 0xffff, v11
	v_and_b32_e32 v31, 0x7f, v10
	v_cmp_ne_u32_e32 vcc, s86, v31
	v_mov_b32_e32 v12, 0x7f800001
	s_and_saveexec_b64 s[34:35], vcc
	s_cbranch_execz .LBB6_3808
; %bb.3807:                             ;   in Loop: Header=BB6_3331 Depth=3
	v_and_b32_e32 v12, 7, v10
	v_lshrrev_b32_e32 v33, 3, v31
	v_cmp_gt_u32_e32 vcc, 8, v31
	v_ffbh_u32_e32 v31, v12
	v_min_u32_e32 v34, 32, v31
	v_subrev_u32_e32 v31, 28, v34
	v_lshlrev_b64 v[31:32], v31, v[10:11]
	v_sub_u32_e32 v10, 29, v34
	v_and_b32_e32 v31, 7, v31
	v_cndmask_b32_e32 v10, v33, v10, vcc
	v_cndmask_b32_e32 v12, v12, v31, vcc
	v_lshlrev_b32_e32 v11, 24, v11
	v_bfrev_b32_e32 v31, 60
	v_lshlrev_b32_e32 v12, 20, v12
	v_and_b32_e32 v11, 0x80000000, v11
	v_lshl_add_u32 v10, v10, 23, v31
	v_or3_b32 v12, v11, v10, v12
.LBB6_3808:                             ;   in Loop: Header=BB6_3331 Depth=3
	s_or_b64 exec, exec, s[34:35]
.LBB6_3809:                             ;   in Loop: Header=BB6_3331 Depth=3
	s_or_b64 exec, exec, s[30:31]
.LBB6_3810:                             ;   in Loop: Header=BB6_3331 Depth=3
	s_or_b64 exec, exec, s[26:27]
	v_mul_f32_e32 v10, s45, v12
	v_and_b32_e32 v11, 0x7f800000, v10
	v_mov_b32_e32 v12, v51
	v_cmp_ne_u64_e32 vcc, s[76:77], v[11:12]
                                        ; implicit-def: $vgpr31
	s_and_saveexec_b64 s[26:27], vcc
	s_xor_b64 s[30:31], exec, s[26:27]
	s_cbranch_execz .LBB6_3828
; %bb.3811:                             ;   in Loop: Header=BB6_3331 Depth=3
	v_and_b32_e32 v11, 0x7fffffff, v10
	v_mov_b32_e32 v12, v51
	v_cmp_gt_u64_e32 vcc, s[78:79], v[11:12]
	v_and_b32_sdwa v32, v10, s96 dst_sel:DWORD dst_unused:UNUSED_PAD src0_sel:BYTE_3 src1_sel:DWORD
                                        ; implicit-def: $vgpr31
	s_and_saveexec_b64 s[26:27], vcc
	s_xor_b64 s[34:35], exec, s[26:27]
	s_cbranch_execz .LBB6_3825
; %bb.3812:                             ;   in Loop: Header=BB6_3331 Depth=3
	v_cmp_ne_u32_e32 vcc, 0, v10
	v_mov_b32_e32 v31, 0
	s_and_saveexec_b64 s[36:37], vcc
	s_cbranch_execz .LBB6_3824
; %bb.3813:                             ;   in Loop: Header=BB6_3331 Depth=3
	v_bfe_u32 v31, v10, 23, 8
	v_and_b32_e32 v11, 0x7fffff, v10
	v_cmp_gt_u32_e64 s[26:27], s97, v31
	v_sub_u32_e32 v10, 0x79, v31
	v_cmp_eq_u32_e32 vcc, 0, v31
	v_cndmask_b32_e64 v10, 0, v10, s[26:27]
	v_mov_b32_e32 v33, 0x78
	v_or_b32_e32 v12, 0x800000, v11
	v_cndmask_b32_e32 v33, v10, v33, vcc
	v_cndmask_b32_e32 v10, v12, v11, vcc
	v_add_u32_e32 v12, 20, v33
	v_lshlrev_b64 v[34:35], v12, -1
	v_mov_b32_e32 v11, v51
	v_add_u32_e32 v12, 19, v33
	v_bfi_b32 v34, v34, 0, v10
	v_lshlrev_b64 v[36:37], v12, 1
	v_lshrrev_b64 v[10:11], v33, v[10:11]
	v_bfi_b32 v35, v35, 0, 0
	v_cmp_eq_u64_e64 s[26:27], v[34:35], v[36:37]
	v_mov_b32_e32 v12, v11
	v_mov_b32_e32 v11, v10
	s_and_saveexec_b64 s[38:39], s[26:27]
; %bb.3814:                             ;   in Loop: Header=BB6_3331 Depth=3
	v_bfe_u32 v11, v10, 20, 1
	v_add_co_u32_e64 v11, s[26:27], v10, v11
	v_add_co_u32_e64 v11, s[26:27], -1, v11
; %bb.3815:                             ;   in Loop: Header=BB6_3331 Depth=3
	s_or_b64 exec, exec, s[38:39]
	v_add_u32_e32 v12, 0xffffff81, v31
	v_mov_b32_e32 v31, 0xffffff82
	v_cndmask_b32_e32 v12, v12, v31, vcc
	v_lshrrev_b32_e32 v31, 23, v10
	v_add3_u32 v33, v33, v12, v31
	v_add_u32_e32 v31, 6, v33
	v_and_b32_e32 v11, 0xfffff, v11
	v_add_u32_e32 v10, v11, v10
	v_mov_b32_e32 v11, v51
	v_cmp_ne_u32_e32 vcc, 0, v31
                                        ; implicit-def: $vgpr12
	s_and_saveexec_b64 s[26:27], vcc
	s_xor_b64 s[26:27], exec, s[26:27]
; %bb.3816:                             ;   in Loop: Header=BB6_3331 Depth=3
	v_cmp_lt_u64_e32 vcc, s[88:89], v[10:11]
	v_add_u32_e32 v12, 7, v33
	v_cndmask_b32_e32 v12, v31, v12, vcc
	v_cndmask_b32_e64 v31, 0, 1, vcc
	v_lshrrev_b64 v[10:11], v31, v[10:11]
; %bb.3817:                             ;   in Loop: Header=BB6_3331 Depth=3
	s_andn2_saveexec_b64 s[26:27], s[26:27]
; %bb.3818:                             ;   in Loop: Header=BB6_3331 Depth=3
	v_bfe_u32 v12, v10, 23, 1
; %bb.3819:                             ;   in Loop: Header=BB6_3331 Depth=3
	s_or_b64 exec, exec, s[26:27]
	v_lshrrev_b64 v[10:11], 20, v[10:11]
	v_cmp_gt_i32_e32 vcc, 16, v12
	v_cndmask_b32_e32 v11, 0, v11, vcc
	v_cndmask_b32_e32 v10, 7, v10, vcc
	v_cmp_ne_u64_e32 vcc, 0, v[10:11]
	v_cmp_ne_u32_e64 s[26:27], 0, v12
	s_or_b64 s[26:27], s[26:27], vcc
                                        ; implicit-def: $vgpr31
	s_and_saveexec_b64 vcc, s[26:27]
	s_xor_b64 s[26:27], exec, vcc
; %bb.3820:                             ;   in Loop: Header=BB6_3331 Depth=3
	v_min_i32_e32 v11, 15, v12
	v_lshl_or_b32 v11, v11, 3, v32
	v_and_or_b32 v31, v10, 7, v11
                                        ; implicit-def: $vgpr32
; %bb.3821:                             ;   in Loop: Header=BB6_3331 Depth=3
	s_andn2_saveexec_b64 s[26:27], s[26:27]
; %bb.3822:                             ;   in Loop: Header=BB6_3331 Depth=3
	v_mov_b32_e32 v31, v32
; %bb.3823:                             ;   in Loop: Header=BB6_3331 Depth=3
	s_or_b64 exec, exec, s[26:27]
.LBB6_3824:                             ;   in Loop: Header=BB6_3331 Depth=3
	s_or_b64 exec, exec, s[36:37]
                                        ; implicit-def: $vgpr32
.LBB6_3825:                             ;   in Loop: Header=BB6_3331 Depth=3
	s_andn2_saveexec_b64 s[26:27], s[34:35]
; %bb.3826:                             ;   in Loop: Header=BB6_3331 Depth=3
	v_or_b32_e32 v31, 0x7e, v32
; %bb.3827:                             ;   in Loop: Header=BB6_3331 Depth=3
	s_or_b64 exec, exec, s[26:27]
                                        ; implicit-def: $vgpr10
.LBB6_3828:                             ;   in Loop: Header=BB6_3331 Depth=3
	s_andn2_saveexec_b64 s[26:27], s[30:31]
; %bb.3829:                             ;   in Loop: Header=BB6_3331 Depth=3
	v_or_b32_sdwa v31, v10, s86 dst_sel:DWORD dst_unused:UNUSED_PAD src0_sel:BYTE_3 src1_sel:DWORD
; %bb.3830:                             ;   in Loop: Header=BB6_3331 Depth=3
	s_or_b64 exec, exec, s[26:27]
	flat_load_ubyte v11, v[8:9] offset:1216 glc slc
	v_mov_b32_e32 v12, 0
	s_waitcnt vmcnt(0) lgkmcnt(0)
	v_cmp_ne_u16_e32 vcc, 0, v11
	s_and_saveexec_b64 s[26:27], vcc
	s_cbranch_execz .LBB6_3836
; %bb.3831:                             ;   in Loop: Header=BB6_3331 Depth=3
	v_cmp_ne_u16_e32 vcc, s96, v11
	v_bfrev_b32_e32 v12, 1
	s_and_saveexec_b64 s[30:31], vcc
	s_cbranch_execz .LBB6_3835
; %bb.3832:                             ;   in Loop: Header=BB6_3331 Depth=3
	v_and_b32_e32 v10, 0xffff, v11
	v_and_b32_e32 v32, 0x7f, v10
	v_cmp_ne_u32_e32 vcc, s86, v32
	v_mov_b32_e32 v12, 0x7f800001
	s_and_saveexec_b64 s[34:35], vcc
	s_cbranch_execz .LBB6_3834
; %bb.3833:                             ;   in Loop: Header=BB6_3331 Depth=3
	v_and_b32_e32 v12, 7, v10
	v_lshrrev_b32_e32 v34, 3, v32
	v_cmp_gt_u32_e32 vcc, 8, v32
	v_ffbh_u32_e32 v32, v12
	v_min_u32_e32 v35, 32, v32
	v_subrev_u32_e32 v32, 28, v35
	v_lshlrev_b64 v[32:33], v32, v[10:11]
	v_sub_u32_e32 v10, 29, v35
	v_and_b32_e32 v32, 7, v32
	v_cndmask_b32_e32 v10, v34, v10, vcc
	v_cndmask_b32_e32 v12, v12, v32, vcc
	v_lshlrev_b32_e32 v11, 24, v11
	v_bfrev_b32_e32 v32, 60
	v_lshlrev_b32_e32 v12, 20, v12
	v_and_b32_e32 v11, 0x80000000, v11
	v_lshl_add_u32 v10, v10, 23, v32
	v_or3_b32 v12, v11, v10, v12
.LBB6_3834:                             ;   in Loop: Header=BB6_3331 Depth=3
	s_or_b64 exec, exec, s[34:35]
.LBB6_3835:                             ;   in Loop: Header=BB6_3331 Depth=3
	s_or_b64 exec, exec, s[30:31]
.LBB6_3836:                             ;   in Loop: Header=BB6_3331 Depth=3
	s_or_b64 exec, exec, s[26:27]
	v_mul_f32_e32 v10, s45, v12
	v_and_b32_e32 v11, 0x7f800000, v10
	v_mov_b32_e32 v12, v51
	v_cmp_ne_u64_e32 vcc, s[76:77], v[11:12]
                                        ; implicit-def: $vgpr32
	s_and_saveexec_b64 s[26:27], vcc
	s_xor_b64 s[30:31], exec, s[26:27]
	s_cbranch_execz .LBB6_3854
; %bb.3837:                             ;   in Loop: Header=BB6_3331 Depth=3
	v_and_b32_e32 v11, 0x7fffffff, v10
	v_mov_b32_e32 v12, v51
	v_cmp_gt_u64_e32 vcc, s[78:79], v[11:12]
	v_and_b32_sdwa v33, v10, s96 dst_sel:DWORD dst_unused:UNUSED_PAD src0_sel:BYTE_3 src1_sel:DWORD
                                        ; implicit-def: $vgpr32
	s_and_saveexec_b64 s[26:27], vcc
	s_xor_b64 s[34:35], exec, s[26:27]
	s_cbranch_execz .LBB6_3851
; %bb.3838:                             ;   in Loop: Header=BB6_3331 Depth=3
	v_cmp_ne_u32_e32 vcc, 0, v10
	v_mov_b32_e32 v32, 0
	s_and_saveexec_b64 s[36:37], vcc
	s_cbranch_execz .LBB6_3850
; %bb.3839:                             ;   in Loop: Header=BB6_3331 Depth=3
	v_bfe_u32 v32, v10, 23, 8
	v_and_b32_e32 v11, 0x7fffff, v10
	v_cmp_gt_u32_e64 s[26:27], s97, v32
	v_sub_u32_e32 v10, 0x79, v32
	v_cmp_eq_u32_e32 vcc, 0, v32
	v_cndmask_b32_e64 v10, 0, v10, s[26:27]
	v_mov_b32_e32 v34, 0x78
	v_or_b32_e32 v12, 0x800000, v11
	v_cndmask_b32_e32 v34, v10, v34, vcc
	v_cndmask_b32_e32 v10, v12, v11, vcc
	v_add_u32_e32 v12, 20, v34
	v_lshlrev_b64 v[35:36], v12, -1
	v_mov_b32_e32 v11, v51
	v_add_u32_e32 v12, 19, v34
	v_bfi_b32 v35, v35, 0, v10
	v_lshlrev_b64 v[37:38], v12, 1
	v_lshrrev_b64 v[10:11], v34, v[10:11]
	v_bfi_b32 v36, v36, 0, 0
	v_cmp_eq_u64_e64 s[26:27], v[35:36], v[37:38]
	v_mov_b32_e32 v12, v11
	v_mov_b32_e32 v11, v10
	s_and_saveexec_b64 s[38:39], s[26:27]
; %bb.3840:                             ;   in Loop: Header=BB6_3331 Depth=3
	v_bfe_u32 v11, v10, 20, 1
	v_add_co_u32_e64 v11, s[26:27], v10, v11
	v_add_co_u32_e64 v11, s[26:27], -1, v11
; %bb.3841:                             ;   in Loop: Header=BB6_3331 Depth=3
	s_or_b64 exec, exec, s[38:39]
	v_add_u32_e32 v12, 0xffffff81, v32
	v_mov_b32_e32 v32, 0xffffff82
	v_cndmask_b32_e32 v12, v12, v32, vcc
	v_lshrrev_b32_e32 v32, 23, v10
	v_add3_u32 v34, v34, v12, v32
	v_add_u32_e32 v32, 6, v34
	v_and_b32_e32 v11, 0xfffff, v11
	v_add_u32_e32 v10, v11, v10
	v_mov_b32_e32 v11, v51
	v_cmp_ne_u32_e32 vcc, 0, v32
                                        ; implicit-def: $vgpr12
	s_and_saveexec_b64 s[26:27], vcc
	s_xor_b64 s[26:27], exec, s[26:27]
; %bb.3842:                             ;   in Loop: Header=BB6_3331 Depth=3
	v_cmp_lt_u64_e32 vcc, s[88:89], v[10:11]
	v_add_u32_e32 v12, 7, v34
	v_cndmask_b32_e32 v12, v32, v12, vcc
	v_cndmask_b32_e64 v32, 0, 1, vcc
	v_lshrrev_b64 v[10:11], v32, v[10:11]
; %bb.3843:                             ;   in Loop: Header=BB6_3331 Depth=3
	s_andn2_saveexec_b64 s[26:27], s[26:27]
; %bb.3844:                             ;   in Loop: Header=BB6_3331 Depth=3
	v_bfe_u32 v12, v10, 23, 1
; %bb.3845:                             ;   in Loop: Header=BB6_3331 Depth=3
	s_or_b64 exec, exec, s[26:27]
	v_lshrrev_b64 v[10:11], 20, v[10:11]
	v_cmp_gt_i32_e32 vcc, 16, v12
	v_cndmask_b32_e32 v11, 0, v11, vcc
	v_cndmask_b32_e32 v10, 7, v10, vcc
	v_cmp_ne_u64_e32 vcc, 0, v[10:11]
	v_cmp_ne_u32_e64 s[26:27], 0, v12
	s_or_b64 s[26:27], s[26:27], vcc
                                        ; implicit-def: $vgpr32
	s_and_saveexec_b64 vcc, s[26:27]
	s_xor_b64 s[26:27], exec, vcc
; %bb.3846:                             ;   in Loop: Header=BB6_3331 Depth=3
	v_min_i32_e32 v11, 15, v12
	v_lshl_or_b32 v11, v11, 3, v33
	v_and_or_b32 v32, v10, 7, v11
                                        ; implicit-def: $vgpr33
; %bb.3847:                             ;   in Loop: Header=BB6_3331 Depth=3
	s_andn2_saveexec_b64 s[26:27], s[26:27]
; %bb.3848:                             ;   in Loop: Header=BB6_3331 Depth=3
	v_mov_b32_e32 v32, v33
; %bb.3849:                             ;   in Loop: Header=BB6_3331 Depth=3
	s_or_b64 exec, exec, s[26:27]
.LBB6_3850:                             ;   in Loop: Header=BB6_3331 Depth=3
	s_or_b64 exec, exec, s[36:37]
                                        ; implicit-def: $vgpr33
.LBB6_3851:                             ;   in Loop: Header=BB6_3331 Depth=3
	s_andn2_saveexec_b64 s[26:27], s[34:35]
; %bb.3852:                             ;   in Loop: Header=BB6_3331 Depth=3
	v_or_b32_e32 v32, 0x7e, v33
; %bb.3853:                             ;   in Loop: Header=BB6_3331 Depth=3
	s_or_b64 exec, exec, s[26:27]
                                        ; implicit-def: $vgpr10
.LBB6_3854:                             ;   in Loop: Header=BB6_3331 Depth=3
	s_andn2_saveexec_b64 s[26:27], s[30:31]
; %bb.3855:                             ;   in Loop: Header=BB6_3331 Depth=3
	v_or_b32_sdwa v32, v10, s86 dst_sel:DWORD dst_unused:UNUSED_PAD src0_sel:BYTE_3 src1_sel:DWORD
; %bb.3856:                             ;   in Loop: Header=BB6_3331 Depth=3
	s_or_b64 exec, exec, s[26:27]
	flat_load_ubyte v11, v[8:9] offset:1280 glc slc
	v_mov_b32_e32 v12, 0
	s_waitcnt vmcnt(0) lgkmcnt(0)
	v_cmp_ne_u16_e32 vcc, 0, v11
	s_and_saveexec_b64 s[26:27], vcc
	s_cbranch_execz .LBB6_3862
; %bb.3857:                             ;   in Loop: Header=BB6_3331 Depth=3
	v_cmp_ne_u16_e32 vcc, s96, v11
	v_bfrev_b32_e32 v12, 1
	s_and_saveexec_b64 s[30:31], vcc
	s_cbranch_execz .LBB6_3861
; %bb.3858:                             ;   in Loop: Header=BB6_3331 Depth=3
	v_and_b32_e32 v10, 0xffff, v11
	v_and_b32_e32 v33, 0x7f, v10
	v_cmp_ne_u32_e32 vcc, s86, v33
	v_mov_b32_e32 v12, 0x7f800001
	s_and_saveexec_b64 s[34:35], vcc
	s_cbranch_execz .LBB6_3860
; %bb.3859:                             ;   in Loop: Header=BB6_3331 Depth=3
	v_and_b32_e32 v12, 7, v10
	v_lshrrev_b32_e32 v35, 3, v33
	v_cmp_gt_u32_e32 vcc, 8, v33
	v_ffbh_u32_e32 v33, v12
	v_min_u32_e32 v36, 32, v33
	v_subrev_u32_e32 v33, 28, v36
	v_lshlrev_b64 v[33:34], v33, v[10:11]
	v_sub_u32_e32 v10, 29, v36
	v_and_b32_e32 v33, 7, v33
	v_cndmask_b32_e32 v10, v35, v10, vcc
	v_cndmask_b32_e32 v12, v12, v33, vcc
	v_lshlrev_b32_e32 v11, 24, v11
	v_bfrev_b32_e32 v33, 60
	v_lshlrev_b32_e32 v12, 20, v12
	v_and_b32_e32 v11, 0x80000000, v11
	v_lshl_add_u32 v10, v10, 23, v33
	v_or3_b32 v12, v11, v10, v12
.LBB6_3860:                             ;   in Loop: Header=BB6_3331 Depth=3
	s_or_b64 exec, exec, s[34:35]
.LBB6_3861:                             ;   in Loop: Header=BB6_3331 Depth=3
	s_or_b64 exec, exec, s[30:31]
.LBB6_3862:                             ;   in Loop: Header=BB6_3331 Depth=3
	s_or_b64 exec, exec, s[26:27]
	v_mul_f32_e32 v10, s45, v12
	v_and_b32_e32 v11, 0x7f800000, v10
	v_mov_b32_e32 v12, v51
	v_cmp_ne_u64_e32 vcc, s[76:77], v[11:12]
                                        ; implicit-def: $vgpr33
	s_and_saveexec_b64 s[26:27], vcc
	s_xor_b64 s[30:31], exec, s[26:27]
	s_cbranch_execz .LBB6_3880
; %bb.3863:                             ;   in Loop: Header=BB6_3331 Depth=3
	v_and_b32_e32 v11, 0x7fffffff, v10
	v_mov_b32_e32 v12, v51
	v_cmp_gt_u64_e32 vcc, s[78:79], v[11:12]
	v_and_b32_sdwa v34, v10, s96 dst_sel:DWORD dst_unused:UNUSED_PAD src0_sel:BYTE_3 src1_sel:DWORD
                                        ; implicit-def: $vgpr33
	s_and_saveexec_b64 s[26:27], vcc
	s_xor_b64 s[34:35], exec, s[26:27]
	s_cbranch_execz .LBB6_3877
; %bb.3864:                             ;   in Loop: Header=BB6_3331 Depth=3
	v_cmp_ne_u32_e32 vcc, 0, v10
	v_mov_b32_e32 v33, 0
	s_and_saveexec_b64 s[36:37], vcc
	s_cbranch_execz .LBB6_3876
; %bb.3865:                             ;   in Loop: Header=BB6_3331 Depth=3
	v_bfe_u32 v33, v10, 23, 8
	v_and_b32_e32 v11, 0x7fffff, v10
	v_cmp_gt_u32_e64 s[26:27], s97, v33
	v_sub_u32_e32 v10, 0x79, v33
	v_cmp_eq_u32_e32 vcc, 0, v33
	v_cndmask_b32_e64 v10, 0, v10, s[26:27]
	v_mov_b32_e32 v35, 0x78
	v_or_b32_e32 v12, 0x800000, v11
	v_cndmask_b32_e32 v35, v10, v35, vcc
	v_cndmask_b32_e32 v10, v12, v11, vcc
	v_add_u32_e32 v12, 20, v35
	v_lshlrev_b64 v[36:37], v12, -1
	v_mov_b32_e32 v11, v51
	v_add_u32_e32 v12, 19, v35
	v_bfi_b32 v36, v36, 0, v10
	v_lshlrev_b64 v[38:39], v12, 1
	v_lshrrev_b64 v[10:11], v35, v[10:11]
	v_bfi_b32 v37, v37, 0, 0
	v_cmp_eq_u64_e64 s[26:27], v[36:37], v[38:39]
	v_mov_b32_e32 v12, v11
	v_mov_b32_e32 v11, v10
	s_and_saveexec_b64 s[38:39], s[26:27]
; %bb.3866:                             ;   in Loop: Header=BB6_3331 Depth=3
	v_bfe_u32 v11, v10, 20, 1
	v_add_co_u32_e64 v11, s[26:27], v10, v11
	v_add_co_u32_e64 v11, s[26:27], -1, v11
; %bb.3867:                             ;   in Loop: Header=BB6_3331 Depth=3
	s_or_b64 exec, exec, s[38:39]
	v_add_u32_e32 v12, 0xffffff81, v33
	v_mov_b32_e32 v33, 0xffffff82
	v_cndmask_b32_e32 v12, v12, v33, vcc
	v_lshrrev_b32_e32 v33, 23, v10
	v_add3_u32 v35, v35, v12, v33
	v_add_u32_e32 v33, 6, v35
	v_and_b32_e32 v11, 0xfffff, v11
	v_add_u32_e32 v10, v11, v10
	v_mov_b32_e32 v11, v51
	v_cmp_ne_u32_e32 vcc, 0, v33
                                        ; implicit-def: $vgpr12
	s_and_saveexec_b64 s[26:27], vcc
	s_xor_b64 s[26:27], exec, s[26:27]
; %bb.3868:                             ;   in Loop: Header=BB6_3331 Depth=3
	v_cmp_lt_u64_e32 vcc, s[88:89], v[10:11]
	v_add_u32_e32 v12, 7, v35
	v_cndmask_b32_e32 v12, v33, v12, vcc
	v_cndmask_b32_e64 v33, 0, 1, vcc
	v_lshrrev_b64 v[10:11], v33, v[10:11]
; %bb.3869:                             ;   in Loop: Header=BB6_3331 Depth=3
	s_andn2_saveexec_b64 s[26:27], s[26:27]
; %bb.3870:                             ;   in Loop: Header=BB6_3331 Depth=3
	v_bfe_u32 v12, v10, 23, 1
; %bb.3871:                             ;   in Loop: Header=BB6_3331 Depth=3
	s_or_b64 exec, exec, s[26:27]
	v_lshrrev_b64 v[10:11], 20, v[10:11]
	v_cmp_gt_i32_e32 vcc, 16, v12
	v_cndmask_b32_e32 v11, 0, v11, vcc
	v_cndmask_b32_e32 v10, 7, v10, vcc
	v_cmp_ne_u64_e32 vcc, 0, v[10:11]
	v_cmp_ne_u32_e64 s[26:27], 0, v12
	s_or_b64 s[26:27], s[26:27], vcc
                                        ; implicit-def: $vgpr33
	s_and_saveexec_b64 vcc, s[26:27]
	s_xor_b64 s[26:27], exec, vcc
; %bb.3872:                             ;   in Loop: Header=BB6_3331 Depth=3
	v_min_i32_e32 v11, 15, v12
	v_lshl_or_b32 v11, v11, 3, v34
	v_and_or_b32 v33, v10, 7, v11
                                        ; implicit-def: $vgpr34
; %bb.3873:                             ;   in Loop: Header=BB6_3331 Depth=3
	s_andn2_saveexec_b64 s[26:27], s[26:27]
; %bb.3874:                             ;   in Loop: Header=BB6_3331 Depth=3
	v_mov_b32_e32 v33, v34
; %bb.3875:                             ;   in Loop: Header=BB6_3331 Depth=3
	s_or_b64 exec, exec, s[26:27]
.LBB6_3876:                             ;   in Loop: Header=BB6_3331 Depth=3
	s_or_b64 exec, exec, s[36:37]
                                        ; implicit-def: $vgpr34
.LBB6_3877:                             ;   in Loop: Header=BB6_3331 Depth=3
	s_andn2_saveexec_b64 s[26:27], s[34:35]
; %bb.3878:                             ;   in Loop: Header=BB6_3331 Depth=3
	v_or_b32_e32 v33, 0x7e, v34
; %bb.3879:                             ;   in Loop: Header=BB6_3331 Depth=3
	s_or_b64 exec, exec, s[26:27]
                                        ; implicit-def: $vgpr10
.LBB6_3880:                             ;   in Loop: Header=BB6_3331 Depth=3
	s_andn2_saveexec_b64 s[26:27], s[30:31]
; %bb.3881:                             ;   in Loop: Header=BB6_3331 Depth=3
	v_or_b32_sdwa v33, v10, s86 dst_sel:DWORD dst_unused:UNUSED_PAD src0_sel:BYTE_3 src1_sel:DWORD
; %bb.3882:                             ;   in Loop: Header=BB6_3331 Depth=3
	s_or_b64 exec, exec, s[26:27]
	flat_load_ubyte v11, v[8:9] offset:1344 glc slc
	v_mov_b32_e32 v12, 0
	s_waitcnt vmcnt(0) lgkmcnt(0)
	v_cmp_ne_u16_e32 vcc, 0, v11
	s_and_saveexec_b64 s[26:27], vcc
	s_cbranch_execz .LBB6_3888
; %bb.3883:                             ;   in Loop: Header=BB6_3331 Depth=3
	v_cmp_ne_u16_e32 vcc, s96, v11
	v_bfrev_b32_e32 v12, 1
	s_and_saveexec_b64 s[30:31], vcc
	s_cbranch_execz .LBB6_3887
; %bb.3884:                             ;   in Loop: Header=BB6_3331 Depth=3
	v_and_b32_e32 v10, 0xffff, v11
	v_and_b32_e32 v34, 0x7f, v10
	v_cmp_ne_u32_e32 vcc, s86, v34
	v_mov_b32_e32 v12, 0x7f800001
	s_and_saveexec_b64 s[34:35], vcc
	s_cbranch_execz .LBB6_3886
; %bb.3885:                             ;   in Loop: Header=BB6_3331 Depth=3
	v_and_b32_e32 v12, 7, v10
	v_lshrrev_b32_e32 v36, 3, v34
	v_cmp_gt_u32_e32 vcc, 8, v34
	v_ffbh_u32_e32 v34, v12
	v_min_u32_e32 v37, 32, v34
	v_subrev_u32_e32 v34, 28, v37
	v_lshlrev_b64 v[34:35], v34, v[10:11]
	v_sub_u32_e32 v10, 29, v37
	v_and_b32_e32 v34, 7, v34
	v_cndmask_b32_e32 v10, v36, v10, vcc
	v_cndmask_b32_e32 v12, v12, v34, vcc
	v_lshlrev_b32_e32 v11, 24, v11
	v_bfrev_b32_e32 v34, 60
	v_lshlrev_b32_e32 v12, 20, v12
	v_and_b32_e32 v11, 0x80000000, v11
	v_lshl_add_u32 v10, v10, 23, v34
	v_or3_b32 v12, v11, v10, v12
.LBB6_3886:                             ;   in Loop: Header=BB6_3331 Depth=3
	s_or_b64 exec, exec, s[34:35]
.LBB6_3887:                             ;   in Loop: Header=BB6_3331 Depth=3
	s_or_b64 exec, exec, s[30:31]
.LBB6_3888:                             ;   in Loop: Header=BB6_3331 Depth=3
	s_or_b64 exec, exec, s[26:27]
	v_mul_f32_e32 v10, s45, v12
	v_and_b32_e32 v11, 0x7f800000, v10
	v_mov_b32_e32 v12, v51
	v_cmp_ne_u64_e32 vcc, s[76:77], v[11:12]
                                        ; implicit-def: $vgpr34
	s_and_saveexec_b64 s[26:27], vcc
	s_xor_b64 s[30:31], exec, s[26:27]
	s_cbranch_execz .LBB6_3906
; %bb.3889:                             ;   in Loop: Header=BB6_3331 Depth=3
	v_and_b32_e32 v11, 0x7fffffff, v10
	v_mov_b32_e32 v12, v51
	v_cmp_gt_u64_e32 vcc, s[78:79], v[11:12]
	v_and_b32_sdwa v35, v10, s96 dst_sel:DWORD dst_unused:UNUSED_PAD src0_sel:BYTE_3 src1_sel:DWORD
                                        ; implicit-def: $vgpr34
	s_and_saveexec_b64 s[26:27], vcc
	s_xor_b64 s[34:35], exec, s[26:27]
	s_cbranch_execz .LBB6_3903
; %bb.3890:                             ;   in Loop: Header=BB6_3331 Depth=3
	v_cmp_ne_u32_e32 vcc, 0, v10
	v_mov_b32_e32 v34, 0
	s_and_saveexec_b64 s[36:37], vcc
	s_cbranch_execz .LBB6_3902
; %bb.3891:                             ;   in Loop: Header=BB6_3331 Depth=3
	v_bfe_u32 v34, v10, 23, 8
	v_and_b32_e32 v11, 0x7fffff, v10
	v_cmp_gt_u32_e64 s[26:27], s97, v34
	v_sub_u32_e32 v10, 0x79, v34
	v_cmp_eq_u32_e32 vcc, 0, v34
	v_cndmask_b32_e64 v10, 0, v10, s[26:27]
	v_mov_b32_e32 v36, 0x78
	v_or_b32_e32 v12, 0x800000, v11
	v_cndmask_b32_e32 v36, v10, v36, vcc
	v_cndmask_b32_e32 v10, v12, v11, vcc
	v_add_u32_e32 v12, 20, v36
	v_lshlrev_b64 v[37:38], v12, -1
	v_mov_b32_e32 v11, v51
	v_add_u32_e32 v12, 19, v36
	v_bfi_b32 v37, v37, 0, v10
	v_lshlrev_b64 v[48:49], v12, 1
	v_lshrrev_b64 v[10:11], v36, v[10:11]
	v_bfi_b32 v38, v38, 0, 0
	v_cmp_eq_u64_e64 s[26:27], v[37:38], v[48:49]
	v_mov_b32_e32 v12, v11
	v_mov_b32_e32 v11, v10
	s_and_saveexec_b64 s[38:39], s[26:27]
; %bb.3892:                             ;   in Loop: Header=BB6_3331 Depth=3
	v_bfe_u32 v11, v10, 20, 1
	v_add_co_u32_e64 v11, s[26:27], v10, v11
	v_add_co_u32_e64 v11, s[26:27], -1, v11
; %bb.3893:                             ;   in Loop: Header=BB6_3331 Depth=3
	s_or_b64 exec, exec, s[38:39]
	v_add_u32_e32 v12, 0xffffff81, v34
	v_mov_b32_e32 v34, 0xffffff82
	v_cndmask_b32_e32 v12, v12, v34, vcc
	v_lshrrev_b32_e32 v34, 23, v10
	v_add3_u32 v36, v36, v12, v34
	v_add_u32_e32 v34, 6, v36
	v_and_b32_e32 v11, 0xfffff, v11
	v_add_u32_e32 v10, v11, v10
	v_mov_b32_e32 v11, v51
	v_cmp_ne_u32_e32 vcc, 0, v34
                                        ; implicit-def: $vgpr12
	s_and_saveexec_b64 s[26:27], vcc
	s_xor_b64 s[26:27], exec, s[26:27]
; %bb.3894:                             ;   in Loop: Header=BB6_3331 Depth=3
	v_cmp_lt_u64_e32 vcc, s[88:89], v[10:11]
	v_add_u32_e32 v12, 7, v36
	v_cndmask_b32_e32 v12, v34, v12, vcc
	v_cndmask_b32_e64 v34, 0, 1, vcc
	v_lshrrev_b64 v[10:11], v34, v[10:11]
; %bb.3895:                             ;   in Loop: Header=BB6_3331 Depth=3
	s_andn2_saveexec_b64 s[26:27], s[26:27]
; %bb.3896:                             ;   in Loop: Header=BB6_3331 Depth=3
	v_bfe_u32 v12, v10, 23, 1
; %bb.3897:                             ;   in Loop: Header=BB6_3331 Depth=3
	s_or_b64 exec, exec, s[26:27]
	v_lshrrev_b64 v[10:11], 20, v[10:11]
	v_cmp_gt_i32_e32 vcc, 16, v12
	v_cndmask_b32_e32 v11, 0, v11, vcc
	v_cndmask_b32_e32 v10, 7, v10, vcc
	v_cmp_ne_u64_e32 vcc, 0, v[10:11]
	v_cmp_ne_u32_e64 s[26:27], 0, v12
	s_or_b64 s[26:27], s[26:27], vcc
                                        ; implicit-def: $vgpr34
	s_and_saveexec_b64 vcc, s[26:27]
	s_xor_b64 s[26:27], exec, vcc
; %bb.3898:                             ;   in Loop: Header=BB6_3331 Depth=3
	v_min_i32_e32 v11, 15, v12
	v_lshl_or_b32 v11, v11, 3, v35
	v_and_or_b32 v34, v10, 7, v11
                                        ; implicit-def: $vgpr35
; %bb.3899:                             ;   in Loop: Header=BB6_3331 Depth=3
	s_andn2_saveexec_b64 s[26:27], s[26:27]
; %bb.3900:                             ;   in Loop: Header=BB6_3331 Depth=3
	v_mov_b32_e32 v34, v35
; %bb.3901:                             ;   in Loop: Header=BB6_3331 Depth=3
	s_or_b64 exec, exec, s[26:27]
.LBB6_3902:                             ;   in Loop: Header=BB6_3331 Depth=3
	s_or_b64 exec, exec, s[36:37]
                                        ; implicit-def: $vgpr35
.LBB6_3903:                             ;   in Loop: Header=BB6_3331 Depth=3
	s_andn2_saveexec_b64 s[26:27], s[34:35]
; %bb.3904:                             ;   in Loop: Header=BB6_3331 Depth=3
	v_or_b32_e32 v34, 0x7e, v35
; %bb.3905:                             ;   in Loop: Header=BB6_3331 Depth=3
	s_or_b64 exec, exec, s[26:27]
                                        ; implicit-def: $vgpr10
.LBB6_3906:                             ;   in Loop: Header=BB6_3331 Depth=3
	s_andn2_saveexec_b64 s[26:27], s[30:31]
; %bb.3907:                             ;   in Loop: Header=BB6_3331 Depth=3
	v_or_b32_sdwa v34, v10, s86 dst_sel:DWORD dst_unused:UNUSED_PAD src0_sel:BYTE_3 src1_sel:DWORD
; %bb.3908:                             ;   in Loop: Header=BB6_3331 Depth=3
	s_or_b64 exec, exec, s[26:27]
	flat_load_ubyte v11, v[8:9] offset:1408 glc slc
	v_mov_b32_e32 v12, 0
	s_waitcnt vmcnt(0) lgkmcnt(0)
	v_cmp_ne_u16_e32 vcc, 0, v11
	s_and_saveexec_b64 s[26:27], vcc
	s_cbranch_execz .LBB6_3914
; %bb.3909:                             ;   in Loop: Header=BB6_3331 Depth=3
	v_cmp_ne_u16_e32 vcc, s96, v11
	v_bfrev_b32_e32 v12, 1
	s_and_saveexec_b64 s[30:31], vcc
	s_cbranch_execz .LBB6_3913
; %bb.3910:                             ;   in Loop: Header=BB6_3331 Depth=3
	v_and_b32_e32 v10, 0xffff, v11
	v_and_b32_e32 v35, 0x7f, v10
	v_cmp_ne_u32_e32 vcc, s86, v35
	v_mov_b32_e32 v12, 0x7f800001
	s_and_saveexec_b64 s[34:35], vcc
	s_cbranch_execz .LBB6_3912
; %bb.3911:                             ;   in Loop: Header=BB6_3331 Depth=3
	v_and_b32_e32 v12, 7, v10
	v_lshrrev_b32_e32 v37, 3, v35
	v_cmp_gt_u32_e32 vcc, 8, v35
	v_ffbh_u32_e32 v35, v12
	v_min_u32_e32 v38, 32, v35
	v_subrev_u32_e32 v35, 28, v38
	v_lshlrev_b64 v[35:36], v35, v[10:11]
	v_sub_u32_e32 v10, 29, v38
	v_and_b32_e32 v35, 7, v35
	v_cndmask_b32_e32 v10, v37, v10, vcc
	v_cndmask_b32_e32 v12, v12, v35, vcc
	v_lshlrev_b32_e32 v11, 24, v11
	v_bfrev_b32_e32 v35, 60
	v_lshlrev_b32_e32 v12, 20, v12
	v_and_b32_e32 v11, 0x80000000, v11
	v_lshl_add_u32 v10, v10, 23, v35
	v_or3_b32 v12, v11, v10, v12
.LBB6_3912:                             ;   in Loop: Header=BB6_3331 Depth=3
	s_or_b64 exec, exec, s[34:35]
.LBB6_3913:                             ;   in Loop: Header=BB6_3331 Depth=3
	s_or_b64 exec, exec, s[30:31]
.LBB6_3914:                             ;   in Loop: Header=BB6_3331 Depth=3
	s_or_b64 exec, exec, s[26:27]
	v_mul_f32_e32 v10, s45, v12
	v_and_b32_e32 v11, 0x7f800000, v10
	v_mov_b32_e32 v12, v51
	v_cmp_ne_u64_e32 vcc, s[76:77], v[11:12]
                                        ; implicit-def: $vgpr35
	s_and_saveexec_b64 s[26:27], vcc
	s_xor_b64 s[30:31], exec, s[26:27]
	s_cbranch_execz .LBB6_3932
; %bb.3915:                             ;   in Loop: Header=BB6_3331 Depth=3
	v_and_b32_e32 v11, 0x7fffffff, v10
	v_mov_b32_e32 v12, v51
	v_cmp_gt_u64_e32 vcc, s[78:79], v[11:12]
	v_and_b32_sdwa v36, v10, s96 dst_sel:DWORD dst_unused:UNUSED_PAD src0_sel:BYTE_3 src1_sel:DWORD
                                        ; implicit-def: $vgpr35
	s_and_saveexec_b64 s[26:27], vcc
	s_xor_b64 s[34:35], exec, s[26:27]
	s_cbranch_execz .LBB6_3929
; %bb.3916:                             ;   in Loop: Header=BB6_3331 Depth=3
	v_cmp_ne_u32_e32 vcc, 0, v10
	v_mov_b32_e32 v35, 0
	s_and_saveexec_b64 s[36:37], vcc
	s_cbranch_execz .LBB6_3928
; %bb.3917:                             ;   in Loop: Header=BB6_3331 Depth=3
	v_bfe_u32 v35, v10, 23, 8
	v_and_b32_e32 v11, 0x7fffff, v10
	v_cmp_gt_u32_e64 s[26:27], s97, v35
	v_sub_u32_e32 v10, 0x79, v35
	v_cmp_eq_u32_e32 vcc, 0, v35
	v_cndmask_b32_e64 v10, 0, v10, s[26:27]
	v_mov_b32_e32 v37, 0x78
	v_or_b32_e32 v12, 0x800000, v11
	v_cndmask_b32_e32 v37, v10, v37, vcc
	v_cndmask_b32_e32 v10, v12, v11, vcc
	v_add_u32_e32 v12, 20, v37
	v_lshlrev_b64 v[38:39], v12, -1
	v_mov_b32_e32 v11, v51
	v_add_u32_e32 v12, 19, v37
	v_bfi_b32 v38, v38, 0, v10
	v_lshlrev_b64 v[48:49], v12, 1
	v_lshrrev_b64 v[10:11], v37, v[10:11]
	v_bfi_b32 v39, v39, 0, 0
	v_cmp_eq_u64_e64 s[26:27], v[38:39], v[48:49]
	v_mov_b32_e32 v12, v11
	v_mov_b32_e32 v11, v10
	s_and_saveexec_b64 s[38:39], s[26:27]
; %bb.3918:                             ;   in Loop: Header=BB6_3331 Depth=3
	v_bfe_u32 v11, v10, 20, 1
	v_add_co_u32_e64 v11, s[26:27], v10, v11
	v_add_co_u32_e64 v11, s[26:27], -1, v11
; %bb.3919:                             ;   in Loop: Header=BB6_3331 Depth=3
	s_or_b64 exec, exec, s[38:39]
	v_add_u32_e32 v12, 0xffffff81, v35
	v_mov_b32_e32 v35, 0xffffff82
	v_cndmask_b32_e32 v12, v12, v35, vcc
	v_lshrrev_b32_e32 v35, 23, v10
	v_add3_u32 v37, v37, v12, v35
	v_add_u32_e32 v35, 6, v37
	v_and_b32_e32 v11, 0xfffff, v11
	v_add_u32_e32 v10, v11, v10
	v_mov_b32_e32 v11, v51
	v_cmp_ne_u32_e32 vcc, 0, v35
                                        ; implicit-def: $vgpr12
	s_and_saveexec_b64 s[26:27], vcc
	s_xor_b64 s[26:27], exec, s[26:27]
; %bb.3920:                             ;   in Loop: Header=BB6_3331 Depth=3
	v_cmp_lt_u64_e32 vcc, s[88:89], v[10:11]
	v_add_u32_e32 v12, 7, v37
	v_cndmask_b32_e32 v12, v35, v12, vcc
	v_cndmask_b32_e64 v35, 0, 1, vcc
	v_lshrrev_b64 v[10:11], v35, v[10:11]
; %bb.3921:                             ;   in Loop: Header=BB6_3331 Depth=3
	s_andn2_saveexec_b64 s[26:27], s[26:27]
; %bb.3922:                             ;   in Loop: Header=BB6_3331 Depth=3
	v_bfe_u32 v12, v10, 23, 1
; %bb.3923:                             ;   in Loop: Header=BB6_3331 Depth=3
	s_or_b64 exec, exec, s[26:27]
	v_lshrrev_b64 v[10:11], 20, v[10:11]
	v_cmp_gt_i32_e32 vcc, 16, v12
	v_cndmask_b32_e32 v11, 0, v11, vcc
	v_cndmask_b32_e32 v10, 7, v10, vcc
	v_cmp_ne_u64_e32 vcc, 0, v[10:11]
	v_cmp_ne_u32_e64 s[26:27], 0, v12
	s_or_b64 s[26:27], s[26:27], vcc
                                        ; implicit-def: $vgpr35
	s_and_saveexec_b64 vcc, s[26:27]
	s_xor_b64 s[26:27], exec, vcc
; %bb.3924:                             ;   in Loop: Header=BB6_3331 Depth=3
	v_min_i32_e32 v11, 15, v12
	v_lshl_or_b32 v11, v11, 3, v36
	v_and_or_b32 v35, v10, 7, v11
                                        ; implicit-def: $vgpr36
; %bb.3925:                             ;   in Loop: Header=BB6_3331 Depth=3
	s_andn2_saveexec_b64 s[26:27], s[26:27]
; %bb.3926:                             ;   in Loop: Header=BB6_3331 Depth=3
	v_mov_b32_e32 v35, v36
; %bb.3927:                             ;   in Loop: Header=BB6_3331 Depth=3
	s_or_b64 exec, exec, s[26:27]
.LBB6_3928:                             ;   in Loop: Header=BB6_3331 Depth=3
	s_or_b64 exec, exec, s[36:37]
                                        ; implicit-def: $vgpr36
.LBB6_3929:                             ;   in Loop: Header=BB6_3331 Depth=3
	s_andn2_saveexec_b64 s[26:27], s[34:35]
; %bb.3930:                             ;   in Loop: Header=BB6_3331 Depth=3
	v_or_b32_e32 v35, 0x7e, v36
; %bb.3931:                             ;   in Loop: Header=BB6_3331 Depth=3
	s_or_b64 exec, exec, s[26:27]
                                        ; implicit-def: $vgpr10
.LBB6_3932:                             ;   in Loop: Header=BB6_3331 Depth=3
	s_andn2_saveexec_b64 s[26:27], s[30:31]
; %bb.3933:                             ;   in Loop: Header=BB6_3331 Depth=3
	v_or_b32_sdwa v35, v10, s86 dst_sel:DWORD dst_unused:UNUSED_PAD src0_sel:BYTE_3 src1_sel:DWORD
; %bb.3934:                             ;   in Loop: Header=BB6_3331 Depth=3
	s_or_b64 exec, exec, s[26:27]
	flat_load_ubyte v11, v[8:9] offset:1472 glc slc
	v_mov_b32_e32 v12, 0
	s_waitcnt vmcnt(0) lgkmcnt(0)
	v_cmp_ne_u16_e32 vcc, 0, v11
	s_and_saveexec_b64 s[26:27], vcc
	s_cbranch_execz .LBB6_3940
; %bb.3935:                             ;   in Loop: Header=BB6_3331 Depth=3
	v_cmp_ne_u16_e32 vcc, s96, v11
	v_bfrev_b32_e32 v12, 1
	s_and_saveexec_b64 s[30:31], vcc
	s_cbranch_execz .LBB6_3939
; %bb.3936:                             ;   in Loop: Header=BB6_3331 Depth=3
	v_and_b32_e32 v10, 0xffff, v11
	v_and_b32_e32 v36, 0x7f, v10
	v_cmp_ne_u32_e32 vcc, s86, v36
	v_mov_b32_e32 v12, 0x7f800001
	s_and_saveexec_b64 s[34:35], vcc
	s_cbranch_execz .LBB6_3938
; %bb.3937:                             ;   in Loop: Header=BB6_3331 Depth=3
	v_and_b32_e32 v12, 7, v10
	v_lshrrev_b32_e32 v38, 3, v36
	v_cmp_gt_u32_e32 vcc, 8, v36
	v_ffbh_u32_e32 v36, v12
	v_min_u32_e32 v39, 32, v36
	v_subrev_u32_e32 v36, 28, v39
	v_lshlrev_b64 v[36:37], v36, v[10:11]
	v_sub_u32_e32 v10, 29, v39
	v_and_b32_e32 v36, 7, v36
	v_cndmask_b32_e32 v10, v38, v10, vcc
	v_cndmask_b32_e32 v12, v12, v36, vcc
	v_lshlrev_b32_e32 v11, 24, v11
	v_bfrev_b32_e32 v36, 60
	v_lshlrev_b32_e32 v12, 20, v12
	v_and_b32_e32 v11, 0x80000000, v11
	v_lshl_add_u32 v10, v10, 23, v36
	v_or3_b32 v12, v11, v10, v12
.LBB6_3938:                             ;   in Loop: Header=BB6_3331 Depth=3
	s_or_b64 exec, exec, s[34:35]
.LBB6_3939:                             ;   in Loop: Header=BB6_3331 Depth=3
	s_or_b64 exec, exec, s[30:31]
.LBB6_3940:                             ;   in Loop: Header=BB6_3331 Depth=3
	s_or_b64 exec, exec, s[26:27]
	v_mul_f32_e32 v10, s45, v12
	v_and_b32_e32 v11, 0x7f800000, v10
	v_mov_b32_e32 v12, v51
	v_cmp_ne_u64_e32 vcc, s[76:77], v[11:12]
                                        ; implicit-def: $vgpr36
	s_and_saveexec_b64 s[26:27], vcc
	s_xor_b64 s[30:31], exec, s[26:27]
	s_cbranch_execz .LBB6_3958
; %bb.3941:                             ;   in Loop: Header=BB6_3331 Depth=3
	v_and_b32_e32 v11, 0x7fffffff, v10
	v_mov_b32_e32 v12, v51
	v_cmp_gt_u64_e32 vcc, s[78:79], v[11:12]
	v_and_b32_sdwa v37, v10, s96 dst_sel:DWORD dst_unused:UNUSED_PAD src0_sel:BYTE_3 src1_sel:DWORD
                                        ; implicit-def: $vgpr36
	s_and_saveexec_b64 s[26:27], vcc
	s_xor_b64 s[34:35], exec, s[26:27]
	s_cbranch_execz .LBB6_3955
; %bb.3942:                             ;   in Loop: Header=BB6_3331 Depth=3
	v_cmp_ne_u32_e32 vcc, 0, v10
	v_mov_b32_e32 v36, 0
	s_and_saveexec_b64 s[36:37], vcc
	s_cbranch_execz .LBB6_3954
; %bb.3943:                             ;   in Loop: Header=BB6_3331 Depth=3
	v_bfe_u32 v36, v10, 23, 8
	v_and_b32_e32 v11, 0x7fffff, v10
	v_cmp_gt_u32_e64 s[26:27], s97, v36
	v_sub_u32_e32 v10, 0x79, v36
	v_cmp_eq_u32_e32 vcc, 0, v36
	v_cndmask_b32_e64 v10, 0, v10, s[26:27]
	v_mov_b32_e32 v38, 0x78
	v_or_b32_e32 v12, 0x800000, v11
	v_cndmask_b32_e32 v38, v10, v38, vcc
	v_cndmask_b32_e32 v10, v12, v11, vcc
	v_add_u32_e32 v12, 20, v38
	v_lshlrev_b64 v[48:49], v12, -1
	v_mov_b32_e32 v11, v51
	v_add_u32_e32 v12, 19, v38
	v_bfi_b32 v48, v48, 0, v10
	v_lshlrev_b64 v[52:53], v12, 1
	v_lshrrev_b64 v[10:11], v38, v[10:11]
	v_bfi_b32 v49, v49, 0, 0
	v_cmp_eq_u64_e64 s[26:27], v[48:49], v[52:53]
	v_mov_b32_e32 v12, v11
	v_mov_b32_e32 v11, v10
	s_and_saveexec_b64 s[38:39], s[26:27]
; %bb.3944:                             ;   in Loop: Header=BB6_3331 Depth=3
	v_bfe_u32 v11, v10, 20, 1
	v_add_co_u32_e64 v11, s[26:27], v10, v11
	v_add_co_u32_e64 v11, s[26:27], -1, v11
; %bb.3945:                             ;   in Loop: Header=BB6_3331 Depth=3
	s_or_b64 exec, exec, s[38:39]
	v_add_u32_e32 v12, 0xffffff81, v36
	v_mov_b32_e32 v36, 0xffffff82
	v_cndmask_b32_e32 v12, v12, v36, vcc
	v_lshrrev_b32_e32 v36, 23, v10
	v_add3_u32 v38, v38, v12, v36
	v_add_u32_e32 v36, 6, v38
	v_and_b32_e32 v11, 0xfffff, v11
	v_add_u32_e32 v10, v11, v10
	v_mov_b32_e32 v11, v51
	v_cmp_ne_u32_e32 vcc, 0, v36
                                        ; implicit-def: $vgpr12
	s_and_saveexec_b64 s[26:27], vcc
	s_xor_b64 s[26:27], exec, s[26:27]
; %bb.3946:                             ;   in Loop: Header=BB6_3331 Depth=3
	v_cmp_lt_u64_e32 vcc, s[88:89], v[10:11]
	v_add_u32_e32 v12, 7, v38
	v_cndmask_b32_e32 v12, v36, v12, vcc
	v_cndmask_b32_e64 v36, 0, 1, vcc
	v_lshrrev_b64 v[10:11], v36, v[10:11]
; %bb.3947:                             ;   in Loop: Header=BB6_3331 Depth=3
	s_andn2_saveexec_b64 s[26:27], s[26:27]
; %bb.3948:                             ;   in Loop: Header=BB6_3331 Depth=3
	v_bfe_u32 v12, v10, 23, 1
; %bb.3949:                             ;   in Loop: Header=BB6_3331 Depth=3
	s_or_b64 exec, exec, s[26:27]
	v_lshrrev_b64 v[10:11], 20, v[10:11]
	v_cmp_gt_i32_e32 vcc, 16, v12
	v_cndmask_b32_e32 v11, 0, v11, vcc
	v_cndmask_b32_e32 v10, 7, v10, vcc
	v_cmp_ne_u64_e32 vcc, 0, v[10:11]
	v_cmp_ne_u32_e64 s[26:27], 0, v12
	s_or_b64 s[26:27], s[26:27], vcc
                                        ; implicit-def: $vgpr36
	s_and_saveexec_b64 vcc, s[26:27]
	s_xor_b64 s[26:27], exec, vcc
; %bb.3950:                             ;   in Loop: Header=BB6_3331 Depth=3
	v_min_i32_e32 v11, 15, v12
	v_lshl_or_b32 v11, v11, 3, v37
	v_and_or_b32 v36, v10, 7, v11
                                        ; implicit-def: $vgpr37
; %bb.3951:                             ;   in Loop: Header=BB6_3331 Depth=3
	s_andn2_saveexec_b64 s[26:27], s[26:27]
; %bb.3952:                             ;   in Loop: Header=BB6_3331 Depth=3
	v_mov_b32_e32 v36, v37
; %bb.3953:                             ;   in Loop: Header=BB6_3331 Depth=3
	s_or_b64 exec, exec, s[26:27]
.LBB6_3954:                             ;   in Loop: Header=BB6_3331 Depth=3
	s_or_b64 exec, exec, s[36:37]
                                        ; implicit-def: $vgpr37
.LBB6_3955:                             ;   in Loop: Header=BB6_3331 Depth=3
	s_andn2_saveexec_b64 s[26:27], s[34:35]
; %bb.3956:                             ;   in Loop: Header=BB6_3331 Depth=3
	v_or_b32_e32 v36, 0x7e, v37
; %bb.3957:                             ;   in Loop: Header=BB6_3331 Depth=3
	s_or_b64 exec, exec, s[26:27]
                                        ; implicit-def: $vgpr10
.LBB6_3958:                             ;   in Loop: Header=BB6_3331 Depth=3
	s_andn2_saveexec_b64 s[26:27], s[30:31]
; %bb.3959:                             ;   in Loop: Header=BB6_3331 Depth=3
	v_or_b32_sdwa v36, v10, s86 dst_sel:DWORD dst_unused:UNUSED_PAD src0_sel:BYTE_3 src1_sel:DWORD
; %bb.3960:                             ;   in Loop: Header=BB6_3331 Depth=3
	s_or_b64 exec, exec, s[26:27]
	flat_load_ubyte v11, v[8:9] offset:1536 glc slc
	v_mov_b32_e32 v12, 0
	s_waitcnt vmcnt(0) lgkmcnt(0)
	v_cmp_ne_u16_e32 vcc, 0, v11
	s_and_saveexec_b64 s[26:27], vcc
	s_cbranch_execz .LBB6_3966
; %bb.3961:                             ;   in Loop: Header=BB6_3331 Depth=3
	v_cmp_ne_u16_e32 vcc, s96, v11
	v_bfrev_b32_e32 v12, 1
	s_and_saveexec_b64 s[30:31], vcc
	s_cbranch_execz .LBB6_3965
; %bb.3962:                             ;   in Loop: Header=BB6_3331 Depth=3
	v_and_b32_e32 v10, 0xffff, v11
	v_and_b32_e32 v37, 0x7f, v10
	v_cmp_ne_u32_e32 vcc, s86, v37
	v_mov_b32_e32 v12, 0x7f800001
	s_and_saveexec_b64 s[34:35], vcc
	s_cbranch_execz .LBB6_3964
; %bb.3963:                             ;   in Loop: Header=BB6_3331 Depth=3
	v_and_b32_e32 v12, 7, v10
	v_lshrrev_b32_e32 v39, 3, v37
	v_cmp_gt_u32_e32 vcc, 8, v37
	v_ffbh_u32_e32 v37, v12
	v_min_u32_e32 v48, 32, v37
	v_subrev_u32_e32 v37, 28, v48
	v_lshlrev_b64 v[37:38], v37, v[10:11]
	v_sub_u32_e32 v10, 29, v48
	v_and_b32_e32 v37, 7, v37
	v_cndmask_b32_e32 v10, v39, v10, vcc
	v_cndmask_b32_e32 v12, v12, v37, vcc
	v_lshlrev_b32_e32 v11, 24, v11
	v_bfrev_b32_e32 v37, 60
	v_lshlrev_b32_e32 v12, 20, v12
	v_and_b32_e32 v11, 0x80000000, v11
	v_lshl_add_u32 v10, v10, 23, v37
	v_or3_b32 v12, v11, v10, v12
.LBB6_3964:                             ;   in Loop: Header=BB6_3331 Depth=3
	s_or_b64 exec, exec, s[34:35]
.LBB6_3965:                             ;   in Loop: Header=BB6_3331 Depth=3
	s_or_b64 exec, exec, s[30:31]
.LBB6_3966:                             ;   in Loop: Header=BB6_3331 Depth=3
	s_or_b64 exec, exec, s[26:27]
	v_mul_f32_e32 v10, s45, v12
	v_and_b32_e32 v11, 0x7f800000, v10
	v_mov_b32_e32 v12, v51
	v_cmp_ne_u64_e32 vcc, s[76:77], v[11:12]
                                        ; implicit-def: $vgpr37
	s_and_saveexec_b64 s[26:27], vcc
	s_xor_b64 s[30:31], exec, s[26:27]
	s_cbranch_execz .LBB6_3984
; %bb.3967:                             ;   in Loop: Header=BB6_3331 Depth=3
	v_and_b32_e32 v11, 0x7fffffff, v10
	v_mov_b32_e32 v12, v51
	v_cmp_gt_u64_e32 vcc, s[78:79], v[11:12]
	v_and_b32_sdwa v38, v10, s96 dst_sel:DWORD dst_unused:UNUSED_PAD src0_sel:BYTE_3 src1_sel:DWORD
                                        ; implicit-def: $vgpr37
	s_and_saveexec_b64 s[26:27], vcc
	s_xor_b64 s[34:35], exec, s[26:27]
	s_cbranch_execz .LBB6_3981
; %bb.3968:                             ;   in Loop: Header=BB6_3331 Depth=3
	v_cmp_ne_u32_e32 vcc, 0, v10
	v_mov_b32_e32 v37, 0
	s_and_saveexec_b64 s[36:37], vcc
	s_cbranch_execz .LBB6_3980
; %bb.3969:                             ;   in Loop: Header=BB6_3331 Depth=3
	v_bfe_u32 v37, v10, 23, 8
	v_and_b32_e32 v11, 0x7fffff, v10
	v_cmp_gt_u32_e64 s[26:27], s97, v37
	v_sub_u32_e32 v10, 0x79, v37
	v_cmp_eq_u32_e32 vcc, 0, v37
	v_cndmask_b32_e64 v10, 0, v10, s[26:27]
	v_mov_b32_e32 v39, 0x78
	v_or_b32_e32 v12, 0x800000, v11
	v_cndmask_b32_e32 v39, v10, v39, vcc
	v_cndmask_b32_e32 v10, v12, v11, vcc
	v_add_u32_e32 v12, 20, v39
	v_lshlrev_b64 v[48:49], v12, -1
	v_mov_b32_e32 v11, v51
	v_add_u32_e32 v12, 19, v39
	v_bfi_b32 v48, v48, 0, v10
	v_lshlrev_b64 v[52:53], v12, 1
	v_lshrrev_b64 v[10:11], v39, v[10:11]
	v_bfi_b32 v49, v49, 0, 0
	v_cmp_eq_u64_e64 s[26:27], v[48:49], v[52:53]
	v_mov_b32_e32 v12, v11
	v_mov_b32_e32 v11, v10
	s_and_saveexec_b64 s[38:39], s[26:27]
; %bb.3970:                             ;   in Loop: Header=BB6_3331 Depth=3
	v_bfe_u32 v11, v10, 20, 1
	v_add_co_u32_e64 v11, s[26:27], v10, v11
	v_add_co_u32_e64 v11, s[26:27], -1, v11
; %bb.3971:                             ;   in Loop: Header=BB6_3331 Depth=3
	s_or_b64 exec, exec, s[38:39]
	v_add_u32_e32 v12, 0xffffff81, v37
	v_mov_b32_e32 v37, 0xffffff82
	v_cndmask_b32_e32 v12, v12, v37, vcc
	v_lshrrev_b32_e32 v37, 23, v10
	v_add3_u32 v39, v39, v12, v37
	v_add_u32_e32 v37, 6, v39
	v_and_b32_e32 v11, 0xfffff, v11
	v_add_u32_e32 v10, v11, v10
	v_mov_b32_e32 v11, v51
	v_cmp_ne_u32_e32 vcc, 0, v37
                                        ; implicit-def: $vgpr12
	s_and_saveexec_b64 s[26:27], vcc
	s_xor_b64 s[26:27], exec, s[26:27]
; %bb.3972:                             ;   in Loop: Header=BB6_3331 Depth=3
	v_cmp_lt_u64_e32 vcc, s[88:89], v[10:11]
	v_add_u32_e32 v12, 7, v39
	v_cndmask_b32_e32 v12, v37, v12, vcc
	v_cndmask_b32_e64 v37, 0, 1, vcc
	v_lshrrev_b64 v[10:11], v37, v[10:11]
; %bb.3973:                             ;   in Loop: Header=BB6_3331 Depth=3
	s_andn2_saveexec_b64 s[26:27], s[26:27]
; %bb.3974:                             ;   in Loop: Header=BB6_3331 Depth=3
	v_bfe_u32 v12, v10, 23, 1
; %bb.3975:                             ;   in Loop: Header=BB6_3331 Depth=3
	s_or_b64 exec, exec, s[26:27]
	v_lshrrev_b64 v[10:11], 20, v[10:11]
	v_cmp_gt_i32_e32 vcc, 16, v12
	v_cndmask_b32_e32 v11, 0, v11, vcc
	v_cndmask_b32_e32 v10, 7, v10, vcc
	v_cmp_ne_u64_e32 vcc, 0, v[10:11]
	v_cmp_ne_u32_e64 s[26:27], 0, v12
	s_or_b64 s[26:27], s[26:27], vcc
                                        ; implicit-def: $vgpr37
	s_and_saveexec_b64 vcc, s[26:27]
	s_xor_b64 s[26:27], exec, vcc
; %bb.3976:                             ;   in Loop: Header=BB6_3331 Depth=3
	v_min_i32_e32 v11, 15, v12
	v_lshl_or_b32 v11, v11, 3, v38
	v_and_or_b32 v37, v10, 7, v11
                                        ; implicit-def: $vgpr38
; %bb.3977:                             ;   in Loop: Header=BB6_3331 Depth=3
	s_andn2_saveexec_b64 s[26:27], s[26:27]
; %bb.3978:                             ;   in Loop: Header=BB6_3331 Depth=3
	v_mov_b32_e32 v37, v38
; %bb.3979:                             ;   in Loop: Header=BB6_3331 Depth=3
	s_or_b64 exec, exec, s[26:27]
.LBB6_3980:                             ;   in Loop: Header=BB6_3331 Depth=3
	s_or_b64 exec, exec, s[36:37]
                                        ; implicit-def: $vgpr38
.LBB6_3981:                             ;   in Loop: Header=BB6_3331 Depth=3
	s_andn2_saveexec_b64 s[26:27], s[34:35]
; %bb.3982:                             ;   in Loop: Header=BB6_3331 Depth=3
	v_or_b32_e32 v37, 0x7e, v38
; %bb.3983:                             ;   in Loop: Header=BB6_3331 Depth=3
	s_or_b64 exec, exec, s[26:27]
                                        ; implicit-def: $vgpr10
.LBB6_3984:                             ;   in Loop: Header=BB6_3331 Depth=3
	s_andn2_saveexec_b64 s[26:27], s[30:31]
; %bb.3985:                             ;   in Loop: Header=BB6_3331 Depth=3
	v_or_b32_sdwa v37, v10, s86 dst_sel:DWORD dst_unused:UNUSED_PAD src0_sel:BYTE_3 src1_sel:DWORD
; %bb.3986:                             ;   in Loop: Header=BB6_3331 Depth=3
	s_or_b64 exec, exec, s[26:27]
	flat_load_ubyte v11, v[8:9] offset:1600 glc slc
	v_mov_b32_e32 v12, 0
	s_waitcnt vmcnt(0) lgkmcnt(0)
	v_cmp_ne_u16_e32 vcc, 0, v11
	s_and_saveexec_b64 s[26:27], vcc
	s_cbranch_execz .LBB6_3992
; %bb.3987:                             ;   in Loop: Header=BB6_3331 Depth=3
	v_cmp_ne_u16_e32 vcc, s96, v11
	v_bfrev_b32_e32 v12, 1
	s_and_saveexec_b64 s[30:31], vcc
	s_cbranch_execz .LBB6_3991
; %bb.3988:                             ;   in Loop: Header=BB6_3331 Depth=3
	v_and_b32_e32 v10, 0xffff, v11
	v_and_b32_e32 v38, 0x7f, v10
	v_cmp_ne_u32_e32 vcc, s86, v38
	v_mov_b32_e32 v12, 0x7f800001
	s_and_saveexec_b64 s[34:35], vcc
	s_cbranch_execz .LBB6_3990
; %bb.3989:                             ;   in Loop: Header=BB6_3331 Depth=3
	v_and_b32_e32 v12, 7, v10
	v_lshrrev_b32_e32 v48, 3, v38
	v_cmp_gt_u32_e32 vcc, 8, v38
	v_ffbh_u32_e32 v38, v12
	v_min_u32_e32 v49, 32, v38
	v_subrev_u32_e32 v38, 28, v49
	v_lshlrev_b64 v[38:39], v38, v[10:11]
	v_sub_u32_e32 v10, 29, v49
	v_and_b32_e32 v38, 7, v38
	v_cndmask_b32_e32 v10, v48, v10, vcc
	v_cndmask_b32_e32 v12, v12, v38, vcc
	v_lshlrev_b32_e32 v11, 24, v11
	v_bfrev_b32_e32 v38, 60
	v_lshlrev_b32_e32 v12, 20, v12
	v_and_b32_e32 v11, 0x80000000, v11
	v_lshl_add_u32 v10, v10, 23, v38
	v_or3_b32 v12, v11, v10, v12
.LBB6_3990:                             ;   in Loop: Header=BB6_3331 Depth=3
	s_or_b64 exec, exec, s[34:35]
.LBB6_3991:                             ;   in Loop: Header=BB6_3331 Depth=3
	s_or_b64 exec, exec, s[30:31]
.LBB6_3992:                             ;   in Loop: Header=BB6_3331 Depth=3
	s_or_b64 exec, exec, s[26:27]
	v_mul_f32_e32 v10, s45, v12
	v_and_b32_e32 v11, 0x7f800000, v10
	v_mov_b32_e32 v12, v51
	v_cmp_ne_u64_e32 vcc, s[76:77], v[11:12]
                                        ; implicit-def: $vgpr38
	s_and_saveexec_b64 s[26:27], vcc
	s_xor_b64 s[30:31], exec, s[26:27]
	s_cbranch_execz .LBB6_4010
; %bb.3993:                             ;   in Loop: Header=BB6_3331 Depth=3
	v_and_b32_e32 v11, 0x7fffffff, v10
	v_mov_b32_e32 v12, v51
	v_cmp_gt_u64_e32 vcc, s[78:79], v[11:12]
	v_and_b32_sdwa v39, v10, s96 dst_sel:DWORD dst_unused:UNUSED_PAD src0_sel:BYTE_3 src1_sel:DWORD
                                        ; implicit-def: $vgpr38
	s_and_saveexec_b64 s[26:27], vcc
	s_xor_b64 s[34:35], exec, s[26:27]
	s_cbranch_execz .LBB6_4007
; %bb.3994:                             ;   in Loop: Header=BB6_3331 Depth=3
	v_cmp_ne_u32_e32 vcc, 0, v10
	v_mov_b32_e32 v38, 0
	s_and_saveexec_b64 s[36:37], vcc
	s_cbranch_execz .LBB6_4006
; %bb.3995:                             ;   in Loop: Header=BB6_3331 Depth=3
	v_bfe_u32 v38, v10, 23, 8
	v_and_b32_e32 v11, 0x7fffff, v10
	v_cmp_gt_u32_e64 s[26:27], s97, v38
	v_sub_u32_e32 v10, 0x79, v38
	v_cmp_eq_u32_e32 vcc, 0, v38
	v_cndmask_b32_e64 v10, 0, v10, s[26:27]
	v_mov_b32_e32 v48, 0x78
	v_or_b32_e32 v12, 0x800000, v11
	v_cndmask_b32_e32 v48, v10, v48, vcc
	v_cndmask_b32_e32 v10, v12, v11, vcc
	v_add_u32_e32 v12, 20, v48
	v_lshlrev_b64 v[49:50], v12, -1
	v_mov_b32_e32 v11, v51
	v_add_u32_e32 v12, 19, v48
	v_bfi_b32 v49, v49, 0, v10
	v_lshlrev_b64 v[52:53], v12, 1
	v_lshrrev_b64 v[10:11], v48, v[10:11]
	v_bfi_b32 v50, v50, 0, 0
	v_cmp_eq_u64_e64 s[26:27], v[49:50], v[52:53]
	v_mov_b32_e32 v12, v11
	v_mov_b32_e32 v11, v10
	s_and_saveexec_b64 s[38:39], s[26:27]
; %bb.3996:                             ;   in Loop: Header=BB6_3331 Depth=3
	v_bfe_u32 v11, v10, 20, 1
	v_add_co_u32_e64 v11, s[26:27], v10, v11
	v_add_co_u32_e64 v11, s[26:27], -1, v11
; %bb.3997:                             ;   in Loop: Header=BB6_3331 Depth=3
	s_or_b64 exec, exec, s[38:39]
	v_add_u32_e32 v12, 0xffffff81, v38
	v_mov_b32_e32 v38, 0xffffff82
	v_cndmask_b32_e32 v12, v12, v38, vcc
	v_lshrrev_b32_e32 v38, 23, v10
	v_add3_u32 v48, v48, v12, v38
	v_add_u32_e32 v38, 6, v48
	v_and_b32_e32 v11, 0xfffff, v11
	v_add_u32_e32 v10, v11, v10
	v_mov_b32_e32 v11, v51
	v_cmp_ne_u32_e32 vcc, 0, v38
                                        ; implicit-def: $vgpr12
	s_and_saveexec_b64 s[26:27], vcc
	s_xor_b64 s[26:27], exec, s[26:27]
; %bb.3998:                             ;   in Loop: Header=BB6_3331 Depth=3
	v_cmp_lt_u64_e32 vcc, s[88:89], v[10:11]
	v_add_u32_e32 v12, 7, v48
	v_cndmask_b32_e32 v12, v38, v12, vcc
	v_cndmask_b32_e64 v38, 0, 1, vcc
	v_lshrrev_b64 v[10:11], v38, v[10:11]
; %bb.3999:                             ;   in Loop: Header=BB6_3331 Depth=3
	s_andn2_saveexec_b64 s[26:27], s[26:27]
; %bb.4000:                             ;   in Loop: Header=BB6_3331 Depth=3
	v_bfe_u32 v12, v10, 23, 1
; %bb.4001:                             ;   in Loop: Header=BB6_3331 Depth=3
	s_or_b64 exec, exec, s[26:27]
	v_lshrrev_b64 v[10:11], 20, v[10:11]
	v_cmp_gt_i32_e32 vcc, 16, v12
	v_cndmask_b32_e32 v11, 0, v11, vcc
	v_cndmask_b32_e32 v10, 7, v10, vcc
	v_cmp_ne_u64_e32 vcc, 0, v[10:11]
	v_cmp_ne_u32_e64 s[26:27], 0, v12
	s_or_b64 s[26:27], s[26:27], vcc
                                        ; implicit-def: $vgpr38
	s_and_saveexec_b64 vcc, s[26:27]
	s_xor_b64 s[26:27], exec, vcc
; %bb.4002:                             ;   in Loop: Header=BB6_3331 Depth=3
	v_min_i32_e32 v11, 15, v12
	v_lshl_or_b32 v11, v11, 3, v39
	v_and_or_b32 v38, v10, 7, v11
                                        ; implicit-def: $vgpr39
; %bb.4003:                             ;   in Loop: Header=BB6_3331 Depth=3
	s_andn2_saveexec_b64 s[26:27], s[26:27]
; %bb.4004:                             ;   in Loop: Header=BB6_3331 Depth=3
	v_mov_b32_e32 v38, v39
; %bb.4005:                             ;   in Loop: Header=BB6_3331 Depth=3
	s_or_b64 exec, exec, s[26:27]
.LBB6_4006:                             ;   in Loop: Header=BB6_3331 Depth=3
	s_or_b64 exec, exec, s[36:37]
                                        ; implicit-def: $vgpr39
.LBB6_4007:                             ;   in Loop: Header=BB6_3331 Depth=3
	s_andn2_saveexec_b64 s[26:27], s[34:35]
; %bb.4008:                             ;   in Loop: Header=BB6_3331 Depth=3
	v_or_b32_e32 v38, 0x7e, v39
; %bb.4009:                             ;   in Loop: Header=BB6_3331 Depth=3
	s_or_b64 exec, exec, s[26:27]
                                        ; implicit-def: $vgpr10
.LBB6_4010:                             ;   in Loop: Header=BB6_3331 Depth=3
	s_andn2_saveexec_b64 s[26:27], s[30:31]
; %bb.4011:                             ;   in Loop: Header=BB6_3331 Depth=3
	v_or_b32_sdwa v38, v10, s86 dst_sel:DWORD dst_unused:UNUSED_PAD src0_sel:BYTE_3 src1_sel:DWORD
; %bb.4012:                             ;   in Loop: Header=BB6_3331 Depth=3
	s_or_b64 exec, exec, s[26:27]
	flat_load_ubyte v11, v[8:9] offset:1664 glc slc
	v_mov_b32_e32 v12, 0
	s_waitcnt vmcnt(0) lgkmcnt(0)
	v_cmp_ne_u16_e32 vcc, 0, v11
	s_and_saveexec_b64 s[26:27], vcc
	s_cbranch_execz .LBB6_4018
; %bb.4013:                             ;   in Loop: Header=BB6_3331 Depth=3
	v_cmp_ne_u16_e32 vcc, s96, v11
	v_bfrev_b32_e32 v12, 1
	s_and_saveexec_b64 s[30:31], vcc
	s_cbranch_execz .LBB6_4017
; %bb.4014:                             ;   in Loop: Header=BB6_3331 Depth=3
	v_and_b32_e32 v10, 0xffff, v11
	v_and_b32_e32 v39, 0x7f, v10
	v_cmp_ne_u32_e32 vcc, s86, v39
	v_mov_b32_e32 v12, 0x7f800001
	s_and_saveexec_b64 s[34:35], vcc
	s_cbranch_execz .LBB6_4016
; %bb.4015:                             ;   in Loop: Header=BB6_3331 Depth=3
	v_and_b32_e32 v12, 7, v10
	v_lshrrev_b32_e32 v50, 3, v39
	v_cmp_gt_u32_e32 vcc, 8, v39
	v_ffbh_u32_e32 v39, v12
	v_min_u32_e32 v39, 32, v39
	v_subrev_u32_e32 v48, 28, v39
	v_lshlrev_b64 v[48:49], v48, v[10:11]
	v_sub_u32_e32 v10, 29, v39
	v_and_b32_e32 v39, 7, v48
	v_cndmask_b32_e32 v10, v50, v10, vcc
	v_cndmask_b32_e32 v12, v12, v39, vcc
	v_lshlrev_b32_e32 v11, 24, v11
	v_bfrev_b32_e32 v39, 60
	v_lshlrev_b32_e32 v12, 20, v12
	v_and_b32_e32 v11, 0x80000000, v11
	v_lshl_add_u32 v10, v10, 23, v39
	v_or3_b32 v12, v11, v10, v12
.LBB6_4016:                             ;   in Loop: Header=BB6_3331 Depth=3
	s_or_b64 exec, exec, s[34:35]
.LBB6_4017:                             ;   in Loop: Header=BB6_3331 Depth=3
	s_or_b64 exec, exec, s[30:31]
.LBB6_4018:                             ;   in Loop: Header=BB6_3331 Depth=3
	s_or_b64 exec, exec, s[26:27]
	v_mul_f32_e32 v10, s45, v12
	v_and_b32_e32 v11, 0x7f800000, v10
	v_mov_b32_e32 v12, v51
	v_cmp_ne_u64_e32 vcc, s[76:77], v[11:12]
                                        ; implicit-def: $vgpr39
	s_and_saveexec_b64 s[26:27], vcc
	s_xor_b64 s[30:31], exec, s[26:27]
	s_cbranch_execz .LBB6_4036
; %bb.4019:                             ;   in Loop: Header=BB6_3331 Depth=3
	v_and_b32_e32 v11, 0x7fffffff, v10
	v_mov_b32_e32 v12, v51
	v_cmp_gt_u64_e32 vcc, s[78:79], v[11:12]
	v_and_b32_sdwa v48, v10, s96 dst_sel:DWORD dst_unused:UNUSED_PAD src0_sel:BYTE_3 src1_sel:DWORD
                                        ; implicit-def: $vgpr39
	s_and_saveexec_b64 s[26:27], vcc
	s_xor_b64 s[34:35], exec, s[26:27]
	s_cbranch_execz .LBB6_4033
; %bb.4020:                             ;   in Loop: Header=BB6_3331 Depth=3
	v_cmp_ne_u32_e32 vcc, 0, v10
	v_mov_b32_e32 v39, 0
	s_and_saveexec_b64 s[36:37], vcc
	s_cbranch_execz .LBB6_4032
; %bb.4021:                             ;   in Loop: Header=BB6_3331 Depth=3
	v_bfe_u32 v39, v10, 23, 8
	v_and_b32_e32 v11, 0x7fffff, v10
	v_cmp_gt_u32_e64 s[26:27], s97, v39
	v_sub_u32_e32 v10, 0x79, v39
	v_cmp_eq_u32_e32 vcc, 0, v39
	v_cndmask_b32_e64 v10, 0, v10, s[26:27]
	v_mov_b32_e32 v49, 0x78
	v_or_b32_e32 v12, 0x800000, v11
	v_cndmask_b32_e32 v49, v10, v49, vcc
	v_cndmask_b32_e32 v10, v12, v11, vcc
	v_add_u32_e32 v12, 20, v49
	v_lshlrev_b64 v[52:53], v12, -1
	v_mov_b32_e32 v11, v51
	v_add_u32_e32 v12, 19, v49
	v_bfi_b32 v52, v52, 0, v10
	v_lshlrev_b64 v[54:55], v12, 1
	v_lshrrev_b64 v[10:11], v49, v[10:11]
	v_bfi_b32 v53, v53, 0, 0
	v_cmp_eq_u64_e64 s[26:27], v[52:53], v[54:55]
	v_mov_b32_e32 v12, v11
	v_mov_b32_e32 v11, v10
	s_and_saveexec_b64 s[38:39], s[26:27]
; %bb.4022:                             ;   in Loop: Header=BB6_3331 Depth=3
	v_bfe_u32 v11, v10, 20, 1
	v_add_co_u32_e64 v11, s[26:27], v10, v11
	v_add_co_u32_e64 v11, s[26:27], -1, v11
; %bb.4023:                             ;   in Loop: Header=BB6_3331 Depth=3
	s_or_b64 exec, exec, s[38:39]
	v_add_u32_e32 v12, 0xffffff81, v39
	v_mov_b32_e32 v39, 0xffffff82
	v_cndmask_b32_e32 v12, v12, v39, vcc
	v_lshrrev_b32_e32 v39, 23, v10
	v_add3_u32 v49, v49, v12, v39
	v_add_u32_e32 v39, 6, v49
	v_and_b32_e32 v11, 0xfffff, v11
	v_add_u32_e32 v10, v11, v10
	v_mov_b32_e32 v11, v51
	v_cmp_ne_u32_e32 vcc, 0, v39
                                        ; implicit-def: $vgpr12
	s_and_saveexec_b64 s[26:27], vcc
	s_xor_b64 s[26:27], exec, s[26:27]
; %bb.4024:                             ;   in Loop: Header=BB6_3331 Depth=3
	v_cmp_lt_u64_e32 vcc, s[88:89], v[10:11]
	v_add_u32_e32 v12, 7, v49
	v_cndmask_b32_e32 v12, v39, v12, vcc
	v_cndmask_b32_e64 v39, 0, 1, vcc
	v_lshrrev_b64 v[10:11], v39, v[10:11]
; %bb.4025:                             ;   in Loop: Header=BB6_3331 Depth=3
	s_andn2_saveexec_b64 s[26:27], s[26:27]
; %bb.4026:                             ;   in Loop: Header=BB6_3331 Depth=3
	v_bfe_u32 v12, v10, 23, 1
; %bb.4027:                             ;   in Loop: Header=BB6_3331 Depth=3
	s_or_b64 exec, exec, s[26:27]
	v_lshrrev_b64 v[10:11], 20, v[10:11]
	v_cmp_gt_i32_e32 vcc, 16, v12
	v_cndmask_b32_e32 v11, 0, v11, vcc
	v_cndmask_b32_e32 v10, 7, v10, vcc
	v_cmp_ne_u64_e32 vcc, 0, v[10:11]
	v_cmp_ne_u32_e64 s[26:27], 0, v12
	s_or_b64 s[26:27], s[26:27], vcc
                                        ; implicit-def: $vgpr39
	s_and_saveexec_b64 vcc, s[26:27]
	s_xor_b64 s[26:27], exec, vcc
; %bb.4028:                             ;   in Loop: Header=BB6_3331 Depth=3
	v_min_i32_e32 v11, 15, v12
	v_lshl_or_b32 v11, v11, 3, v48
	v_and_or_b32 v39, v10, 7, v11
                                        ; implicit-def: $vgpr48
; %bb.4029:                             ;   in Loop: Header=BB6_3331 Depth=3
	s_andn2_saveexec_b64 s[26:27], s[26:27]
; %bb.4030:                             ;   in Loop: Header=BB6_3331 Depth=3
	v_mov_b32_e32 v39, v48
; %bb.4031:                             ;   in Loop: Header=BB6_3331 Depth=3
	s_or_b64 exec, exec, s[26:27]
.LBB6_4032:                             ;   in Loop: Header=BB6_3331 Depth=3
	s_or_b64 exec, exec, s[36:37]
                                        ; implicit-def: $vgpr48
.LBB6_4033:                             ;   in Loop: Header=BB6_3331 Depth=3
	s_andn2_saveexec_b64 s[26:27], s[34:35]
; %bb.4034:                             ;   in Loop: Header=BB6_3331 Depth=3
	v_or_b32_e32 v39, 0x7e, v48
; %bb.4035:                             ;   in Loop: Header=BB6_3331 Depth=3
	s_or_b64 exec, exec, s[26:27]
                                        ; implicit-def: $vgpr10
.LBB6_4036:                             ;   in Loop: Header=BB6_3331 Depth=3
	s_andn2_saveexec_b64 s[26:27], s[30:31]
; %bb.4037:                             ;   in Loop: Header=BB6_3331 Depth=3
	v_or_b32_sdwa v39, v10, s86 dst_sel:DWORD dst_unused:UNUSED_PAD src0_sel:BYTE_3 src1_sel:DWORD
; %bb.4038:                             ;   in Loop: Header=BB6_3331 Depth=3
	s_or_b64 exec, exec, s[26:27]
	flat_load_ubyte v11, v[8:9] offset:1728 glc slc
	v_mov_b32_e32 v12, 0
	s_waitcnt vmcnt(0) lgkmcnt(0)
	v_cmp_ne_u16_e32 vcc, 0, v11
	s_and_saveexec_b64 s[26:27], vcc
	s_cbranch_execz .LBB6_4044
; %bb.4039:                             ;   in Loop: Header=BB6_3331 Depth=3
	v_cmp_ne_u16_e32 vcc, s96, v11
	v_bfrev_b32_e32 v12, 1
	s_and_saveexec_b64 s[30:31], vcc
	s_cbranch_execz .LBB6_4043
; %bb.4040:                             ;   in Loop: Header=BB6_3331 Depth=3
	v_and_b32_e32 v10, 0xffff, v11
	v_and_b32_e32 v48, 0x7f, v10
	v_cmp_ne_u32_e32 vcc, s86, v48
	v_mov_b32_e32 v12, 0x7f800001
	s_and_saveexec_b64 s[34:35], vcc
	s_cbranch_execz .LBB6_4042
; %bb.4041:                             ;   in Loop: Header=BB6_3331 Depth=3
	v_and_b32_e32 v12, 7, v10
	v_lshrrev_b32_e32 v50, 3, v48
	v_cmp_gt_u32_e32 vcc, 8, v48
	v_ffbh_u32_e32 v48, v12
	v_min_u32_e32 v52, 32, v48
	v_subrev_u32_e32 v48, 28, v52
	v_lshlrev_b64 v[48:49], v48, v[10:11]
	v_sub_u32_e32 v10, 29, v52
	v_and_b32_e32 v48, 7, v48
	v_cndmask_b32_e32 v10, v50, v10, vcc
	v_cndmask_b32_e32 v12, v12, v48, vcc
	v_lshlrev_b32_e32 v11, 24, v11
	v_bfrev_b32_e32 v48, 60
	v_lshlrev_b32_e32 v12, 20, v12
	v_and_b32_e32 v11, 0x80000000, v11
	v_lshl_add_u32 v10, v10, 23, v48
	v_or3_b32 v12, v11, v10, v12
.LBB6_4042:                             ;   in Loop: Header=BB6_3331 Depth=3
	s_or_b64 exec, exec, s[34:35]
.LBB6_4043:                             ;   in Loop: Header=BB6_3331 Depth=3
	s_or_b64 exec, exec, s[30:31]
.LBB6_4044:                             ;   in Loop: Header=BB6_3331 Depth=3
	s_or_b64 exec, exec, s[26:27]
	v_mul_f32_e32 v10, s45, v12
	v_and_b32_e32 v11, 0x7f800000, v10
	v_mov_b32_e32 v12, v51
	v_cmp_ne_u64_e32 vcc, s[76:77], v[11:12]
                                        ; implicit-def: $vgpr48
	s_and_saveexec_b64 s[26:27], vcc
	s_xor_b64 s[30:31], exec, s[26:27]
	s_cbranch_execz .LBB6_4062
; %bb.4045:                             ;   in Loop: Header=BB6_3331 Depth=3
	v_and_b32_e32 v11, 0x7fffffff, v10
	v_mov_b32_e32 v12, v51
	v_cmp_gt_u64_e32 vcc, s[78:79], v[11:12]
	v_and_b32_sdwa v49, v10, s96 dst_sel:DWORD dst_unused:UNUSED_PAD src0_sel:BYTE_3 src1_sel:DWORD
                                        ; implicit-def: $vgpr48
	s_and_saveexec_b64 s[26:27], vcc
	s_xor_b64 s[34:35], exec, s[26:27]
	s_cbranch_execz .LBB6_4059
; %bb.4046:                             ;   in Loop: Header=BB6_3331 Depth=3
	v_cmp_ne_u32_e32 vcc, 0, v10
	v_mov_b32_e32 v48, 0
	s_and_saveexec_b64 s[36:37], vcc
	s_cbranch_execz .LBB6_4058
; %bb.4047:                             ;   in Loop: Header=BB6_3331 Depth=3
	v_bfe_u32 v48, v10, 23, 8
	v_and_b32_e32 v11, 0x7fffff, v10
	v_cmp_gt_u32_e64 s[26:27], s97, v48
	v_sub_u32_e32 v10, 0x79, v48
	v_cmp_eq_u32_e32 vcc, 0, v48
	v_cndmask_b32_e64 v10, 0, v10, s[26:27]
	v_mov_b32_e32 v50, 0x78
	v_or_b32_e32 v12, 0x800000, v11
	v_cndmask_b32_e32 v50, v10, v50, vcc
	v_cndmask_b32_e32 v10, v12, v11, vcc
	v_add_u32_e32 v12, 20, v50
	v_lshlrev_b64 v[52:53], v12, -1
	v_mov_b32_e32 v11, v51
	v_add_u32_e32 v12, 19, v50
	v_bfi_b32 v52, v52, 0, v10
	v_lshlrev_b64 v[54:55], v12, 1
	v_lshrrev_b64 v[10:11], v50, v[10:11]
	v_bfi_b32 v53, v53, 0, 0
	v_cmp_eq_u64_e64 s[26:27], v[52:53], v[54:55]
	v_mov_b32_e32 v12, v11
	v_mov_b32_e32 v11, v10
	s_and_saveexec_b64 s[38:39], s[26:27]
; %bb.4048:                             ;   in Loop: Header=BB6_3331 Depth=3
	v_bfe_u32 v11, v10, 20, 1
	v_add_co_u32_e64 v11, s[26:27], v10, v11
	v_add_co_u32_e64 v11, s[26:27], -1, v11
; %bb.4049:                             ;   in Loop: Header=BB6_3331 Depth=3
	s_or_b64 exec, exec, s[38:39]
	v_add_u32_e32 v12, 0xffffff81, v48
	v_mov_b32_e32 v48, 0xffffff82
	v_cndmask_b32_e32 v12, v12, v48, vcc
	v_lshrrev_b32_e32 v48, 23, v10
	v_add3_u32 v50, v50, v12, v48
	v_add_u32_e32 v48, 6, v50
	v_and_b32_e32 v11, 0xfffff, v11
	v_add_u32_e32 v10, v11, v10
	v_mov_b32_e32 v11, v51
	v_cmp_ne_u32_e32 vcc, 0, v48
                                        ; implicit-def: $vgpr12
	s_and_saveexec_b64 s[26:27], vcc
	s_xor_b64 s[26:27], exec, s[26:27]
; %bb.4050:                             ;   in Loop: Header=BB6_3331 Depth=3
	v_cmp_lt_u64_e32 vcc, s[88:89], v[10:11]
	v_add_u32_e32 v12, 7, v50
	v_cndmask_b32_e32 v12, v48, v12, vcc
	v_cndmask_b32_e64 v48, 0, 1, vcc
	v_lshrrev_b64 v[10:11], v48, v[10:11]
; %bb.4051:                             ;   in Loop: Header=BB6_3331 Depth=3
	s_andn2_saveexec_b64 s[26:27], s[26:27]
; %bb.4052:                             ;   in Loop: Header=BB6_3331 Depth=3
	v_bfe_u32 v12, v10, 23, 1
; %bb.4053:                             ;   in Loop: Header=BB6_3331 Depth=3
	s_or_b64 exec, exec, s[26:27]
	v_lshrrev_b64 v[10:11], 20, v[10:11]
	v_cmp_gt_i32_e32 vcc, 16, v12
	v_cndmask_b32_e32 v11, 0, v11, vcc
	v_cndmask_b32_e32 v10, 7, v10, vcc
	v_cmp_ne_u64_e32 vcc, 0, v[10:11]
	v_cmp_ne_u32_e64 s[26:27], 0, v12
	s_or_b64 s[26:27], s[26:27], vcc
                                        ; implicit-def: $vgpr48
	s_and_saveexec_b64 vcc, s[26:27]
	s_xor_b64 s[26:27], exec, vcc
; %bb.4054:                             ;   in Loop: Header=BB6_3331 Depth=3
	v_min_i32_e32 v11, 15, v12
	v_lshl_or_b32 v11, v11, 3, v49
	v_and_or_b32 v48, v10, 7, v11
                                        ; implicit-def: $vgpr49
; %bb.4055:                             ;   in Loop: Header=BB6_3331 Depth=3
	s_andn2_saveexec_b64 s[26:27], s[26:27]
; %bb.4056:                             ;   in Loop: Header=BB6_3331 Depth=3
	v_mov_b32_e32 v48, v49
; %bb.4057:                             ;   in Loop: Header=BB6_3331 Depth=3
	s_or_b64 exec, exec, s[26:27]
.LBB6_4058:                             ;   in Loop: Header=BB6_3331 Depth=3
	s_or_b64 exec, exec, s[36:37]
                                        ; implicit-def: $vgpr49
.LBB6_4059:                             ;   in Loop: Header=BB6_3331 Depth=3
	s_andn2_saveexec_b64 s[26:27], s[34:35]
; %bb.4060:                             ;   in Loop: Header=BB6_3331 Depth=3
	v_or_b32_e32 v48, 0x7e, v49
; %bb.4061:                             ;   in Loop: Header=BB6_3331 Depth=3
	s_or_b64 exec, exec, s[26:27]
                                        ; implicit-def: $vgpr10
.LBB6_4062:                             ;   in Loop: Header=BB6_3331 Depth=3
	s_andn2_saveexec_b64 s[26:27], s[30:31]
; %bb.4063:                             ;   in Loop: Header=BB6_3331 Depth=3
	v_or_b32_sdwa v48, v10, s86 dst_sel:DWORD dst_unused:UNUSED_PAD src0_sel:BYTE_3 src1_sel:DWORD
; %bb.4064:                             ;   in Loop: Header=BB6_3331 Depth=3
	s_or_b64 exec, exec, s[26:27]
	flat_load_ubyte v11, v[8:9] offset:1792 glc slc
	v_mov_b32_e32 v12, 0
	s_waitcnt vmcnt(0) lgkmcnt(0)
	v_cmp_ne_u16_e32 vcc, 0, v11
	s_and_saveexec_b64 s[26:27], vcc
	s_cbranch_execz .LBB6_4070
; %bb.4065:                             ;   in Loop: Header=BB6_3331 Depth=3
	v_cmp_ne_u16_e32 vcc, s96, v11
	v_bfrev_b32_e32 v12, 1
	s_and_saveexec_b64 s[30:31], vcc
	s_cbranch_execz .LBB6_4069
; %bb.4066:                             ;   in Loop: Header=BB6_3331 Depth=3
	v_and_b32_e32 v10, 0xffff, v11
	v_and_b32_e32 v49, 0x7f, v10
	v_cmp_ne_u32_e32 vcc, s86, v49
	v_mov_b32_e32 v12, 0x7f800001
	s_and_saveexec_b64 s[34:35], vcc
	s_cbranch_execz .LBB6_4068
; %bb.4067:                             ;   in Loop: Header=BB6_3331 Depth=3
	v_and_b32_e32 v12, 7, v10
	v_lshrrev_b32_e32 v52, 3, v49
	v_cmp_gt_u32_e32 vcc, 8, v49
	v_ffbh_u32_e32 v49, v12
	v_min_u32_e32 v53, 32, v49
	v_subrev_u32_e32 v49, 28, v53
	v_lshlrev_b64 v[49:50], v49, v[10:11]
	v_sub_u32_e32 v10, 29, v53
	v_and_b32_e32 v49, 7, v49
	v_cndmask_b32_e32 v10, v52, v10, vcc
	v_cndmask_b32_e32 v12, v12, v49, vcc
	v_lshlrev_b32_e32 v11, 24, v11
	v_bfrev_b32_e32 v49, 60
	v_lshlrev_b32_e32 v12, 20, v12
	v_and_b32_e32 v11, 0x80000000, v11
	v_lshl_add_u32 v10, v10, 23, v49
	v_or3_b32 v12, v11, v10, v12
.LBB6_4068:                             ;   in Loop: Header=BB6_3331 Depth=3
	s_or_b64 exec, exec, s[34:35]
.LBB6_4069:                             ;   in Loop: Header=BB6_3331 Depth=3
	s_or_b64 exec, exec, s[30:31]
.LBB6_4070:                             ;   in Loop: Header=BB6_3331 Depth=3
	s_or_b64 exec, exec, s[26:27]
	v_mul_f32_e32 v10, s45, v12
	v_and_b32_e32 v11, 0x7f800000, v10
	v_mov_b32_e32 v12, v51
	v_cmp_ne_u64_e32 vcc, s[76:77], v[11:12]
                                        ; implicit-def: $vgpr49
	s_and_saveexec_b64 s[26:27], vcc
	s_xor_b64 s[30:31], exec, s[26:27]
	s_cbranch_execz .LBB6_4088
; %bb.4071:                             ;   in Loop: Header=BB6_3331 Depth=3
	v_and_b32_e32 v11, 0x7fffffff, v10
	v_mov_b32_e32 v12, v51
	v_cmp_gt_u64_e32 vcc, s[78:79], v[11:12]
	v_and_b32_sdwa v50, v10, s96 dst_sel:DWORD dst_unused:UNUSED_PAD src0_sel:BYTE_3 src1_sel:DWORD
                                        ; implicit-def: $vgpr49
	s_and_saveexec_b64 s[26:27], vcc
	s_xor_b64 s[34:35], exec, s[26:27]
	s_cbranch_execz .LBB6_4085
; %bb.4072:                             ;   in Loop: Header=BB6_3331 Depth=3
	v_cmp_ne_u32_e32 vcc, 0, v10
	v_mov_b32_e32 v49, 0
	s_and_saveexec_b64 s[36:37], vcc
	s_cbranch_execz .LBB6_4084
; %bb.4073:                             ;   in Loop: Header=BB6_3331 Depth=3
	v_bfe_u32 v49, v10, 23, 8
	v_and_b32_e32 v11, 0x7fffff, v10
	v_cmp_gt_u32_e64 s[26:27], s97, v49
	v_sub_u32_e32 v10, 0x79, v49
	v_cmp_eq_u32_e32 vcc, 0, v49
	v_cndmask_b32_e64 v10, 0, v10, s[26:27]
	v_mov_b32_e32 v52, 0x78
	v_or_b32_e32 v12, 0x800000, v11
	v_cndmask_b32_e32 v52, v10, v52, vcc
	v_cndmask_b32_e32 v10, v12, v11, vcc
	v_add_u32_e32 v12, 20, v52
	v_lshlrev_b64 v[53:54], v12, -1
	v_mov_b32_e32 v11, v51
	v_add_u32_e32 v12, 19, v52
	v_bfi_b32 v53, v53, 0, v10
	v_lshlrev_b64 v[40:41], v12, 1
	v_lshrrev_b64 v[10:11], v52, v[10:11]
	v_bfi_b32 v54, v54, 0, 0
	v_cmp_eq_u64_e64 s[26:27], v[53:54], v[40:41]
	v_mov_b32_e32 v12, v11
	v_mov_b32_e32 v11, v10
	s_and_saveexec_b64 s[38:39], s[26:27]
; %bb.4074:                             ;   in Loop: Header=BB6_3331 Depth=3
	v_bfe_u32 v11, v10, 20, 1
	v_add_co_u32_e64 v11, s[26:27], v10, v11
	v_add_co_u32_e64 v11, s[26:27], -1, v11
; %bb.4075:                             ;   in Loop: Header=BB6_3331 Depth=3
	s_or_b64 exec, exec, s[38:39]
	v_add_u32_e32 v12, 0xffffff81, v49
	v_mov_b32_e32 v49, 0xffffff82
	v_cndmask_b32_e32 v12, v12, v49, vcc
	v_lshrrev_b32_e32 v49, 23, v10
	v_add3_u32 v52, v52, v12, v49
	v_add_u32_e32 v49, 6, v52
	v_and_b32_e32 v11, 0xfffff, v11
	v_add_u32_e32 v10, v11, v10
	v_mov_b32_e32 v11, v51
	v_cmp_ne_u32_e32 vcc, 0, v49
                                        ; implicit-def: $vgpr12
	s_and_saveexec_b64 s[26:27], vcc
	s_xor_b64 s[26:27], exec, s[26:27]
; %bb.4076:                             ;   in Loop: Header=BB6_3331 Depth=3
	v_cmp_lt_u64_e32 vcc, s[88:89], v[10:11]
	v_add_u32_e32 v12, 7, v52
	v_cndmask_b32_e32 v12, v49, v12, vcc
	v_cndmask_b32_e64 v49, 0, 1, vcc
	v_lshrrev_b64 v[10:11], v49, v[10:11]
; %bb.4077:                             ;   in Loop: Header=BB6_3331 Depth=3
	s_andn2_saveexec_b64 s[26:27], s[26:27]
; %bb.4078:                             ;   in Loop: Header=BB6_3331 Depth=3
	v_bfe_u32 v12, v10, 23, 1
; %bb.4079:                             ;   in Loop: Header=BB6_3331 Depth=3
	s_or_b64 exec, exec, s[26:27]
	v_lshrrev_b64 v[10:11], 20, v[10:11]
	v_cmp_gt_i32_e32 vcc, 16, v12
	v_cndmask_b32_e32 v11, 0, v11, vcc
	v_cndmask_b32_e32 v10, 7, v10, vcc
	v_cmp_ne_u64_e32 vcc, 0, v[10:11]
	v_cmp_ne_u32_e64 s[26:27], 0, v12
	s_or_b64 s[26:27], s[26:27], vcc
                                        ; implicit-def: $vgpr49
	s_and_saveexec_b64 vcc, s[26:27]
	s_xor_b64 s[26:27], exec, vcc
; %bb.4080:                             ;   in Loop: Header=BB6_3331 Depth=3
	v_min_i32_e32 v11, 15, v12
	v_lshl_or_b32 v11, v11, 3, v50
	v_and_or_b32 v49, v10, 7, v11
                                        ; implicit-def: $vgpr50
; %bb.4081:                             ;   in Loop: Header=BB6_3331 Depth=3
	s_andn2_saveexec_b64 s[26:27], s[26:27]
; %bb.4082:                             ;   in Loop: Header=BB6_3331 Depth=3
	v_mov_b32_e32 v49, v50
; %bb.4083:                             ;   in Loop: Header=BB6_3331 Depth=3
	s_or_b64 exec, exec, s[26:27]
.LBB6_4084:                             ;   in Loop: Header=BB6_3331 Depth=3
	s_or_b64 exec, exec, s[36:37]
                                        ; implicit-def: $vgpr50
.LBB6_4085:                             ;   in Loop: Header=BB6_3331 Depth=3
	s_andn2_saveexec_b64 s[26:27], s[34:35]
; %bb.4086:                             ;   in Loop: Header=BB6_3331 Depth=3
	v_or_b32_e32 v49, 0x7e, v50
; %bb.4087:                             ;   in Loop: Header=BB6_3331 Depth=3
	s_or_b64 exec, exec, s[26:27]
                                        ; implicit-def: $vgpr10
.LBB6_4088:                             ;   in Loop: Header=BB6_3331 Depth=3
	s_andn2_saveexec_b64 s[26:27], s[30:31]
; %bb.4089:                             ;   in Loop: Header=BB6_3331 Depth=3
	v_or_b32_sdwa v49, v10, s86 dst_sel:DWORD dst_unused:UNUSED_PAD src0_sel:BYTE_3 src1_sel:DWORD
; %bb.4090:                             ;   in Loop: Header=BB6_3331 Depth=3
	s_or_b64 exec, exec, s[26:27]
	flat_load_ubyte v11, v[8:9] offset:1856 glc slc
	v_mov_b32_e32 v12, 0
	s_waitcnt vmcnt(0) lgkmcnt(0)
	v_cmp_ne_u16_e32 vcc, 0, v11
	s_and_saveexec_b64 s[26:27], vcc
	s_cbranch_execz .LBB6_4096
; %bb.4091:                             ;   in Loop: Header=BB6_3331 Depth=3
	v_cmp_ne_u16_e32 vcc, s96, v11
	v_bfrev_b32_e32 v12, 1
	s_and_saveexec_b64 s[30:31], vcc
	s_cbranch_execz .LBB6_4095
; %bb.4092:                             ;   in Loop: Header=BB6_3331 Depth=3
	v_and_b32_e32 v10, 0xffff, v11
	v_and_b32_e32 v50, 0x7f, v10
	v_cmp_ne_u32_e32 vcc, s86, v50
	v_mov_b32_e32 v12, 0x7f800001
	s_and_saveexec_b64 s[34:35], vcc
	s_cbranch_execz .LBB6_4094
; %bb.4093:                             ;   in Loop: Header=BB6_3331 Depth=3
	v_and_b32_e32 v12, 7, v10
	v_lshrrev_b32_e32 v54, 3, v50
	v_cmp_gt_u32_e32 vcc, 8, v50
	v_ffbh_u32_e32 v50, v12
	v_min_u32_e32 v50, 32, v50
	v_subrev_u32_e32 v52, 28, v50
	v_lshlrev_b64 v[52:53], v52, v[10:11]
	v_sub_u32_e32 v10, 29, v50
	v_and_b32_e32 v50, 7, v52
	v_cndmask_b32_e32 v10, v54, v10, vcc
	v_cndmask_b32_e32 v12, v12, v50, vcc
	v_lshlrev_b32_e32 v11, 24, v11
	v_bfrev_b32_e32 v50, 60
	v_lshlrev_b32_e32 v12, 20, v12
	v_and_b32_e32 v11, 0x80000000, v11
	v_lshl_add_u32 v10, v10, 23, v50
	v_or3_b32 v12, v11, v10, v12
.LBB6_4094:                             ;   in Loop: Header=BB6_3331 Depth=3
	s_or_b64 exec, exec, s[34:35]
.LBB6_4095:                             ;   in Loop: Header=BB6_3331 Depth=3
	s_or_b64 exec, exec, s[30:31]
.LBB6_4096:                             ;   in Loop: Header=BB6_3331 Depth=3
	s_or_b64 exec, exec, s[26:27]
	v_mul_f32_e32 v10, s45, v12
	v_and_b32_e32 v11, 0x7f800000, v10
	v_mov_b32_e32 v12, v51
	v_cmp_ne_u64_e32 vcc, s[76:77], v[11:12]
                                        ; implicit-def: $vgpr50
	s_and_saveexec_b64 s[26:27], vcc
	s_xor_b64 s[30:31], exec, s[26:27]
	s_cbranch_execz .LBB6_4114
; %bb.4097:                             ;   in Loop: Header=BB6_3331 Depth=3
	v_and_b32_e32 v11, 0x7fffffff, v10
	v_mov_b32_e32 v12, v51
	v_cmp_gt_u64_e32 vcc, s[78:79], v[11:12]
	v_and_b32_sdwa v52, v10, s96 dst_sel:DWORD dst_unused:UNUSED_PAD src0_sel:BYTE_3 src1_sel:DWORD
                                        ; implicit-def: $vgpr50
	s_and_saveexec_b64 s[26:27], vcc
	s_xor_b64 s[34:35], exec, s[26:27]
	s_cbranch_execz .LBB6_4111
; %bb.4098:                             ;   in Loop: Header=BB6_3331 Depth=3
	v_cmp_ne_u32_e32 vcc, 0, v10
	v_mov_b32_e32 v50, 0
	s_and_saveexec_b64 s[36:37], vcc
	s_cbranch_execz .LBB6_4110
; %bb.4099:                             ;   in Loop: Header=BB6_3331 Depth=3
	v_bfe_u32 v50, v10, 23, 8
	v_and_b32_e32 v11, 0x7fffff, v10
	v_cmp_gt_u32_e64 s[26:27], s97, v50
	v_sub_u32_e32 v10, 0x79, v50
	v_cmp_eq_u32_e32 vcc, 0, v50
	v_cndmask_b32_e64 v10, 0, v10, s[26:27]
	v_mov_b32_e32 v53, 0x78
	v_or_b32_e32 v12, 0x800000, v11
	v_cndmask_b32_e32 v53, v10, v53, vcc
	v_cndmask_b32_e32 v10, v12, v11, vcc
	v_add_u32_e32 v12, 20, v53
	v_lshlrev_b64 v[54:55], v12, -1
	v_mov_b32_e32 v11, v51
	v_add_u32_e32 v12, 19, v53
	v_bfi_b32 v54, v54, 0, v10
	v_lshlrev_b64 v[40:41], v12, 1
	v_lshrrev_b64 v[10:11], v53, v[10:11]
	v_bfi_b32 v55, v55, 0, 0
	v_cmp_eq_u64_e64 s[26:27], v[54:55], v[40:41]
	v_mov_b32_e32 v12, v11
	v_mov_b32_e32 v11, v10
	s_and_saveexec_b64 s[38:39], s[26:27]
; %bb.4100:                             ;   in Loop: Header=BB6_3331 Depth=3
	v_bfe_u32 v11, v10, 20, 1
	v_add_co_u32_e64 v11, s[26:27], v10, v11
	v_add_co_u32_e64 v11, s[26:27], -1, v11
; %bb.4101:                             ;   in Loop: Header=BB6_3331 Depth=3
	s_or_b64 exec, exec, s[38:39]
	v_add_u32_e32 v12, 0xffffff81, v50
	v_mov_b32_e32 v50, 0xffffff82
	v_cndmask_b32_e32 v12, v12, v50, vcc
	v_lshrrev_b32_e32 v50, 23, v10
	v_add3_u32 v53, v53, v12, v50
	v_add_u32_e32 v50, 6, v53
	v_and_b32_e32 v11, 0xfffff, v11
	v_add_u32_e32 v10, v11, v10
	v_mov_b32_e32 v11, v51
	v_cmp_ne_u32_e32 vcc, 0, v50
                                        ; implicit-def: $vgpr12
	s_and_saveexec_b64 s[26:27], vcc
	s_xor_b64 s[26:27], exec, s[26:27]
; %bb.4102:                             ;   in Loop: Header=BB6_3331 Depth=3
	v_cmp_lt_u64_e32 vcc, s[88:89], v[10:11]
	v_add_u32_e32 v12, 7, v53
	v_cndmask_b32_e32 v12, v50, v12, vcc
	v_cndmask_b32_e64 v50, 0, 1, vcc
	v_lshrrev_b64 v[10:11], v50, v[10:11]
; %bb.4103:                             ;   in Loop: Header=BB6_3331 Depth=3
	s_andn2_saveexec_b64 s[26:27], s[26:27]
; %bb.4104:                             ;   in Loop: Header=BB6_3331 Depth=3
	v_bfe_u32 v12, v10, 23, 1
; %bb.4105:                             ;   in Loop: Header=BB6_3331 Depth=3
	s_or_b64 exec, exec, s[26:27]
	v_lshrrev_b64 v[10:11], 20, v[10:11]
	v_cmp_gt_i32_e32 vcc, 16, v12
	v_cndmask_b32_e32 v11, 0, v11, vcc
	v_cndmask_b32_e32 v10, 7, v10, vcc
	v_cmp_ne_u64_e32 vcc, 0, v[10:11]
	v_cmp_ne_u32_e64 s[26:27], 0, v12
	s_or_b64 s[26:27], s[26:27], vcc
                                        ; implicit-def: $vgpr50
	s_and_saveexec_b64 vcc, s[26:27]
	s_xor_b64 s[26:27], exec, vcc
; %bb.4106:                             ;   in Loop: Header=BB6_3331 Depth=3
	v_min_i32_e32 v11, 15, v12
	v_lshl_or_b32 v11, v11, 3, v52
	v_and_or_b32 v50, v10, 7, v11
                                        ; implicit-def: $vgpr52
; %bb.4107:                             ;   in Loop: Header=BB6_3331 Depth=3
	s_andn2_saveexec_b64 s[26:27], s[26:27]
; %bb.4108:                             ;   in Loop: Header=BB6_3331 Depth=3
	v_mov_b32_e32 v50, v52
; %bb.4109:                             ;   in Loop: Header=BB6_3331 Depth=3
	s_or_b64 exec, exec, s[26:27]
.LBB6_4110:                             ;   in Loop: Header=BB6_3331 Depth=3
	s_or_b64 exec, exec, s[36:37]
                                        ; implicit-def: $vgpr52
.LBB6_4111:                             ;   in Loop: Header=BB6_3331 Depth=3
	s_andn2_saveexec_b64 s[26:27], s[34:35]
; %bb.4112:                             ;   in Loop: Header=BB6_3331 Depth=3
	v_or_b32_e32 v50, 0x7e, v52
; %bb.4113:                             ;   in Loop: Header=BB6_3331 Depth=3
	s_or_b64 exec, exec, s[26:27]
                                        ; implicit-def: $vgpr10
.LBB6_4114:                             ;   in Loop: Header=BB6_3331 Depth=3
	s_andn2_saveexec_b64 s[26:27], s[30:31]
; %bb.4115:                             ;   in Loop: Header=BB6_3331 Depth=3
	v_or_b32_sdwa v50, v10, s86 dst_sel:DWORD dst_unused:UNUSED_PAD src0_sel:BYTE_3 src1_sel:DWORD
; %bb.4116:                             ;   in Loop: Header=BB6_3331 Depth=3
	s_or_b64 exec, exec, s[26:27]
	flat_load_ubyte v11, v[8:9] offset:1920 glc slc
	v_mov_b32_e32 v12, 0
	s_waitcnt vmcnt(0) lgkmcnt(0)
	v_cmp_ne_u16_e32 vcc, 0, v11
	s_and_saveexec_b64 s[26:27], vcc
	s_cbranch_execz .LBB6_4122
; %bb.4117:                             ;   in Loop: Header=BB6_3331 Depth=3
	v_cmp_ne_u16_e32 vcc, s96, v11
	v_bfrev_b32_e32 v12, 1
	s_and_saveexec_b64 s[30:31], vcc
	s_cbranch_execz .LBB6_4121
; %bb.4118:                             ;   in Loop: Header=BB6_3331 Depth=3
	v_and_b32_e32 v10, 0xffff, v11
	v_and_b32_e32 v52, 0x7f, v10
	v_cmp_ne_u32_e32 vcc, s86, v52
	v_mov_b32_e32 v12, 0x7f800001
	s_and_saveexec_b64 s[34:35], vcc
	s_cbranch_execz .LBB6_4120
; %bb.4119:                             ;   in Loop: Header=BB6_3331 Depth=3
	v_and_b32_e32 v12, 7, v10
	v_lshrrev_b32_e32 v54, 3, v52
	v_cmp_gt_u32_e32 vcc, 8, v52
	v_ffbh_u32_e32 v52, v12
	v_min_u32_e32 v55, 32, v52
	v_subrev_u32_e32 v52, 28, v55
	v_lshlrev_b64 v[52:53], v52, v[10:11]
	v_sub_u32_e32 v10, 29, v55
	v_and_b32_e32 v52, 7, v52
	v_cndmask_b32_e32 v10, v54, v10, vcc
	v_cndmask_b32_e32 v12, v12, v52, vcc
	v_lshlrev_b32_e32 v11, 24, v11
	v_bfrev_b32_e32 v52, 60
	v_lshlrev_b32_e32 v12, 20, v12
	v_and_b32_e32 v11, 0x80000000, v11
	v_lshl_add_u32 v10, v10, 23, v52
	v_or3_b32 v12, v11, v10, v12
.LBB6_4120:                             ;   in Loop: Header=BB6_3331 Depth=3
	s_or_b64 exec, exec, s[34:35]
.LBB6_4121:                             ;   in Loop: Header=BB6_3331 Depth=3
	s_or_b64 exec, exec, s[30:31]
.LBB6_4122:                             ;   in Loop: Header=BB6_3331 Depth=3
	s_or_b64 exec, exec, s[26:27]
	v_mul_f32_e32 v10, s45, v12
	v_and_b32_e32 v11, 0x7f800000, v10
	v_mov_b32_e32 v12, v51
	v_cmp_ne_u64_e32 vcc, s[76:77], v[11:12]
                                        ; implicit-def: $vgpr11
	s_and_saveexec_b64 s[26:27], vcc
	s_xor_b64 s[30:31], exec, s[26:27]
	s_cbranch_execz .LBB6_4140
; %bb.4123:                             ;   in Loop: Header=BB6_3331 Depth=3
	v_and_b32_e32 v11, 0x7fffffff, v10
	v_mov_b32_e32 v12, v51
	v_cmp_gt_u64_e32 vcc, s[78:79], v[11:12]
	v_and_b32_sdwa v52, v10, s96 dst_sel:DWORD dst_unused:UNUSED_PAD src0_sel:BYTE_3 src1_sel:DWORD
                                        ; implicit-def: $vgpr11
	s_and_saveexec_b64 s[26:27], vcc
	s_xor_b64 s[34:35], exec, s[26:27]
	s_cbranch_execz .LBB6_4137
; %bb.4124:                             ;   in Loop: Header=BB6_3331 Depth=3
	v_cmp_ne_u32_e32 vcc, 0, v10
	v_mov_b32_e32 v11, 0
	s_and_saveexec_b64 s[36:37], vcc
	s_cbranch_execz .LBB6_4136
; %bb.4125:                             ;   in Loop: Header=BB6_3331 Depth=3
	v_bfe_u32 v53, v10, 23, 8
	v_and_b32_e32 v11, 0x7fffff, v10
	v_cmp_gt_u32_e64 s[26:27], s97, v53
	v_sub_u32_e32 v10, 0x79, v53
	v_cmp_eq_u32_e32 vcc, 0, v53
	v_cndmask_b32_e64 v10, 0, v10, s[26:27]
	v_mov_b32_e32 v54, 0x78
	v_or_b32_e32 v12, 0x800000, v11
	v_cndmask_b32_e32 v54, v10, v54, vcc
	v_cndmask_b32_e32 v10, v12, v11, vcc
	v_add_u32_e32 v12, 20, v54
	v_lshlrev_b64 v[40:41], v12, -1
	v_mov_b32_e32 v11, v51
	v_add_u32_e32 v12, 19, v54
	v_bfi_b32 v40, v40, 0, v10
	v_lshlrev_b64 v[42:43], v12, 1
	v_lshrrev_b64 v[10:11], v54, v[10:11]
	v_bfi_b32 v41, v41, 0, 0
	v_cmp_eq_u64_e64 s[26:27], v[40:41], v[42:43]
	v_mov_b32_e32 v12, v11
	v_mov_b32_e32 v11, v10
	s_and_saveexec_b64 s[38:39], s[26:27]
; %bb.4126:                             ;   in Loop: Header=BB6_3331 Depth=3
	v_bfe_u32 v11, v10, 20, 1
	v_add_co_u32_e64 v11, s[26:27], v10, v11
	v_add_co_u32_e64 v11, s[26:27], -1, v11
; %bb.4127:                             ;   in Loop: Header=BB6_3331 Depth=3
	s_or_b64 exec, exec, s[38:39]
	v_add_u32_e32 v12, 0xffffff81, v53
	v_mov_b32_e32 v53, 0xffffff82
	v_cndmask_b32_e32 v12, v12, v53, vcc
	v_lshrrev_b32_e32 v53, 23, v10
	v_add3_u32 v54, v54, v12, v53
	v_add_u32_e32 v53, 6, v54
	v_and_b32_e32 v11, 0xfffff, v11
	v_add_u32_e32 v10, v11, v10
	v_mov_b32_e32 v11, v51
	v_cmp_ne_u32_e32 vcc, 0, v53
                                        ; implicit-def: $vgpr12
	s_and_saveexec_b64 s[26:27], vcc
	s_xor_b64 s[26:27], exec, s[26:27]
; %bb.4128:                             ;   in Loop: Header=BB6_3331 Depth=3
	v_cmp_lt_u64_e32 vcc, s[88:89], v[10:11]
	v_add_u32_e32 v12, 7, v54
	v_cndmask_b32_e32 v12, v53, v12, vcc
	v_cndmask_b32_e64 v53, 0, 1, vcc
	v_lshrrev_b64 v[10:11], v53, v[10:11]
; %bb.4129:                             ;   in Loop: Header=BB6_3331 Depth=3
	s_andn2_saveexec_b64 s[26:27], s[26:27]
; %bb.4130:                             ;   in Loop: Header=BB6_3331 Depth=3
	v_bfe_u32 v12, v10, 23, 1
; %bb.4131:                             ;   in Loop: Header=BB6_3331 Depth=3
	s_or_b64 exec, exec, s[26:27]
	v_lshrrev_b64 v[10:11], 20, v[10:11]
	v_cmp_gt_i32_e32 vcc, 16, v12
	v_cndmask_b32_e32 v11, 0, v11, vcc
	v_cndmask_b32_e32 v10, 7, v10, vcc
	v_cmp_ne_u64_e32 vcc, 0, v[10:11]
	v_cmp_ne_u32_e64 s[26:27], 0, v12
	s_or_b64 s[26:27], s[26:27], vcc
                                        ; implicit-def: $vgpr11
	s_and_saveexec_b64 vcc, s[26:27]
	s_xor_b64 s[26:27], exec, vcc
; %bb.4132:                             ;   in Loop: Header=BB6_3331 Depth=3
	v_min_i32_e32 v11, 15, v12
	v_lshl_or_b32 v11, v11, 3, v52
	v_and_or_b32 v11, v10, 7, v11
                                        ; implicit-def: $vgpr52
; %bb.4133:                             ;   in Loop: Header=BB6_3331 Depth=3
	s_andn2_saveexec_b64 s[26:27], s[26:27]
; %bb.4134:                             ;   in Loop: Header=BB6_3331 Depth=3
	v_mov_b32_e32 v11, v52
; %bb.4135:                             ;   in Loop: Header=BB6_3331 Depth=3
	s_or_b64 exec, exec, s[26:27]
.LBB6_4136:                             ;   in Loop: Header=BB6_3331 Depth=3
	s_or_b64 exec, exec, s[36:37]
                                        ; implicit-def: $vgpr52
.LBB6_4137:                             ;   in Loop: Header=BB6_3331 Depth=3
	s_andn2_saveexec_b64 s[26:27], s[34:35]
; %bb.4138:                             ;   in Loop: Header=BB6_3331 Depth=3
	v_or_b32_e32 v11, 0x7e, v52
; %bb.4139:                             ;   in Loop: Header=BB6_3331 Depth=3
	s_or_b64 exec, exec, s[26:27]
                                        ; implicit-def: $vgpr10
.LBB6_4140:                             ;   in Loop: Header=BB6_3331 Depth=3
	s_andn2_saveexec_b64 s[26:27], s[30:31]
; %bb.4141:                             ;   in Loop: Header=BB6_3331 Depth=3
	v_or_b32_sdwa v11, v10, s86 dst_sel:DWORD dst_unused:UNUSED_PAD src0_sel:BYTE_3 src1_sel:DWORD
; %bb.4142:                             ;   in Loop: Header=BB6_3331 Depth=3
	s_or_b64 exec, exec, s[26:27]
	flat_load_ubyte v9, v[8:9] offset:1984 glc slc
	v_mov_b32_e32 v10, 0
	s_waitcnt vmcnt(0) lgkmcnt(0)
	v_cmp_ne_u16_e32 vcc, 0, v9
	s_and_saveexec_b64 s[26:27], vcc
	s_cbranch_execz .LBB6_4148
; %bb.4143:                             ;   in Loop: Header=BB6_3331 Depth=3
	v_cmp_ne_u16_e32 vcc, s96, v9
	v_bfrev_b32_e32 v10, 1
	s_and_saveexec_b64 s[30:31], vcc
	s_cbranch_execz .LBB6_4147
; %bb.4144:                             ;   in Loop: Header=BB6_3331 Depth=3
	v_and_b32_e32 v8, 0xffff, v9
	v_and_b32_e32 v12, 0x7f, v8
	v_cmp_ne_u32_e32 vcc, s86, v12
	v_mov_b32_e32 v10, 0x7f800001
	s_and_saveexec_b64 s[34:35], vcc
	s_cbranch_execz .LBB6_4146
; %bb.4145:                             ;   in Loop: Header=BB6_3331 Depth=3
	v_and_b32_e32 v10, 7, v8
	v_lshrrev_b32_e32 v54, 3, v12
	v_cmp_gt_u32_e32 vcc, 8, v12
	v_ffbh_u32_e32 v12, v10
	v_min_u32_e32 v12, 32, v12
	v_subrev_u32_e32 v52, 28, v12
	v_lshlrev_b64 v[52:53], v52, v[8:9]
	v_sub_u32_e32 v8, 29, v12
	v_and_b32_e32 v12, 7, v52
	v_cndmask_b32_e32 v8, v54, v8, vcc
	v_cndmask_b32_e32 v10, v10, v12, vcc
	v_lshlrev_b32_e32 v9, 24, v9
	v_bfrev_b32_e32 v12, 60
	v_lshlrev_b32_e32 v10, 20, v10
	v_and_b32_e32 v9, 0x80000000, v9
	v_lshl_add_u32 v8, v8, 23, v12
	v_or3_b32 v10, v9, v8, v10
.LBB6_4146:                             ;   in Loop: Header=BB6_3331 Depth=3
	s_or_b64 exec, exec, s[34:35]
.LBB6_4147:                             ;   in Loop: Header=BB6_3331 Depth=3
	s_or_b64 exec, exec, s[30:31]
.LBB6_4148:                             ;   in Loop: Header=BB6_3331 Depth=3
	s_or_b64 exec, exec, s[26:27]
	v_mul_f32_e32 v8, s45, v10
	v_and_b32_e32 v9, 0x7f800000, v8
	v_mov_b32_e32 v10, v51
	v_cmp_ne_u64_e32 vcc, s[76:77], v[9:10]
                                        ; implicit-def: $vgpr9
	s_and_saveexec_b64 s[26:27], vcc
	s_xor_b64 s[30:31], exec, s[26:27]
	s_cbranch_execz .LBB6_4166
; %bb.4149:                             ;   in Loop: Header=BB6_3331 Depth=3
	v_and_b32_e32 v9, 0x7fffffff, v8
	v_mov_b32_e32 v10, v51
	v_cmp_gt_u64_e32 vcc, s[78:79], v[9:10]
	v_and_b32_sdwa v12, v8, s96 dst_sel:DWORD dst_unused:UNUSED_PAD src0_sel:BYTE_3 src1_sel:DWORD
                                        ; implicit-def: $vgpr9
	s_and_saveexec_b64 s[26:27], vcc
	s_xor_b64 s[34:35], exec, s[26:27]
	s_cbranch_execz .LBB6_4163
; %bb.4150:                             ;   in Loop: Header=BB6_3331 Depth=3
	v_cmp_ne_u32_e32 vcc, 0, v8
	v_mov_b32_e32 v9, 0
	s_and_saveexec_b64 s[36:37], vcc
	s_cbranch_execz .LBB6_4162
; %bb.4151:                             ;   in Loop: Header=BB6_3331 Depth=3
	v_bfe_u32 v52, v8, 23, 8
	v_and_b32_e32 v9, 0x7fffff, v8
	v_cmp_gt_u32_e64 s[26:27], s97, v52
	v_sub_u32_e32 v8, 0x79, v52
	v_cmp_eq_u32_e32 vcc, 0, v52
	v_cndmask_b32_e64 v8, 0, v8, s[26:27]
	v_mov_b32_e32 v53, 0x78
	v_or_b32_e32 v10, 0x800000, v9
	v_cndmask_b32_e32 v53, v8, v53, vcc
	v_cndmask_b32_e32 v8, v10, v9, vcc
	v_add_u32_e32 v10, 20, v53
	v_lshlrev_b64 v[54:55], v10, -1
	v_mov_b32_e32 v9, v51
	v_add_u32_e32 v10, 19, v53
	v_bfi_b32 v54, v54, 0, v8
	v_lshlrev_b64 v[40:41], v10, 1
	v_lshrrev_b64 v[8:9], v53, v[8:9]
	v_bfi_b32 v55, v55, 0, 0
	v_cmp_eq_u64_e64 s[26:27], v[54:55], v[40:41]
	v_mov_b32_e32 v10, v9
	v_mov_b32_e32 v9, v8
	s_and_saveexec_b64 s[38:39], s[26:27]
; %bb.4152:                             ;   in Loop: Header=BB6_3331 Depth=3
	v_bfe_u32 v9, v8, 20, 1
	v_add_co_u32_e64 v9, s[26:27], v8, v9
	v_add_co_u32_e64 v9, s[26:27], -1, v9
; %bb.4153:                             ;   in Loop: Header=BB6_3331 Depth=3
	s_or_b64 exec, exec, s[38:39]
	v_add_u32_e32 v10, 0xffffff81, v52
	v_mov_b32_e32 v52, 0xffffff82
	v_cndmask_b32_e32 v10, v10, v52, vcc
	v_lshrrev_b32_e32 v52, 23, v8
	v_add3_u32 v53, v53, v10, v52
	v_add_u32_e32 v52, 6, v53
	v_and_b32_e32 v9, 0xfffff, v9
	v_add_u32_e32 v8, v9, v8
	v_mov_b32_e32 v9, v51
	v_cmp_ne_u32_e32 vcc, 0, v52
                                        ; implicit-def: $vgpr10
	s_and_saveexec_b64 s[26:27], vcc
	s_xor_b64 s[26:27], exec, s[26:27]
; %bb.4154:                             ;   in Loop: Header=BB6_3331 Depth=3
	v_cmp_lt_u64_e32 vcc, s[88:89], v[8:9]
	v_add_u32_e32 v10, 7, v53
	v_cndmask_b32_e32 v10, v52, v10, vcc
	v_cndmask_b32_e64 v52, 0, 1, vcc
	v_lshrrev_b64 v[8:9], v52, v[8:9]
; %bb.4155:                             ;   in Loop: Header=BB6_3331 Depth=3
	s_andn2_saveexec_b64 s[26:27], s[26:27]
; %bb.4156:                             ;   in Loop: Header=BB6_3331 Depth=3
	v_bfe_u32 v10, v8, 23, 1
; %bb.4157:                             ;   in Loop: Header=BB6_3331 Depth=3
	s_or_b64 exec, exec, s[26:27]
	v_lshrrev_b64 v[8:9], 20, v[8:9]
	v_cmp_gt_i32_e32 vcc, 16, v10
	v_cndmask_b32_e32 v9, 0, v9, vcc
	v_cndmask_b32_e32 v8, 7, v8, vcc
	v_cmp_ne_u64_e32 vcc, 0, v[8:9]
	v_cmp_ne_u32_e64 s[26:27], 0, v10
	s_or_b64 s[26:27], s[26:27], vcc
                                        ; implicit-def: $vgpr9
	s_and_saveexec_b64 vcc, s[26:27]
	s_xor_b64 s[26:27], exec, vcc
; %bb.4158:                             ;   in Loop: Header=BB6_3331 Depth=3
	v_min_i32_e32 v9, 15, v10
	v_lshl_or_b32 v9, v9, 3, v12
	v_and_or_b32 v9, v8, 7, v9
                                        ; implicit-def: $vgpr12
; %bb.4159:                             ;   in Loop: Header=BB6_3331 Depth=3
	s_andn2_saveexec_b64 s[26:27], s[26:27]
; %bb.4160:                             ;   in Loop: Header=BB6_3331 Depth=3
	v_mov_b32_e32 v9, v12
; %bb.4161:                             ;   in Loop: Header=BB6_3331 Depth=3
	s_or_b64 exec, exec, s[26:27]
.LBB6_4162:                             ;   in Loop: Header=BB6_3331 Depth=3
	s_or_b64 exec, exec, s[36:37]
                                        ; implicit-def: $vgpr12
.LBB6_4163:                             ;   in Loop: Header=BB6_3331 Depth=3
	s_andn2_saveexec_b64 s[26:27], s[34:35]
; %bb.4164:                             ;   in Loop: Header=BB6_3331 Depth=3
	v_or_b32_e32 v9, 0x7e, v12
; %bb.4165:                             ;   in Loop: Header=BB6_3331 Depth=3
	s_or_b64 exec, exec, s[26:27]
                                        ; implicit-def: $vgpr8
.LBB6_4166:                             ;   in Loop: Header=BB6_3331 Depth=3
	s_andn2_saveexec_b64 s[26:27], s[30:31]
	s_cbranch_execz .LBB6_3330
; %bb.4167:                             ;   in Loop: Header=BB6_3331 Depth=3
	v_or_b32_sdwa v9, v8, s86 dst_sel:DWORD dst_unused:UNUSED_PAD src0_sel:BYTE_3 src1_sel:DWORD
	s_branch .LBB6_3330
.LBB6_4168:                             ;   in Loop: Header=BB6_57 Depth=2
	s_or_b64 exec, exec, s[94:95]
.LBB6_4169:                             ;   in Loop: Header=BB6_57 Depth=2
	s_or_b64 exec, exec, s[92:93]
	v_lshlrev_b32_e32 v4, 11, v7
	v_cmp_ne_u32_e32 vcc, v1, v4
	s_and_b64 exec, exec, vcc
	s_cbranch_execz .LBB6_4204
; %bb.4170:                             ;   in Loop: Header=BB6_57 Depth=2
	v_lshlrev_b32_e32 v3, 6, v3
	v_sub_u32_e32 v2, v2, v3
	v_lshlrev_b32_e32 v3, 6, v6
	v_sub_u32_e32 v2, v2, v3
	v_add_u32_e32 v2, v4, v2
	v_sub_u32_e32 v1, v1, v2
	v_cmp_lt_i32_e32 vcc, 0, v1
	s_and_b64 exec, exec, vcc
	s_cbranch_execz .LBB6_4204
; %bb.4171:                             ;   in Loop: Header=BB6_57 Depth=2
	v_add_u32_e32 v0, v2, v0
	s_trap 2
	ds_read_b64 v[8:9], v0
	v_ashrrev_i32_e32 v2, 31, v0
	s_mov_b64 s[92:93], 0
	s_branch .LBB6_4173
.LBB6_4172:                             ;   in Loop: Header=BB6_4173 Depth=3
	s_or_b64 exec, exec, s[26:27]
	buffer_load_dword v3, off, s[0:3], s33 offset:316 ; 4-byte Folded Reload
	s_waitcnt vmcnt(0)
	v_sub_u32_e32 v1, v1, v3
	v_cmp_gt_i32_e32 vcc, 1, v1
	s_or_b64 s[92:93], vcc, s[92:93]
	v_add_co_u32_e32 v0, vcc, v0, v3
	v_addc_co_u32_e32 v2, vcc, 0, v2, vcc
	flat_store_byte v[10:11], v4 glc slc
	s_andn2_b64 exec, exec, s[92:93]
	s_cbranch_execz .LBB6_4204
.LBB6_4173:                             ;   Parent Loop BB6_47 Depth=1
                                        ;     Parent Loop BB6_57 Depth=2
                                        ; =>    This Inner Loop Header: Depth=3
	s_trap 2
	ds_read_b64 v[4:5], v0
	s_waitcnt lgkmcnt(0)
	v_cmp_eq_u32_sdwa s[94:95], v4, v51 src0_sel:BYTE_0 src1_sel:DWORD
	v_readfirstlane_b32 s26, v4
	v_readfirstlane_b32 s27, v5
	s_and_b64 vcc, exec, s[94:95]
	s_cbranch_vccnz .LBB6_4177
; %bb.4174:                             ;   in Loop: Header=BB6_4173 Depth=3
	v_cmp_eq_u32_sdwa s[94:95], v4, s96 src0_sel:BYTE_0 src1_sel:DWORD
	s_brev_b32 s45, 1
	s_and_b64 vcc, exec, s[94:95]
	s_cbranch_vccnz .LBB6_4178
; %bb.4175:                             ;   in Loop: Header=BB6_4173 Depth=3
	s_and_b32 s94, s26, 0x7f
	s_cmpk_eq_i32 s94, 0x7f
	s_mov_b32 s45, 0x7f800001
	s_cbranch_scc1 .LBB6_4178
; %bb.4176:                             ;   in Loop: Header=BB6_4173 Depth=3
	s_and_b32 s45, s26, 7
	s_flbit_i32_b32 s45, s45
	s_min_u32 s45, s45, 32
	s_lshr_b32 s95, s94, 3
	s_sub_i32 vcc_lo, s45, 28
	s_sub_i32 s45, 29, s45
	s_cmp_lt_u32 s94, 8
	s_cselect_b32 s45, s45, s95
	s_cselect_b32 s94, vcc_lo, 0
	s_lshl_b64 s[94:95], s[26:27], s94
	s_lshl_b32 s26, s26, 24
	s_lshl_b32 s45, s45, 23
	;; [unrolled: 1-line block ×3, first 2 shown]
	s_and_b32 s26, s26, 0x80000000
	s_add_i32 s45, s45, 0x3c000000
	s_and_b32 s27, s27, 0x700000
	s_or_b32 s26, s26, s45
	s_or_b32 s45, s26, s27
	s_branch .LBB6_4178
.LBB6_4177:                             ;   in Loop: Header=BB6_4173 Depth=3
	s_mov_b32 s45, 0
.LBB6_4178:                             ;   in Loop: Header=BB6_4173 Depth=3
	v_add_co_u32_e32 v10, vcc, v8, v0
	v_addc_co_u32_e32 v11, vcc, v9, v2, vcc
	flat_load_ubyte v3, v[10:11] glc slc
	v_mov_b32_e32 v4, 0
	s_waitcnt vmcnt(0) lgkmcnt(0)
	v_cmp_ne_u16_e32 vcc, 0, v3
	s_and_saveexec_b64 s[26:27], vcc
	s_cbranch_execz .LBB6_4184
; %bb.4179:                             ;   in Loop: Header=BB6_4173 Depth=3
	v_cmp_ne_u16_e32 vcc, s96, v3
	v_bfrev_b32_e32 v4, 1
	s_and_saveexec_b64 s[94:95], vcc
	s_cbranch_execz .LBB6_4183
; %bb.4180:                             ;   in Loop: Header=BB6_4173 Depth=3
	v_and_b32_e32 v12, 0xffff, v3
	v_and_b32_e32 v5, 0x7f, v12
	v_cmp_ne_u32_e32 vcc, s86, v5
	v_mov_b32_e32 v4, 0x7f800001
	s_and_saveexec_b64 s[30:31], vcc
	s_cbranch_execz .LBB6_4182
; %bb.4181:                             ;   in Loop: Header=BB6_4173 Depth=3
	v_and_b32_e32 v6, 7, v12
	v_ffbh_u32_e32 v4, v6
	v_min_u32_e32 v13, 32, v4
	v_subrev_u32_e32 v4, 28, v13
	v_lshrrev_b32_e32 v7, 3, v5
	v_cmp_gt_u32_e32 vcc, 8, v5
	v_lshlrev_b64 v[4:5], v4, v[12:13]
	v_sub_u32_e32 v5, 29, v13
	v_and_b32_e32 v4, 7, v4
	v_cndmask_b32_e32 v5, v7, v5, vcc
	v_cndmask_b32_e32 v4, v6, v4, vcc
	v_lshlrev_b32_e32 v3, 24, v3
	v_bfrev_b32_e32 v6, 60
	v_lshlrev_b32_e32 v4, 20, v4
	v_and_b32_e32 v3, 0x80000000, v3
	v_lshl_add_u32 v5, v5, 23, v6
	v_or3_b32 v4, v3, v5, v4
.LBB6_4182:                             ;   in Loop: Header=BB6_4173 Depth=3
	s_or_b64 exec, exec, s[30:31]
.LBB6_4183:                             ;   in Loop: Header=BB6_4173 Depth=3
	s_or_b64 exec, exec, s[94:95]
.LBB6_4184:                             ;   in Loop: Header=BB6_4173 Depth=3
	s_or_b64 exec, exec, s[26:27]
	v_mul_f32_e32 v5, s45, v4
	v_and_b32_e32 v3, 0x7f800000, v5
	v_mov_b32_e32 v4, v51
	v_cmp_ne_u64_e32 vcc, s[76:77], v[3:4]
                                        ; implicit-def: $vgpr4
	s_and_saveexec_b64 s[26:27], vcc
	s_xor_b64 s[94:95], exec, s[26:27]
	s_cbranch_execz .LBB6_4202
; %bb.4185:                             ;   in Loop: Header=BB6_4173 Depth=3
	v_and_b32_e32 v3, 0x7fffffff, v5
	v_mov_b32_e32 v4, v51
	v_cmp_gt_u64_e32 vcc, s[78:79], v[3:4]
	v_and_b32_sdwa v3, v5, s96 dst_sel:DWORD dst_unused:UNUSED_PAD src0_sel:BYTE_3 src1_sel:DWORD
                                        ; implicit-def: $vgpr4
	s_and_saveexec_b64 s[26:27], vcc
	s_xor_b64 s[30:31], exec, s[26:27]
	s_cbranch_execz .LBB6_4199
; %bb.4186:                             ;   in Loop: Header=BB6_4173 Depth=3
	v_cmp_ne_u32_e32 vcc, 0, v5
	v_mov_b32_e32 v4, 0
	s_and_saveexec_b64 s[34:35], vcc
	s_cbranch_execz .LBB6_4198
; %bb.4187:                             ;   in Loop: Header=BB6_4173 Depth=3
	v_bfe_u32 v4, v5, 23, 8
	v_and_b32_e32 v6, 0x7fffff, v5
	v_cmp_gt_u32_e64 s[26:27], s97, v4
	v_sub_u32_e32 v5, 0x79, v4
	v_cmp_eq_u32_e32 vcc, 0, v4
	v_cndmask_b32_e64 v5, 0, v5, s[26:27]
	v_mov_b32_e32 v12, 0x78
	v_cndmask_b32_e32 v5, v5, v12, vcc
	v_add_u32_e32 v12, 20, v5
	v_or_b32_e32 v7, 0x800000, v6
	v_lshlrev_b64 v[12:13], v12, -1
	v_add_u32_e32 v14, 19, v5
	v_cndmask_b32_e32 v6, v7, v6, vcc
	v_lshlrev_b64 v[14:15], v14, 1
	v_mov_b32_e32 v7, v51
	v_bfi_b32 v13, v13, 0, 0
	v_bfi_b32 v12, v12, 0, v6
	v_cmp_eq_u64_e64 s[26:27], v[12:13], v[14:15]
	v_lshrrev_b64 v[12:13], v5, v[6:7]
	v_mov_b32_e32 v14, v13
	v_mov_b32_e32 v13, v12
	s_and_saveexec_b64 s[36:37], s[26:27]
; %bb.4188:                             ;   in Loop: Header=BB6_4173 Depth=3
	v_bfe_u32 v6, v12, 20, 1
	v_add_co_u32_e64 v6, s[26:27], v12, v6
	v_add_co_u32_e64 v13, s[26:27], -1, v6
; %bb.4189:                             ;   in Loop: Header=BB6_4173 Depth=3
	s_or_b64 exec, exec, s[36:37]
	v_add_u32_e32 v4, 0xffffff81, v4
	v_mov_b32_e32 v6, 0xffffff82
	v_cndmask_b32_e32 v4, v4, v6, vcc
	v_lshrrev_b32_e32 v6, 23, v12
	v_add3_u32 v6, v5, v4, v6
	v_add_u32_e32 v4, 6, v6
	v_and_b32_e32 v5, 0xfffff, v13
	v_add_u32_e32 v12, v5, v12
	v_mov_b32_e32 v13, v51
	v_cmp_ne_u32_e32 vcc, 0, v4
                                        ; implicit-def: $vgpr5
	s_and_saveexec_b64 s[26:27], vcc
	s_xor_b64 s[26:27], exec, s[26:27]
; %bb.4190:                             ;   in Loop: Header=BB6_4173 Depth=3
	v_cmp_lt_u64_e32 vcc, s[88:89], v[12:13]
	v_add_u32_e32 v5, 7, v6
	v_cndmask_b32_e32 v5, v4, v5, vcc
	v_cndmask_b32_e64 v4, 0, 1, vcc
	v_lshrrev_b64 v[12:13], v4, v[12:13]
; %bb.4191:                             ;   in Loop: Header=BB6_4173 Depth=3
	s_andn2_saveexec_b64 s[26:27], s[26:27]
; %bb.4192:                             ;   in Loop: Header=BB6_4173 Depth=3
	v_bfe_u32 v5, v12, 23, 1
; %bb.4193:                             ;   in Loop: Header=BB6_4173 Depth=3
	s_or_b64 exec, exec, s[26:27]
	v_lshrrev_b64 v[6:7], 20, v[12:13]
	v_cmp_gt_i32_e32 vcc, 16, v5
	v_cndmask_b32_e32 v13, 0, v7, vcc
	v_cndmask_b32_e32 v12, 7, v6, vcc
	v_cmp_ne_u64_e32 vcc, 0, v[12:13]
	v_cmp_ne_u32_e64 s[26:27], 0, v5
	s_or_b64 s[26:27], s[26:27], vcc
                                        ; implicit-def: $vgpr4
	s_and_saveexec_b64 vcc, s[26:27]
	s_xor_b64 s[26:27], exec, vcc
; %bb.4194:                             ;   in Loop: Header=BB6_4173 Depth=3
	v_min_i32_e32 v4, 15, v5
	v_lshl_or_b32 v3, v4, 3, v3
	v_and_or_b32 v4, v12, 7, v3
                                        ; implicit-def: $vgpr3
; %bb.4195:                             ;   in Loop: Header=BB6_4173 Depth=3
	s_andn2_saveexec_b64 s[26:27], s[26:27]
; %bb.4196:                             ;   in Loop: Header=BB6_4173 Depth=3
	v_mov_b32_e32 v4, v3
; %bb.4197:                             ;   in Loop: Header=BB6_4173 Depth=3
	s_or_b64 exec, exec, s[26:27]
.LBB6_4198:                             ;   in Loop: Header=BB6_4173 Depth=3
	s_or_b64 exec, exec, s[34:35]
                                        ; implicit-def: $vgpr3
.LBB6_4199:                             ;   in Loop: Header=BB6_4173 Depth=3
	s_andn2_saveexec_b64 s[26:27], s[30:31]
; %bb.4200:                             ;   in Loop: Header=BB6_4173 Depth=3
	v_or_b32_e32 v4, 0x7e, v3
; %bb.4201:                             ;   in Loop: Header=BB6_4173 Depth=3
	s_or_b64 exec, exec, s[26:27]
                                        ; implicit-def: $vgpr5
.LBB6_4202:                             ;   in Loop: Header=BB6_4173 Depth=3
	s_andn2_saveexec_b64 s[26:27], s[94:95]
	s_cbranch_execz .LBB6_4172
; %bb.4203:                             ;   in Loop: Header=BB6_4173 Depth=3
	v_or_b32_sdwa v4, v5, s86 dst_sel:DWORD dst_unused:UNUSED_PAD src0_sel:BYTE_3 src1_sel:DWORD
	s_branch .LBB6_4172
.LBB6_4204:                             ;   in Loop: Header=BB6_57 Depth=2
	s_or_b64 exec, exec, s[28:29]
	buffer_load_dword v0, off, s[0:3], s33 offset:604 ; 4-byte Folded Reload
	s_waitcnt vmcnt(0)
	v_cmp_lt_i32_e64 s[26:27], 0, v0
	s_and_saveexec_b64 s[28:29], s[12:13]
	s_cbranch_execz .LBB6_128
.LBB6_4205:                             ;   in Loop: Header=BB6_57 Depth=2
	s_and_saveexec_b64 s[92:93], s[58:59]
	s_xor_b64 s[92:93], exec, s[92:93]
	s_cbranch_execz .LBB6_4220
; %bb.4206:                             ;   in Loop: Header=BB6_57 Depth=2
	s_and_saveexec_b64 s[94:95], s[6:7]
	s_cbranch_execz .LBB6_4219
; %bb.4207:                             ;   in Loop: Header=BB6_57 Depth=2
	s_mov_b64 s[34:35], exec
	v_mbcnt_lo_u32_b32 v0, s34, 0
	v_mbcnt_hi_u32_b32 v0, s35, v0
	v_cmp_eq_u32_e32 vcc, 0, v0
	s_waitcnt vmcnt(0) lgkmcnt(0)
	buffer_wbinvl1_vol
	s_and_saveexec_b64 s[30:31], vcc
	s_cbranch_execz .LBB6_4209
; %bb.4208:                             ;   in Loop: Header=BB6_57 Depth=2
	s_bcnt1_i32_b64 s45, s[34:35]
	v_mov_b32_e32 v0, s45
	v_mov_b32_e32 v1, v51
	ds_add_u64 v0, v[0:1]
	s_trap 2
.LBB6_4209:                             ;   in Loop: Header=BB6_57 Depth=2
	s_or_b64 exec, exec, s[30:31]
	s_trap 2
	ds_read_b64 v[0:1], v0
	s_waitcnt lgkmcnt(0)
	buffer_load_dword v2, off, s[0:3], s33 offset:76 ; 4-byte Folded Reload
	buffer_load_dword v3, off, s[0:3], s33 offset:80 ; 4-byte Folded Reload
	;; [unrolled: 1-line block ×3, first 2 shown]
	s_waitcnt vmcnt(0)
	v_add_co_u32_e32 v2, vcc, v2, v4
	v_addc_co_u32_e32 v3, vcc, 0, v3, vcc
	buffer_store_dword v2, off, s[0:3], s33 offset:76 ; 4-byte Folded Spill
	s_nop 0
	buffer_store_dword v3, off, s[0:3], s33 offset:80 ; 4-byte Folded Spill
	v_cmp_lt_u64_e32 vcc, v[0:1], v[2:3]
	s_and_saveexec_b64 s[30:31], vcc
	s_cbranch_execz .LBB6_4218
; %bb.4210:                             ;   in Loop: Header=BB6_57 Depth=2
	s_mov_b32 s45, 0
	s_mov_b64 s[34:35], 0
                                        ; implicit-def: $sgpr36_sgpr37
                                        ; implicit-def: $sgpr38_sgpr39
	s_branch .LBB6_4212
.LBB6_4211:                             ;   in Loop: Header=BB6_4212 Depth=3
	s_or_b64 exec, exec, s[50:51]
	s_and_b64 vcc, exec, vcc
	s_or_b64 s[34:35], vcc, s[34:35]
	s_andn2_b64 vcc, s[36:37], exec
	s_and_b64 s[36:37], s[38:39], exec
	s_or_b64 s[36:37], vcc, s[36:37]
	s_andn2_b64 exec, exec, s[34:35]
	s_cbranch_execz .LBB6_4216
.LBB6_4212:                             ;   Parent Loop BB6_47 Depth=1
                                        ;     Parent Loop BB6_57 Depth=2
                                        ; =>    This Inner Loop Header: Depth=3
	s_add_i32 s45, s45, 1
	s_cmpk_lg_i32 s45, 0x2710
	s_cselect_b64 s[48:49], -1, 0
	s_and_b64 vcc, exec, s[48:49]
	s_cbranch_vccz .LBB6_4214
; %bb.4213:                             ;   in Loop: Header=BB6_4212 Depth=3
	s_mov_b64 vcc, -1
	s_or_b64 s[38:39], s[38:39], exec
	s_and_saveexec_b64 s[50:51], s[48:49]
	s_cbranch_execz .LBB6_4211
	s_branch .LBB6_4215
.LBB6_4214:                             ;   in Loop: Header=BB6_4212 Depth=3
	s_trap 2
	ds_read_b64 v[0:1], v0
	s_andn2_b64 s[48:49], s[48:49], exec
	s_mov_b32 s45, 0
	s_waitcnt vmcnt(0) lgkmcnt(0)
	flat_load_dword v0, v[0:1] glc
	s_waitcnt vmcnt(0) lgkmcnt(0)
	buffer_wbinvl1_vol
	v_cmp_eq_u32_e32 vcc, 0, v0
	s_and_b64 vcc, vcc, exec
	s_or_b64 s[48:49], s[48:49], vcc
	s_mov_b64 vcc, -1
	s_or_b64 s[38:39], s[38:39], exec
	s_and_saveexec_b64 s[50:51], s[48:49]
	s_cbranch_execz .LBB6_4211
.LBB6_4215:                             ;   in Loop: Header=BB6_4212 Depth=3
	s_sleep 1
	s_trap 2
	ds_read_b64 v[0:1], v0
	s_waitcnt lgkmcnt(0)
	buffer_load_dword v2, off, s[0:3], s33 offset:76 ; 4-byte Folded Reload
	buffer_load_dword v3, off, s[0:3], s33 offset:80 ; 4-byte Folded Reload
	s_andn2_b64 s[38:39], s[38:39], exec
	s_waitcnt vmcnt(0)
	v_cmp_ge_u64_e32 vcc, v[0:1], v[2:3]
	s_orn2_b64 vcc, vcc, exec
	s_branch .LBB6_4211
.LBB6_4216:                             ;   in Loop: Header=BB6_57 Depth=2
	s_or_b64 exec, exec, s[34:35]
	s_and_saveexec_b64 vcc, s[36:37]
	s_xor_b64 vcc, exec, vcc
	s_cbranch_execz .LBB6_4218
; %bb.4217:                             ;   in Loop: Header=BB6_57 Depth=2
	v_mov_b32_e32 v0, 1
	ds_write_b32 v0, v0
	s_trap 2
.LBB6_4218:                             ;   in Loop: Header=BB6_57 Depth=2
	s_or_b64 exec, exec, s[30:31]
	;;#ASMSTART
	s_wakeup
	;;#ASMEND
.LBB6_4219:                             ;   in Loop: Header=BB6_57 Depth=2
	s_or_b64 exec, exec, s[94:95]
.LBB6_4220:                             ;   in Loop: Header=BB6_57 Depth=2
	s_andn2_saveexec_b64 s[92:93], s[92:93]
	s_cbranch_execz .LBB6_4222
; %bb.4221:                             ;   in Loop: Header=BB6_57 Depth=2
	s_waitcnt vmcnt(0) lgkmcnt(0)
	buffer_wbinvl1_vol
	s_barrier
.LBB6_4222:                             ;   in Loop: Header=BB6_57 Depth=2
	s_or_b64 exec, exec, s[92:93]
	s_or_b64 exec, exec, s[28:29]
                                        ; implicit-def: $vgpr0
	s_and_saveexec_b64 s[28:29], s[18:19]
	s_xor_b64 s[28:29], exec, s[28:29]
	s_cbranch_execnz .LBB6_129
.LBB6_4223:                             ;   in Loop: Header=BB6_57 Depth=2
	s_andn2_saveexec_b64 s[26:27], s[28:29]
	s_cbranch_execz .LBB6_132
.LBB6_4224:                             ;   in Loop: Header=BB6_57 Depth=2
	s_and_saveexec_b64 s[28:29], s[58:59]
	s_xor_b64 s[28:29], exec, s[28:29]
	s_cbranch_execz .LBB6_4239
; %bb.4225:                             ;   in Loop: Header=BB6_57 Depth=2
	s_and_saveexec_b64 s[92:93], s[6:7]
	s_cbranch_execz .LBB6_4238
; %bb.4226:                             ;   in Loop: Header=BB6_57 Depth=2
	s_mov_b64 s[30:31], exec
	v_mbcnt_lo_u32_b32 v0, s30, 0
	v_mbcnt_hi_u32_b32 v0, s31, v0
	v_cmp_eq_u32_e32 vcc, 0, v0
	;;#ASMSTART
	s_waitcnt lgkmcnt(0) vmcnt(0)
	;;#ASMEND
	s_and_saveexec_b64 s[94:95], vcc
	s_cbranch_execz .LBB6_4228
; %bb.4227:                             ;   in Loop: Header=BB6_57 Depth=2
	s_bcnt1_i32_b64 s45, s[30:31]
	v_mov_b32_e32 v0, s45
	v_mov_b32_e32 v1, v51
	s_waitcnt lgkmcnt(0)
	ds_add_u64 v0, v[0:1]
	s_trap 2
.LBB6_4228:                             ;   in Loop: Header=BB6_57 Depth=2
	s_or_b64 exec, exec, s[94:95]
	s_trap 2
	ds_read_b64 v[0:1], v0
	s_waitcnt lgkmcnt(0)
	buffer_load_dword v2, off, s[0:3], s33 offset:76 ; 4-byte Folded Reload
	buffer_load_dword v3, off, s[0:3], s33 offset:80 ; 4-byte Folded Reload
	;; [unrolled: 1-line block ×3, first 2 shown]
	s_waitcnt vmcnt(0)
	v_add_co_u32_e32 v2, vcc, v2, v4
	v_addc_co_u32_e32 v3, vcc, 0, v3, vcc
	buffer_store_dword v2, off, s[0:3], s33 offset:76 ; 4-byte Folded Spill
	s_nop 0
	buffer_store_dword v3, off, s[0:3], s33 offset:80 ; 4-byte Folded Spill
	v_cmp_lt_u64_e32 vcc, v[0:1], v[2:3]
	s_and_saveexec_b64 s[94:95], vcc
	s_cbranch_execz .LBB6_4237
; %bb.4229:                             ;   in Loop: Header=BB6_57 Depth=2
	s_mov_b32 s45, 0
	s_mov_b64 s[30:31], 0
                                        ; implicit-def: $sgpr34_sgpr35
                                        ; implicit-def: $sgpr36_sgpr37
	s_branch .LBB6_4231
.LBB6_4230:                             ;   in Loop: Header=BB6_4231 Depth=3
	s_or_b64 exec, exec, s[48:49]
	s_and_b64 vcc, exec, vcc
	s_or_b64 s[30:31], vcc, s[30:31]
	s_andn2_b64 vcc, s[34:35], exec
	s_and_b64 s[34:35], s[36:37], exec
	s_or_b64 s[34:35], vcc, s[34:35]
	s_andn2_b64 exec, exec, s[30:31]
	s_cbranch_execz .LBB6_4235
.LBB6_4231:                             ;   Parent Loop BB6_47 Depth=1
                                        ;     Parent Loop BB6_57 Depth=2
                                        ; =>    This Inner Loop Header: Depth=3
	s_add_i32 s45, s45, 1
	s_cmpk_lg_i32 s45, 0x2710
	s_cselect_b64 s[38:39], -1, 0
	s_and_b64 vcc, exec, s[38:39]
	s_cbranch_vccz .LBB6_4233
; %bb.4232:                             ;   in Loop: Header=BB6_4231 Depth=3
	s_mov_b64 vcc, -1
	s_or_b64 s[36:37], s[36:37], exec
	s_and_saveexec_b64 s[48:49], s[38:39]
	s_cbranch_execz .LBB6_4230
	s_branch .LBB6_4234
.LBB6_4233:                             ;   in Loop: Header=BB6_4231 Depth=3
	s_trap 2
	ds_read_b64 v[0:1], v0
	s_andn2_b64 s[38:39], s[38:39], exec
	s_mov_b32 s45, 0
	s_waitcnt vmcnt(0) lgkmcnt(0)
	flat_load_dword v0, v[0:1] glc
	s_waitcnt vmcnt(0) lgkmcnt(0)
	buffer_wbinvl1_vol
	v_cmp_eq_u32_e32 vcc, 0, v0
	s_and_b64 vcc, vcc, exec
	s_or_b64 s[38:39], s[38:39], vcc
	s_mov_b64 vcc, -1
	s_or_b64 s[36:37], s[36:37], exec
	s_and_saveexec_b64 s[48:49], s[38:39]
	s_cbranch_execz .LBB6_4230
.LBB6_4234:                             ;   in Loop: Header=BB6_4231 Depth=3
	s_sleep 1
	s_trap 2
	ds_read_b64 v[0:1], v0
	s_waitcnt lgkmcnt(0)
	buffer_load_dword v2, off, s[0:3], s33 offset:76 ; 4-byte Folded Reload
	buffer_load_dword v3, off, s[0:3], s33 offset:80 ; 4-byte Folded Reload
	s_andn2_b64 s[36:37], s[36:37], exec
	s_waitcnt vmcnt(0)
	v_cmp_ge_u64_e32 vcc, v[0:1], v[2:3]
	s_orn2_b64 vcc, vcc, exec
	s_branch .LBB6_4230
.LBB6_4235:                             ;   in Loop: Header=BB6_57 Depth=2
	s_or_b64 exec, exec, s[30:31]
	s_and_saveexec_b64 vcc, s[34:35]
	s_xor_b64 vcc, exec, vcc
	s_cbranch_execz .LBB6_4237
; %bb.4236:                             ;   in Loop: Header=BB6_57 Depth=2
	v_mov_b32_e32 v0, 1
	ds_write_b32 v0, v0
	s_trap 2
.LBB6_4237:                             ;   in Loop: Header=BB6_57 Depth=2
	s_or_b64 exec, exec, s[94:95]
	;;#ASMSTART
	s_wakeup
	;;#ASMEND
.LBB6_4238:                             ;   in Loop: Header=BB6_57 Depth=2
	s_or_b64 exec, exec, s[92:93]
.LBB6_4239:                             ;   in Loop: Header=BB6_57 Depth=2
	s_andn2_saveexec_b64 s[28:29], s[28:29]
	s_cbranch_execz .LBB6_4241
; %bb.4240:                             ;   in Loop: Header=BB6_57 Depth=2
	;;#ASMSTART
	s_waitcnt lgkmcnt(0) vmcnt(0)
	;;#ASMEND
	s_waitcnt vmcnt(0) lgkmcnt(0)
	s_barrier
.LBB6_4241:                             ;   in Loop: Header=BB6_57 Depth=2
	s_or_b64 exec, exec, s[28:29]
	buffer_load_dword v0, off, s[0:3], s33 offset:72 ; 4-byte Folded Reload
	s_waitcnt vmcnt(0)
	v_and_b32_e32 v0, 16, v0
	s_or_b64 exec, exec, s[26:27]
	v_cmp_ne_u32_e32 vcc, 0, v0
	s_and_saveexec_b64 s[26:27], vcc
	s_cbranch_execz .LBB6_56
.LBB6_4242:                             ;   in Loop: Header=BB6_57 Depth=2
	s_and_saveexec_b64 s[28:29], s[22:23]
	s_cbranch_execz .LBB6_55
; %bb.4243:                             ;   in Loop: Header=BB6_57 Depth=2
	buffer_load_dword v0, off, s[0:3], s33 offset:348 ; 4-byte Folded Reload
	buffer_load_dword v1, off, s[0:3], s33 offset:352 ; 4-byte Folded Reload
	v_mov_b32_e32 v2, 1
	s_waitcnt vmcnt(0)
	flat_store_dword v[0:1], v2
	s_branch .LBB6_55
.LBB6_4244:                             ;   in Loop: Header=BB6_47 Depth=1
	s_or_b64 exec, exec, s[42:43]
.LBB6_4245:                             ;   in Loop: Header=BB6_47 Depth=1
	s_or_b64 exec, exec, s[40:41]
	v_cmp_gt_i32_e32 vcc, 2, v0
	s_and_saveexec_b64 s[28:29], vcc
	s_cbranch_execz .LBB6_4317
; %bb.4246:                             ;   in Loop: Header=BB6_47 Depth=1
	v_cmp_eq_u32_e64 s[42:43], 0, v0
	s_mov_b64 s[40:41], 0
	s_branch .LBB6_4249
.LBB6_4247:                             ;   in Loop: Header=BB6_4249 Depth=2
	s_or_b64 exec, exec, s[42:43]
	buffer_load_dword v2, off, s[0:3], s33 offset:84 ; 4-byte Folded Reload
	buffer_load_dword v3, off, s[0:3], s33 offset:88 ; 4-byte Folded Reload
	;; [unrolled: 1-line block ×4, first 2 shown]
	s_waitcnt vmcnt(0)
	v_add_co_u32_e32 v2, vcc, 2, v2
	v_addc_co_u32_e32 v3, vcc, 0, v3, vcc
	buffer_store_dword v2, off, s[0:3], s33 offset:84 ; 4-byte Folded Spill
	s_nop 0
	buffer_store_dword v3, off, s[0:3], s33 offset:88 ; 4-byte Folded Spill
	flat_store_dwordx2 v[0:1], v[2:3]
.LBB6_4248:                             ;   in Loop: Header=BB6_4249 Depth=2
	s_or_b64 exec, exec, s[26:27]
	v_add_u32_e32 v47, v45, v47
	s_mov_b64 s[42:43], 0
	s_andn2_b64 exec, exec, s[40:41]
	s_cbranch_execz .LBB6_4316
.LBB6_4249:                             ;   Parent Loop BB6_47 Depth=1
                                        ; =>  This Loop Header: Depth=2
                                        ;       Child Loop BB6_4255 Depth 3
                                        ;       Child Loop BB6_4279 Depth 3
	;; [unrolled: 1-line block ×3, first 2 shown]
	v_sub_u32_e32 v0, v44, v47
	v_min_i32_e32 v45, v45, v0
	buffer_load_dword v0, off, s[0:3], s33 offset:72 ; 4-byte Folded Reload
	s_waitcnt vmcnt(0)
	v_and_b32_e32 v0, 8, v0
	v_cmp_ne_u32_e32 vcc, 0, v0
	s_and_saveexec_b64 s[90:91], vcc
	s_cbranch_execz .LBB6_4271
; %bb.4250:                             ;   in Loop: Header=BB6_4249 Depth=2
	buffer_load_dword v0, off, s[0:3], s33 offset:56 ; 4-byte Folded Reload
	buffer_load_dword v1, off, s[0:3], s33 offset:60 ; 4-byte Folded Reload
	;; [unrolled: 1-line block ×4, first 2 shown]
	s_waitcnt vmcnt(0)
	v_add_co_u32_e32 v0, vcc, 8, v0
	v_addc_co_u32_e32 v1, vcc, 0, v1, vcc
	v_add_co_u32_e32 v8, vcc, 2, v2
	v_addc_co_u32_e32 v9, vcc, 0, v3, vcc
	v_cmp_lt_u64_e32 vcc, v[0:1], v[8:9]
	s_and_saveexec_b64 s[92:93], vcc
	s_cbranch_execz .LBB6_4262
; %bb.4251:                             ;   in Loop: Header=BB6_4249 Depth=2
	buffer_load_dword v0, off, s[0:3], s33 offset:72 ; 4-byte Folded Reload
	s_mov_b32 s9, 0
	s_mov_b64 s[94:95], 0
                                        ; implicit-def: $sgpr30_sgpr31
                                        ; implicit-def: $sgpr34_sgpr35
                                        ; implicit-def: $sgpr36_sgpr37
	s_waitcnt vmcnt(0)
	v_and_b32_e32 v0, 64, v0
	v_cmp_eq_u32_e32 vcc, 0, v0
	s_branch .LBB6_4255
.LBB6_4252:                             ;   in Loop: Header=BB6_4255 Depth=3
	buffer_load_dword v1, off, s[0:3], s33 offset:56 ; 4-byte Folded Reload
	buffer_load_dword v2, off, s[0:3], s33 offset:60 ; 4-byte Folded Reload
	s_or_b64 s[50:51], s[50:51], exec
	s_waitcnt vmcnt(1)
	v_add_co_u32_e64 v1, s[26:27], 8, v1
	s_waitcnt vmcnt(0)
	v_addc_co_u32_e64 v2, s[26:27], 0, v2, s[26:27]
	v_cmp_ge_u64_e64 s[26:27], v[1:2], v[8:9]
	s_orn2_b64 s[48:49], s[26:27], exec
.LBB6_4253:                             ;   in Loop: Header=BB6_4255 Depth=3
	s_or_b64 exec, exec, s[54:55]
	s_andn2_b64 s[26:27], s[36:37], exec
	s_and_b64 s[36:37], s[50:51], exec
	s_or_b64 s[36:37], s[26:27], s[36:37]
	s_andn2_b64 s[26:27], s[34:35], exec
	s_and_b64 s[34:35], s[48:49], exec
	s_or_b64 s[34:35], s[26:27], s[34:35]
.LBB6_4254:                             ;   in Loop: Header=BB6_4255 Depth=3
	s_or_b64 exec, exec, s[38:39]
	s_and_b64 s[26:27], exec, s[34:35]
	s_or_b64 s[94:95], s[26:27], s[94:95]
	s_andn2_b64 s[26:27], s[30:31], exec
	s_and_b64 s[30:31], s[36:37], exec
	s_or_b64 s[30:31], s[26:27], s[30:31]
	s_andn2_b64 exec, exec, s[94:95]
	s_cbranch_execz .LBB6_4259
.LBB6_4255:                             ;   Parent Loop BB6_47 Depth=1
                                        ;     Parent Loop BB6_4249 Depth=2
                                        ; =>    This Inner Loop Header: Depth=3
	s_sleep 1
	buffer_load_dword v0, off, s[0:3], s33 offset:64 ; 4-byte Folded Reload
	buffer_load_dword v1, off, s[0:3], s33 offset:68 ; 4-byte Folded Reload
	s_or_b64 s[36:37], s[36:37], exec
	s_or_b64 s[34:35], s[34:35], exec
	s_waitcnt vmcnt(0)
	flat_load_dwordx2 v[0:1], v[0:1] glc
	s_waitcnt vmcnt(0) lgkmcnt(0)
	buffer_store_dword v0, off, s[0:3], s33 offset:56 ; 4-byte Folded Spill
	s_nop 0
	buffer_store_dword v1, off, s[0:3], s33 offset:60 ; 4-byte Folded Spill
                                        ; implicit-def: $vgpr0
	s_and_saveexec_b64 s[38:39], vcc
	s_cbranch_execz .LBB6_4254
; %bb.4256:                             ;   in Loop: Header=BB6_4255 Depth=3
	s_cmpk_lt_i32 s9, 0x270f
	s_cselect_b64 s[52:53], -1, 0
	s_cmpk_gt_i32 s9, 0x270e
	s_mov_b64 s[48:49], -1
	s_cbranch_scc0 .LBB6_4258
; %bb.4257:                             ;   in Loop: Header=BB6_4255 Depth=3
	s_trap 2
	ds_read_b64 v[0:1], v0
	s_andn2_b64 s[52:53], s[52:53], exec
	s_mov_b32 s9, 0
	s_mov_b64 s[50:51], 0
	s_waitcnt vmcnt(0) lgkmcnt(0)
	flat_load_dword v0, v[0:1] glc
	s_waitcnt vmcnt(0) lgkmcnt(0)
	buffer_wbinvl1_vol
	v_cmp_eq_u32_e64 s[26:27], 0, v0
	s_and_b64 s[26:27], s[26:27], exec
	s_or_b64 s[52:53], s[52:53], s[26:27]
	s_and_saveexec_b64 s[54:55], s[52:53]
	s_cbranch_execz .LBB6_4253
	s_branch .LBB6_4252
.LBB6_4258:                             ;   in Loop: Header=BB6_4255 Depth=3
	s_add_i32 s9, s9, 1
	s_mov_b64 s[50:51], -1
                                        ; implicit-def: $vgpr0
	s_and_saveexec_b64 s[54:55], s[52:53]
	s_cbranch_execz .LBB6_4253
	s_branch .LBB6_4252
.LBB6_4259:                             ;   in Loop: Header=BB6_4249 Depth=2
	s_or_b64 exec, exec, s[94:95]
	s_xor_b64 s[26:27], s[30:31], -1
	s_and_saveexec_b64 s[94:95], s[26:27]
	s_xor_b64 s[26:27], exec, s[94:95]
	s_cbranch_execz .LBB6_4261
; %bb.4260:                             ;   in Loop: Header=BB6_4249 Depth=2
	ds_write_b32 v0, v0
	s_trap 2
	buffer_load_dword v0, off, s[0:3], s33 offset:72 ; 4-byte Folded Reload
	s_waitcnt vmcnt(0)
	v_or_b32_e32 v0, 64, v0
	buffer_store_dword v0, off, s[0:3], s33 offset:72 ; 4-byte Folded Spill
.LBB6_4261:                             ;   in Loop: Header=BB6_4249 Depth=2
	s_or_b64 exec, exec, s[26:27]
.LBB6_4262:                             ;   in Loop: Header=BB6_4249 Depth=2
	s_or_b64 exec, exec, s[92:93]
	;;#ASMSTART
	s_wakeup
	;;#ASMEND
	buffer_load_dword v0, off, s[0:3], s33 offset:72 ; 4-byte Folded Reload
	s_mov_b64 s[26:27], -1
                                        ; implicit-def: $vgpr10_vgpr11
	s_waitcnt vmcnt(0)
	v_and_b32_e32 v0, 0x100, v0
	v_cmp_ne_u32_e32 vcc, 0, v0
	buffer_load_dword v0, off, s[0:3], s33 offset:84 ; 4-byte Folded Reload
	buffer_load_dword v1, off, s[0:3], s33 offset:88 ; 4-byte Folded Reload
	s_waitcnt vmcnt(0)
	v_and_b32_e32 v0, 7, v0
	s_and_saveexec_b64 s[92:93], vcc
	s_cbranch_execz .LBB6_4266
; %bb.4263:                             ;   in Loop: Header=BB6_4249 Depth=2
	buffer_load_dword v1, off, s[0:3], s33 offset:332 ; 4-byte Folded Reload
	buffer_load_dword v2, off, s[0:3], s33 offset:336 ; 4-byte Folded Reload
	;; [unrolled: 1-line block ×4, first 2 shown]
	v_ashrrev_i32_e32 v46, 31, v45
                                        ; implicit-def: $vgpr10_vgpr11
	s_waitcnt vmcnt(0)
	v_mad_u64_u32 v[4:5], s[26:27], v0, 24, v[1:2]
	flat_load_dword v1, v[4:5]
	s_nop 0
	flat_store_dwordx2 v[4:5], v[45:46] offset:8
	s_waitcnt vmcnt(0) lgkmcnt(0)
	v_cmp_ne_u32_e32 vcc, 1, v1
	v_cmp_eq_u32_e64 s[26:27], 1, v1
	s_and_saveexec_b64 s[94:95], s[26:27]
	s_cbranch_execz .LBB6_4265
; %bb.4264:                             ;   in Loop: Header=BB6_4249 Depth=2
	flat_load_dword v10, v[4:5] offset:4 glc
	s_waitcnt vmcnt(0) lgkmcnt(0)
	v_ashrrev_i32_e32 v11, 31, v10
.LBB6_4265:                             ;   in Loop: Header=BB6_4249 Depth=2
	s_or_b64 exec, exec, s[94:95]
	s_orn2_b64 s[26:27], vcc, exec
.LBB6_4266:                             ;   in Loop: Header=BB6_4249 Depth=2
	s_or_b64 exec, exec, s[92:93]
	s_and_saveexec_b64 s[92:93], s[26:27]
	s_cbranch_execz .LBB6_4268
; %bb.4267:                             ;   in Loop: Header=BB6_4249 Depth=2
	buffer_load_dword v1, off, s[0:3], s33 offset:368 ; 4-byte Folded Reload
	s_waitcnt vmcnt(0)
	v_mad_i64_i32 v[10:11], s[26:27], v0, v1, 0
.LBB6_4268:                             ;   in Loop: Header=BB6_4249 Depth=2
	s_or_b64 exec, exec, s[92:93]
	buffer_load_dword v0, off, s[0:3], s33 offset:324 ; 4-byte Folded Reload
	buffer_load_dword v1, off, s[0:3], s33 offset:328 ; 4-byte Folded Reload
	s_waitcnt vmcnt(0)
	v_add_co_u32_e32 v0, vcc, v0, v10
	v_addc_co_u32_e32 v1, vcc, v1, v11, vcc
	ds_write_b64 v0, v[0:1] offset:784
	buffer_load_dword v0, off, s[0:3], s33 offset:72 ; 4-byte Folded Reload
	s_waitcnt vmcnt(0)
	v_and_b32_e32 v0, 0x2000, v0
	v_cmp_ne_u32_e32 vcc, 0, v0
	s_and_saveexec_b64 s[26:27], vcc
	s_cbranch_execz .LBB6_4270
; %bb.4269:                             ;   in Loop: Header=BB6_4249 Depth=2
	ds_read_b64 v[0:1], v0 offset:872
	s_waitcnt lgkmcnt(0)
	v_add_co_u32_e32 v0, vcc, 1, v0
	v_addc_co_u32_e32 v1, vcc, 0, v1, vcc
	ds_write_b64 v0, v[0:1] offset:872
.LBB6_4270:                             ;   in Loop: Header=BB6_4249 Depth=2
	s_or_b64 exec, exec, s[26:27]
	buffer_store_dword v8, off, s[0:3], s33 offset:84 ; 4-byte Folded Spill
	s_nop 0
	buffer_store_dword v9, off, s[0:3], s33 offset:88 ; 4-byte Folded Spill
.LBB6_4271:                             ;   in Loop: Header=BB6_4249 Depth=2
	s_or_b64 exec, exec, s[90:91]
	s_xor_b64 s[26:27], s[42:43], -1
	s_and_b64 s[26:27], exec, s[26:27]
	s_or_b64 s[40:41], s[26:27], s[40:41]
	s_and_saveexec_b64 s[26:27], s[12:13]
	s_cbranch_execz .LBB6_4290
; %bb.4272:                             ;   in Loop: Header=BB6_4249 Depth=2
	s_and_saveexec_b64 s[42:43], s[58:59]
	s_xor_b64 s[42:43], exec, s[42:43]
	s_cbranch_execz .LBB6_4287
; %bb.4273:                             ;   in Loop: Header=BB6_4249 Depth=2
	s_and_saveexec_b64 s[90:91], s[6:7]
	s_cbranch_execz .LBB6_4286
; %bb.4274:                             ;   in Loop: Header=BB6_4249 Depth=2
	s_mov_b64 s[94:95], exec
	v_mbcnt_lo_u32_b32 v0, s94, 0
	v_mbcnt_hi_u32_b32 v0, s95, v0
	v_cmp_eq_u32_e32 vcc, 0, v0
	s_waitcnt vmcnt(0) lgkmcnt(0)
	buffer_wbinvl1_vol
	s_and_saveexec_b64 s[92:93], vcc
	s_cbranch_execz .LBB6_4276
; %bb.4275:                             ;   in Loop: Header=BB6_4249 Depth=2
	s_bcnt1_i32_b64 s9, s[94:95]
	v_mov_b32_e32 v0, s9
	v_mov_b32_e32 v1, v51
	ds_add_u64 v0, v[0:1]
	s_trap 2
.LBB6_4276:                             ;   in Loop: Header=BB6_4249 Depth=2
	s_or_b64 exec, exec, s[92:93]
	s_trap 2
	ds_read_b64 v[0:1], v0
	s_waitcnt lgkmcnt(0)
	buffer_load_dword v2, off, s[0:3], s33 offset:76 ; 4-byte Folded Reload
	buffer_load_dword v3, off, s[0:3], s33 offset:80 ; 4-byte Folded Reload
	;; [unrolled: 1-line block ×3, first 2 shown]
	s_waitcnt vmcnt(0)
	v_add_co_u32_e32 v2, vcc, v2, v4
	v_addc_co_u32_e32 v3, vcc, 0, v3, vcc
	buffer_store_dword v2, off, s[0:3], s33 offset:76 ; 4-byte Folded Spill
	s_nop 0
	buffer_store_dword v3, off, s[0:3], s33 offset:80 ; 4-byte Folded Spill
	v_cmp_lt_u64_e32 vcc, v[0:1], v[2:3]
	s_and_saveexec_b64 s[92:93], vcc
	s_cbranch_execz .LBB6_4285
; %bb.4277:                             ;   in Loop: Header=BB6_4249 Depth=2
	s_mov_b32 s9, 0
	s_mov_b64 s[94:95], 0
                                        ; implicit-def: $sgpr30_sgpr31
                                        ; implicit-def: $sgpr34_sgpr35
	s_branch .LBB6_4279
.LBB6_4278:                             ;   in Loop: Header=BB6_4279 Depth=3
	s_or_b64 exec, exec, s[38:39]
	s_and_b64 vcc, exec, vcc
	s_or_b64 s[94:95], vcc, s[94:95]
	s_andn2_b64 vcc, s[30:31], exec
	s_and_b64 s[30:31], s[34:35], exec
	s_or_b64 s[30:31], vcc, s[30:31]
	s_andn2_b64 exec, exec, s[94:95]
	s_cbranch_execz .LBB6_4283
.LBB6_4279:                             ;   Parent Loop BB6_47 Depth=1
                                        ;     Parent Loop BB6_4249 Depth=2
                                        ; =>    This Inner Loop Header: Depth=3
	s_add_i32 s9, s9, 1
	s_cmpk_lg_i32 s9, 0x2710
	s_cselect_b64 s[36:37], -1, 0
	s_and_b64 vcc, exec, s[36:37]
	s_cbranch_vccz .LBB6_4281
; %bb.4280:                             ;   in Loop: Header=BB6_4279 Depth=3
	s_mov_b64 vcc, -1
	s_or_b64 s[34:35], s[34:35], exec
	s_and_saveexec_b64 s[38:39], s[36:37]
	s_cbranch_execz .LBB6_4278
	s_branch .LBB6_4282
.LBB6_4281:                             ;   in Loop: Header=BB6_4279 Depth=3
	s_trap 2
	ds_read_b64 v[0:1], v0
	s_andn2_b64 s[36:37], s[36:37], exec
	s_mov_b32 s9, 0
	s_waitcnt vmcnt(0) lgkmcnt(0)
	flat_load_dword v0, v[0:1] glc
	s_waitcnt vmcnt(0) lgkmcnt(0)
	buffer_wbinvl1_vol
	v_cmp_eq_u32_e32 vcc, 0, v0
	s_and_b64 vcc, vcc, exec
	s_or_b64 s[36:37], s[36:37], vcc
	s_mov_b64 vcc, -1
	s_or_b64 s[34:35], s[34:35], exec
	s_and_saveexec_b64 s[38:39], s[36:37]
	s_cbranch_execz .LBB6_4278
.LBB6_4282:                             ;   in Loop: Header=BB6_4279 Depth=3
	s_sleep 1
	s_trap 2
	ds_read_b64 v[0:1], v0
	s_waitcnt lgkmcnt(0)
	buffer_load_dword v2, off, s[0:3], s33 offset:76 ; 4-byte Folded Reload
	buffer_load_dword v3, off, s[0:3], s33 offset:80 ; 4-byte Folded Reload
	s_andn2_b64 s[34:35], s[34:35], exec
	s_waitcnt vmcnt(0)
	v_cmp_ge_u64_e32 vcc, v[0:1], v[2:3]
	s_orn2_b64 vcc, vcc, exec
	s_branch .LBB6_4278
.LBB6_4283:                             ;   in Loop: Header=BB6_4249 Depth=2
	s_or_b64 exec, exec, s[94:95]
	s_and_saveexec_b64 s[94:95], s[30:31]
	s_xor_b64 s[94:95], exec, s[94:95]
	s_cbranch_execz .LBB6_4285
; %bb.4284:                             ;   in Loop: Header=BB6_4249 Depth=2
	v_mov_b32_e32 v0, 1
	ds_write_b32 v0, v0
	s_trap 2
.LBB6_4285:                             ;   in Loop: Header=BB6_4249 Depth=2
	s_or_b64 exec, exec, s[92:93]
	;;#ASMSTART
	s_wakeup
	;;#ASMEND
.LBB6_4286:                             ;   in Loop: Header=BB6_4249 Depth=2
	s_or_b64 exec, exec, s[90:91]
.LBB6_4287:                             ;   in Loop: Header=BB6_4249 Depth=2
	s_andn2_saveexec_b64 s[42:43], s[42:43]
	s_cbranch_execz .LBB6_4289
; %bb.4288:                             ;   in Loop: Header=BB6_4249 Depth=2
	s_waitcnt vmcnt(0) lgkmcnt(0)
	buffer_wbinvl1_vol
	s_barrier
.LBB6_4289:                             ;   in Loop: Header=BB6_4249 Depth=2
	s_or_b64 exec, exec, s[42:43]
.LBB6_4290:                             ;   in Loop: Header=BB6_4249 Depth=2
	s_or_b64 exec, exec, s[26:27]
                                        ; implicit-def: $vgpr0
	s_and_saveexec_b64 s[26:27], s[18:19]
	s_xor_b64 s[26:27], exec, s[26:27]
	s_cbranch_execz .LBB6_4295
; %bb.4291:                             ;   in Loop: Header=BB6_4249 Depth=2
	s_trap 2
	buffer_load_dword v1, off, s[0:3], s33 offset:72 ; 4-byte Folded Reload
	ds_read_b32 v0, v0
	v_cmp_lt_i32_e32 vcc, 0, v45
	s_waitcnt lgkmcnt(0)
	v_readfirstlane_b32 s9, v0
	s_cmp_eq_u32 s9, 0
	s_cselect_b64 s[42:43], -1, 0
	s_and_b64 s[42:43], vcc, s[42:43]
	s_waitcnt vmcnt(0)
	v_and_b32_e32 v0, 16, v1
	v_and_b32_e32 v1, 16, v1
	v_cmp_ne_u32_e32 vcc, 0, v1
	s_and_b64 s[90:91], vcc, s[42:43]
	s_and_saveexec_b64 s[42:43], s[90:91]
	s_cbranch_execz .LBB6_4293
; %bb.4292:                             ;   in Loop: Header=BB6_4249 Depth=2
	v_mov_b32_e32 v0, 1
	buffer_wbinvl1_vol
.LBB6_4293:                             ;   in Loop: Header=BB6_4249 Depth=2
	s_or_b64 exec, exec, s[42:43]
	s_andn2_saveexec_b64 s[26:27], s[26:27]
	s_cbranch_execnz .LBB6_4296
.LBB6_4294:                             ;   in Loop: Header=BB6_4249 Depth=2
	s_or_b64 exec, exec, s[26:27]
	v_cmp_ne_u32_e32 vcc, 0, v0
	s_and_saveexec_b64 s[26:27], vcc
	s_cbranch_execz .LBB6_4248
	s_branch .LBB6_4314
.LBB6_4295:                             ;   in Loop: Header=BB6_4249 Depth=2
	s_andn2_saveexec_b64 s[26:27], s[26:27]
	s_cbranch_execz .LBB6_4294
.LBB6_4296:                             ;   in Loop: Header=BB6_4249 Depth=2
	s_and_saveexec_b64 s[42:43], s[58:59]
	s_xor_b64 s[42:43], exec, s[42:43]
	s_cbranch_execz .LBB6_4311
; %bb.4297:                             ;   in Loop: Header=BB6_4249 Depth=2
	s_and_saveexec_b64 s[90:91], s[6:7]
	s_cbranch_execz .LBB6_4310
; %bb.4298:                             ;   in Loop: Header=BB6_4249 Depth=2
	s_mov_b64 s[94:95], exec
	v_mbcnt_lo_u32_b32 v0, s94, 0
	v_mbcnt_hi_u32_b32 v0, s95, v0
	v_cmp_eq_u32_e32 vcc, 0, v0
	;;#ASMSTART
	s_waitcnt lgkmcnt(0) vmcnt(0)
	;;#ASMEND
	s_and_saveexec_b64 s[92:93], vcc
	s_cbranch_execz .LBB6_4300
; %bb.4299:                             ;   in Loop: Header=BB6_4249 Depth=2
	s_bcnt1_i32_b64 s9, s[94:95]
	v_mov_b32_e32 v0, s9
	v_mov_b32_e32 v1, v51
	s_waitcnt lgkmcnt(0)
	ds_add_u64 v0, v[0:1]
	s_trap 2
.LBB6_4300:                             ;   in Loop: Header=BB6_4249 Depth=2
	s_or_b64 exec, exec, s[92:93]
	s_trap 2
	ds_read_b64 v[0:1], v0
	s_waitcnt lgkmcnt(0)
	buffer_load_dword v2, off, s[0:3], s33 offset:76 ; 4-byte Folded Reload
	buffer_load_dword v3, off, s[0:3], s33 offset:80 ; 4-byte Folded Reload
	;; [unrolled: 1-line block ×3, first 2 shown]
	s_waitcnt vmcnt(0)
	v_add_co_u32_e32 v2, vcc, v2, v4
	v_addc_co_u32_e32 v3, vcc, 0, v3, vcc
	buffer_store_dword v2, off, s[0:3], s33 offset:76 ; 4-byte Folded Spill
	s_nop 0
	buffer_store_dword v3, off, s[0:3], s33 offset:80 ; 4-byte Folded Spill
	v_cmp_lt_u64_e32 vcc, v[0:1], v[2:3]
	s_and_saveexec_b64 s[92:93], vcc
	s_cbranch_execz .LBB6_4309
; %bb.4301:                             ;   in Loop: Header=BB6_4249 Depth=2
	s_mov_b32 s9, 0
	s_mov_b64 s[94:95], 0
                                        ; implicit-def: $sgpr30_sgpr31
                                        ; implicit-def: $sgpr34_sgpr35
	s_branch .LBB6_4303
.LBB6_4302:                             ;   in Loop: Header=BB6_4303 Depth=3
	s_or_b64 exec, exec, s[38:39]
	s_and_b64 vcc, exec, vcc
	s_or_b64 s[94:95], vcc, s[94:95]
	s_andn2_b64 vcc, s[30:31], exec
	s_and_b64 s[30:31], s[34:35], exec
	s_or_b64 s[30:31], vcc, s[30:31]
	s_andn2_b64 exec, exec, s[94:95]
	s_cbranch_execz .LBB6_4307
.LBB6_4303:                             ;   Parent Loop BB6_47 Depth=1
                                        ;     Parent Loop BB6_4249 Depth=2
                                        ; =>    This Inner Loop Header: Depth=3
	s_add_i32 s9, s9, 1
	s_cmpk_lg_i32 s9, 0x2710
	s_cselect_b64 s[36:37], -1, 0
	s_and_b64 vcc, exec, s[36:37]
	s_cbranch_vccz .LBB6_4305
; %bb.4304:                             ;   in Loop: Header=BB6_4303 Depth=3
	s_mov_b64 vcc, -1
	s_or_b64 s[34:35], s[34:35], exec
	s_and_saveexec_b64 s[38:39], s[36:37]
	s_cbranch_execz .LBB6_4302
	s_branch .LBB6_4306
.LBB6_4305:                             ;   in Loop: Header=BB6_4303 Depth=3
	s_trap 2
	ds_read_b64 v[0:1], v0
	s_andn2_b64 s[36:37], s[36:37], exec
	s_mov_b32 s9, 0
	s_waitcnt vmcnt(0) lgkmcnt(0)
	flat_load_dword v0, v[0:1] glc
	s_waitcnt vmcnt(0) lgkmcnt(0)
	buffer_wbinvl1_vol
	v_cmp_eq_u32_e32 vcc, 0, v0
	s_and_b64 vcc, vcc, exec
	s_or_b64 s[36:37], s[36:37], vcc
	s_mov_b64 vcc, -1
	s_or_b64 s[34:35], s[34:35], exec
	s_and_saveexec_b64 s[38:39], s[36:37]
	s_cbranch_execz .LBB6_4302
.LBB6_4306:                             ;   in Loop: Header=BB6_4303 Depth=3
	s_sleep 1
	s_trap 2
	ds_read_b64 v[0:1], v0
	s_waitcnt lgkmcnt(0)
	buffer_load_dword v2, off, s[0:3], s33 offset:76 ; 4-byte Folded Reload
	buffer_load_dword v3, off, s[0:3], s33 offset:80 ; 4-byte Folded Reload
	s_andn2_b64 s[34:35], s[34:35], exec
	s_waitcnt vmcnt(0)
	v_cmp_ge_u64_e32 vcc, v[0:1], v[2:3]
	s_orn2_b64 vcc, vcc, exec
	s_branch .LBB6_4302
.LBB6_4307:                             ;   in Loop: Header=BB6_4249 Depth=2
	s_or_b64 exec, exec, s[94:95]
	s_and_saveexec_b64 s[94:95], s[30:31]
	s_xor_b64 s[94:95], exec, s[94:95]
	s_cbranch_execz .LBB6_4309
; %bb.4308:                             ;   in Loop: Header=BB6_4249 Depth=2
	v_mov_b32_e32 v0, 1
	ds_write_b32 v0, v0
	s_trap 2
.LBB6_4309:                             ;   in Loop: Header=BB6_4249 Depth=2
	s_or_b64 exec, exec, s[92:93]
	;;#ASMSTART
	s_wakeup
	;;#ASMEND
.LBB6_4310:                             ;   in Loop: Header=BB6_4249 Depth=2
	s_or_b64 exec, exec, s[90:91]
.LBB6_4311:                             ;   in Loop: Header=BB6_4249 Depth=2
	s_andn2_saveexec_b64 s[42:43], s[42:43]
	s_cbranch_execz .LBB6_4313
; %bb.4312:                             ;   in Loop: Header=BB6_4249 Depth=2
	;;#ASMSTART
	s_waitcnt lgkmcnt(0) vmcnt(0)
	;;#ASMEND
	s_waitcnt vmcnt(0) lgkmcnt(0)
	s_barrier
.LBB6_4313:                             ;   in Loop: Header=BB6_4249 Depth=2
	s_or_b64 exec, exec, s[42:43]
	buffer_load_dword v0, off, s[0:3], s33 offset:72 ; 4-byte Folded Reload
	s_waitcnt vmcnt(0)
	v_and_b32_e32 v0, 16, v0
	s_or_b64 exec, exec, s[26:27]
	v_cmp_ne_u32_e32 vcc, 0, v0
	s_and_saveexec_b64 s[26:27], vcc
	s_cbranch_execz .LBB6_4248
.LBB6_4314:                             ;   in Loop: Header=BB6_4249 Depth=2
	s_and_saveexec_b64 s[42:43], s[22:23]
	s_cbranch_execz .LBB6_4247
; %bb.4315:                             ;   in Loop: Header=BB6_4249 Depth=2
	buffer_load_dword v0, off, s[0:3], s33 offset:348 ; 4-byte Folded Reload
	buffer_load_dword v1, off, s[0:3], s33 offset:352 ; 4-byte Folded Reload
	v_mov_b32_e32 v2, 1
	s_waitcnt vmcnt(0)
	flat_store_dword v[0:1], v2
	s_branch .LBB6_4247
.LBB6_4316:                             ;   in Loop: Header=BB6_47 Depth=1
	s_or_b64 exec, exec, s[40:41]
.LBB6_4317:                             ;   in Loop: Header=BB6_47 Depth=1
	s_or_b64 exec, exec, s[28:29]
	v_cndmask_b32_e64 v0, 0, 1, s[62:63]
	v_cmp_ne_u32_e64 s[26:27], 1, v0
	s_andn2_b64 vcc, exec, s[62:63]
	s_cbranch_vccz .LBB6_4318
; %bb.23137:                            ;   in Loop: Header=BB6_47 Depth=1
	s_getpc_b64 s[98:99]
.Lpost_getpc32:
	s_add_u32 s98, s98, (.LBB6_10480-.Lpost_getpc32)&4294967295
	s_addc_u32 s99, s99, (.LBB6_10480-.Lpost_getpc32)>>32
	s_setpc_b64 s[98:99]
.LBB6_4318:                             ;   in Loop: Header=BB6_47 Depth=1
	s_mov_b32 s45, 2
	s_branch .LBB6_4321
.LBB6_4319:                             ;   in Loop: Header=BB6_4321 Depth=2
	s_or_b64 exec, exec, s[42:43]
.LBB6_4320:                             ;   in Loop: Header=BB6_4321 Depth=2
	s_or_b64 exec, exec, s[40:41]
	s_add_i32 s45, s45, 1
	s_cmp_eq_u32 s45, s66
	s_cbranch_scc0 .LBB6_4321
; %bb.23139:                            ;   in Loop: Header=BB6_47 Depth=1
	s_getpc_b64 s[98:99]
.Lpost_getpc33:
	s_add_u32 s98, s98, (.LBB6_10480-.Lpost_getpc33)&4294967295
	s_addc_u32 s99, s99, (.LBB6_10480-.Lpost_getpc33)>>32
	s_setpc_b64 s[98:99]
.LBB6_4321:                             ;   Parent Loop BB6_47 Depth=1
                                        ; =>  This Loop Header: Depth=2
                                        ;       Child Loop BB6_4324 Depth 3
                                        ;         Child Loop BB6_4332 Depth 4
                                        ;         Child Loop BB6_4360 Depth 4
	;; [unrolled: 1-line block ×9, first 2 shown]
                                        ;       Child Loop BB6_10408 Depth 3
                                        ;         Child Loop BB6_10414 Depth 4
                                        ;         Child Loop BB6_10442 Depth 4
	;; [unrolled: 1-line block ×3, first 2 shown]
	buffer_load_dword v2, off, s[0:3], s33 offset:592 ; 4-byte Folded Reload
	buffer_load_dword v3, off, s[0:3], s33 offset:596 ; 4-byte Folded Reload
	s_sub_i32 s9, s70, s45
	s_cmp_ge_i32 s9, s66
	s_cselect_b32 s28, s66, 0
	s_sub_i32 s9, s9, s28
	s_ashr_i32 s40, s9, 31
	s_waitcnt vmcnt(0)
	v_mad_u64_u32 v[4:5], s[28:29], v2, s9, 0
	v_mul_lo_u32 v0, v3, s9
	v_mul_lo_u32 v1, v2, s40
	v_add3_u32 v5, v5, v1, v0
	buffer_load_dword v0, off, s[0:3], s33 offset:584 ; 4-byte Folded Reload
	buffer_load_dword v1, off, s[0:3], s33 offset:588 ; 4-byte Folded Reload
	s_waitcnt vmcnt(0)
	v_sub_co_u32_e32 v0, vcc, v0, v4
	buffer_store_dword v4, off, s[0:3], s33 offset:420 ; 4-byte Folded Spill
	s_nop 0
	buffer_store_dword v5, off, s[0:3], s33 offset:424 ; 4-byte Folded Spill
	v_subb_co_u32_e32 v1, vcc, v1, v5, vcc
	v_cmp_lt_i64_e32 vcc, v[2:3], v[0:1]
	v_cndmask_b32_e32 v0, v0, v2, vcc
	v_max_i32_e32 v1, 0, v0
	buffer_store_dword v1, off, s[0:3], s33 offset:312 ; 4-byte Folded Spill
	v_add_u32_e32 v1, 31, v1
	v_lshrrev_b32_e32 v1, 1, v1
	v_and_b32_e32 v1, 0x3ffffff0, v1
	v_max_i32_e32 v1, s81, v1
	buffer_store_dword v1, off, s[0:3], s33 offset:296 ; 4-byte Folded Spill
	s_nop 0
	buffer_store_dword v2, off, s[0:3], s33 offset:300 ; 4-byte Folded Spill
	v_cmp_lt_i32_e32 vcc, 0, v0
	s_and_b64 s[28:29], s[74:75], vcc
	v_mov_b32_e32 v0, 0
	v_mov_b32_e32 v1, 0
	buffer_store_dword v1, off, s[0:3], s33 offset:308 ; 4-byte Folded Spill
	s_and_saveexec_b64 s[42:43], s[28:29]
	s_cbranch_execnz .LBB6_4322
; %bb.23141:                            ;   in Loop: Header=BB6_4321 Depth=2
	s_getpc_b64 s[98:99]
.Lpost_getpc34:
	s_add_u32 s98, s98, (.LBB6_10405-.Lpost_getpc34)&4294967295
	s_addc_u32 s99, s99, (.LBB6_10405-.Lpost_getpc34)>>32
	s_setpc_b64 s[98:99]
.LBB6_4322:                             ;   in Loop: Header=BB6_4321 Depth=2
	s_mov_b32 s68, 1
	s_mov_b64 s[92:93], -1
	v_mov_b32_e32 v0, 0
	s_mov_b64 s[90:91], 0
	buffer_store_dword v0, off, s[0:3], s33 offset:308 ; 4-byte Folded Spill
	s_branch .LBB6_4324
.LBB6_4323:                             ;   in Loop: Header=BB6_4324 Depth=3
	s_or_b64 exec, exec, s[28:29]
	buffer_load_dword v0, off, s[0:3], s33 offset:296 ; 4-byte Folded Reload
	buffer_load_dword v1, off, s[0:3], s33 offset:300 ; 4-byte Folded Reload
	buffer_load_dword v1, off, s[0:3], s33 offset:308 ; 4-byte Folded Reload
	s_xor_b64 s[28:29], s[92:93], -1
	s_mov_b64 s[92:93], 0
	s_waitcnt vmcnt(0)
	v_add_u32_e32 v1, v0, v1
	buffer_load_dword v0, off, s[0:3], s33 offset:312 ; 4-byte Folded Reload
	s_waitcnt vmcnt(0)
	v_cmp_ge_i32_e32 vcc, v1, v0
	s_or_b64 s[28:29], s[28:29], vcc
	s_and_b64 s[28:29], exec, s[28:29]
	s_or_b64 s[90:91], s[28:29], s[90:91]
	v_mov_b32_e32 v0, s68
	s_mov_b32 s68, 2
	buffer_store_dword v1, off, s[0:3], s33 offset:308 ; 4-byte Folded Spill
	s_andn2_b64 exec, exec, s[90:91]
	s_cbranch_execnz .LBB6_4324
; %bb.23143:                            ;   in Loop: Header=BB6_4321 Depth=2
	s_getpc_b64 s[98:99]
.Lpost_getpc35:
	s_add_u32 s98, s98, (.LBB6_10404-.Lpost_getpc35)&4294967295
	s_addc_u32 s99, s99, (.LBB6_10404-.Lpost_getpc35)>>32
	s_setpc_b64 s[98:99]
.LBB6_4324:                             ;   Parent Loop BB6_47 Depth=1
                                        ;     Parent Loop BB6_4321 Depth=2
                                        ; =>    This Loop Header: Depth=3
                                        ;         Child Loop BB6_4332 Depth 4
                                        ;         Child Loop BB6_4360 Depth 4
	;; [unrolled: 1-line block ×9, first 2 shown]
	s_and_saveexec_b64 s[28:29], s[4:5]
	s_cbranch_execz .LBB6_4326
; %bb.4325:                             ;   in Loop: Header=BB6_4324 Depth=3
	s_trap 2
	buffer_load_dword v2, off, s[0:3], s33 offset:412 ; 4-byte Folded Reload
	ds_read_b64 v[0:1], v0
	s_waitcnt vmcnt(0) lgkmcnt(0)
	v_add_co_u32_e32 v0, vcc, v0, v2
	buffer_load_dword v2, off, s[0:3], s33 offset:416 ; 4-byte Folded Reload
	s_waitcnt vmcnt(0)
	v_addc_co_u32_e32 v1, vcc, v1, v2, vcc
	buffer_load_dword v2, off, s[0:3], s33 offset:420 ; 4-byte Folded Reload
	buffer_load_dword v3, off, s[0:3], s33 offset:424 ; 4-byte Folded Reload
	s_waitcnt vmcnt(1)
	v_add_co_u32_e32 v0, vcc, v0, v2
	s_waitcnt vmcnt(0)
	v_addc_co_u32_e32 v1, vcc, v1, v3, vcc
	buffer_load_dword v3, off, s[0:3], s33 offset:308 ; 4-byte Folded Reload
	s_waitcnt vmcnt(0)
	v_ashrrev_i32_e32 v2, 31, v3
	v_add_co_u32_e32 v0, vcc, v0, v3
	v_addc_co_u32_e32 v1, vcc, v1, v2, vcc
	ds_write_b64 v0, v[0:1]
	v_mov_b32_e32 v0, v51
	v_mov_b32_e32 v1, v51
	ds_write_b64 v0, v[0:1]
.LBB6_4326:                             ;   in Loop: Header=BB6_4324 Depth=3
	s_or_b64 exec, exec, s[28:29]
	buffer_load_dword v0, off, s[0:3], s33 offset:312 ; 4-byte Folded Reload
	buffer_load_dword v1, off, s[0:3], s33 offset:308 ; 4-byte Folded Reload
	s_waitcnt vmcnt(0)
	v_sub_u32_e32 v0, v0, v1
	buffer_load_dword v1, off, s[0:3], s33 offset:296 ; 4-byte Folded Reload
	buffer_load_dword v2, off, s[0:3], s33 offset:300 ; 4-byte Folded Reload
	s_waitcnt vmcnt(0)
	v_min_i32_e32 v1, v1, v0
	buffer_store_dword v1, off, s[0:3], s33 offset:296 ; 4-byte Folded Spill
	s_nop 0
	buffer_store_dword v2, off, s[0:3], s33 offset:300 ; 4-byte Folded Spill
	buffer_load_dword v0, off, s[0:3], s33 offset:72 ; 4-byte Folded Reload
	s_waitcnt vmcnt(0)
	v_and_b32_e32 v0, 12, v0
	v_cmp_ne_u32_e32 vcc, 0, v0
	s_and_saveexec_b64 s[40:41], vcc
	s_cbranch_execz .LBB6_4352
; %bb.4327:                             ;   in Loop: Header=BB6_4324 Depth=3
	buffer_load_dword v0, off, s[0:3], s33 offset:72 ; 4-byte Folded Reload
	buffer_load_dword v1, off, s[0:3], s33 offset:56 ; 4-byte Folded Reload
	;; [unrolled: 1-line block ×5, first 2 shown]
	s_waitcnt vmcnt(0)
	v_and_b32_e32 v0, 8, v0
	v_add_co_u32_e32 v1, vcc, v1, v0
	v_addc_co_u32_e32 v2, vcc, 0, v2, vcc
	v_add_co_u32_e32 v8, vcc, 2, v3
	v_addc_co_u32_e32 v9, vcc, 0, v4, vcc
	v_cmp_lt_u64_e32 vcc, v[1:2], v[8:9]
	s_and_saveexec_b64 s[94:95], vcc
	s_cbranch_execz .LBB6_4339
; %bb.4328:                             ;   in Loop: Header=BB6_4324 Depth=3
	buffer_load_dword v1, off, s[0:3], s33 offset:72 ; 4-byte Folded Reload
	s_mov_b32 s9, 0
	s_mov_b64 s[30:31], 0
                                        ; implicit-def: $sgpr34_sgpr35
                                        ; implicit-def: $sgpr36_sgpr37
                                        ; implicit-def: $sgpr38_sgpr39
	s_waitcnt vmcnt(0)
	v_and_b32_e32 v1, 64, v1
	v_cmp_eq_u32_e32 vcc, 0, v1
	s_branch .LBB6_4332
.LBB6_4329:                             ;   in Loop: Header=BB6_4332 Depth=4
	buffer_load_dword v2, off, s[0:3], s33 offset:56 ; 4-byte Folded Reload
	buffer_load_dword v3, off, s[0:3], s33 offset:60 ; 4-byte Folded Reload
	s_or_b64 s[52:53], s[52:53], exec
	s_waitcnt vmcnt(1)
	v_add_co_u32_e64 v2, s[28:29], v2, v0
	s_waitcnt vmcnt(0)
	v_addc_co_u32_e64 v3, s[28:29], 0, v3, s[28:29]
	v_cmp_ge_u64_e64 s[28:29], v[2:3], v[8:9]
	s_orn2_b64 s[50:51], s[28:29], exec
.LBB6_4330:                             ;   in Loop: Header=BB6_4332 Depth=4
	s_or_b64 exec, exec, s[64:65]
	s_andn2_b64 s[28:29], s[38:39], exec
	s_and_b64 s[38:39], s[52:53], exec
	s_or_b64 s[38:39], s[28:29], s[38:39]
	s_andn2_b64 s[28:29], s[36:37], exec
	s_and_b64 s[36:37], s[50:51], exec
	s_or_b64 s[36:37], s[28:29], s[36:37]
.LBB6_4331:                             ;   in Loop: Header=BB6_4332 Depth=4
	s_or_b64 exec, exec, s[48:49]
	s_and_b64 s[28:29], exec, s[36:37]
	s_or_b64 s[30:31], s[28:29], s[30:31]
	s_andn2_b64 s[28:29], s[34:35], exec
	s_and_b64 s[34:35], s[38:39], exec
	s_or_b64 s[34:35], s[28:29], s[34:35]
	s_andn2_b64 exec, exec, s[30:31]
	s_cbranch_execz .LBB6_4336
.LBB6_4332:                             ;   Parent Loop BB6_47 Depth=1
                                        ;     Parent Loop BB6_4321 Depth=2
                                        ;       Parent Loop BB6_4324 Depth=3
                                        ; =>      This Inner Loop Header: Depth=4
	s_sleep 1
	buffer_load_dword v1, off, s[0:3], s33 offset:64 ; 4-byte Folded Reload
	buffer_load_dword v2, off, s[0:3], s33 offset:68 ; 4-byte Folded Reload
	s_or_b64 s[38:39], s[38:39], exec
	s_or_b64 s[36:37], s[36:37], exec
	s_waitcnt vmcnt(0)
	flat_load_dwordx2 v[1:2], v[1:2] glc
	s_waitcnt vmcnt(0) lgkmcnt(0)
	buffer_store_dword v1, off, s[0:3], s33 offset:56 ; 4-byte Folded Spill
	s_nop 0
	buffer_store_dword v2, off, s[0:3], s33 offset:60 ; 4-byte Folded Spill
                                        ; implicit-def: $vgpr1
	s_and_saveexec_b64 s[48:49], vcc
	s_cbranch_execz .LBB6_4331
; %bb.4333:                             ;   in Loop: Header=BB6_4332 Depth=4
	s_cmpk_lt_i32 s9, 0x270f
	s_cselect_b64 s[54:55], -1, 0
	s_cmpk_gt_i32 s9, 0x270e
	s_mov_b64 s[50:51], -1
	s_cbranch_scc0 .LBB6_4335
; %bb.4334:                             ;   in Loop: Header=BB6_4332 Depth=4
	s_trap 2
	ds_read_b64 v[1:2], v0
	s_andn2_b64 s[54:55], s[54:55], exec
	s_mov_b32 s9, 0
	s_mov_b64 s[52:53], 0
	s_waitcnt vmcnt(0) lgkmcnt(0)
	flat_load_dword v1, v[1:2] glc
	s_waitcnt vmcnt(0) lgkmcnt(0)
	buffer_wbinvl1_vol
	v_cmp_eq_u32_e64 s[28:29], 0, v1
	s_and_b64 s[28:29], s[28:29], exec
	s_or_b64 s[54:55], s[54:55], s[28:29]
	s_and_saveexec_b64 s[64:65], s[54:55]
	s_cbranch_execz .LBB6_4330
	s_branch .LBB6_4329
.LBB6_4335:                             ;   in Loop: Header=BB6_4332 Depth=4
	s_add_i32 s9, s9, 1
	s_mov_b64 s[52:53], -1
                                        ; implicit-def: $vgpr1
	s_and_saveexec_b64 s[64:65], s[54:55]
	s_cbranch_execz .LBB6_4330
	s_branch .LBB6_4329
.LBB6_4336:                             ;   in Loop: Header=BB6_4324 Depth=3
	s_or_b64 exec, exec, s[30:31]
	s_xor_b64 s[28:29], s[34:35], -1
	s_and_saveexec_b64 vcc, s[28:29]
	s_xor_b64 s[28:29], exec, vcc
	s_cbranch_execz .LBB6_4338
; %bb.4337:                             ;   in Loop: Header=BB6_4324 Depth=3
	ds_write_b32 v0, v1
	s_trap 2
	buffer_load_dword v1, off, s[0:3], s33 offset:72 ; 4-byte Folded Reload
	s_waitcnt vmcnt(0)
	v_or_b32_e32 v1, 64, v1
	buffer_store_dword v1, off, s[0:3], s33 offset:72 ; 4-byte Folded Spill
.LBB6_4338:                             ;   in Loop: Header=BB6_4324 Depth=3
	s_or_b64 exec, exec, s[28:29]
.LBB6_4339:                             ;   in Loop: Header=BB6_4324 Depth=3
	s_or_b64 exec, exec, s[94:95]
	;;#ASMSTART
	s_wakeup
	;;#ASMEND
	buffer_load_dword v1, off, s[0:3], s33 offset:72 ; 4-byte Folded Reload
                                        ; implicit-def: $vgpr10_vgpr11
	s_waitcnt vmcnt(0)
	v_and_b32_e32 v1, 0x108, v1
	v_cmp_ne_u32_e32 vcc, s44, v1
	s_and_saveexec_b64 s[28:29], vcc
	s_xor_b64 s[28:29], exec, s[28:29]
	s_cbranch_execz .LBB6_4341
; %bb.4340:                             ;   in Loop: Header=BB6_4324 Depth=3
	buffer_load_dword v1, off, s[0:3], s33 offset:84 ; 4-byte Folded Reload
	buffer_load_dword v2, off, s[0:3], s33 offset:88 ; 4-byte Folded Reload
	v_mov_b32_e32 v11, v51
	s_waitcnt vmcnt(0)
	v_and_b32_e32 v10, 7, v1
                                        ; implicit-def: $vgpr1_vgpr2
                                        ; kill: killed $vgpr1_vgpr2
.LBB6_4341:                             ;   in Loop: Header=BB6_4324 Depth=3
	s_andn2_saveexec_b64 s[28:29], s[28:29]
	s_cbranch_execz .LBB6_4343
; %bb.4342:                             ;   in Loop: Header=BB6_4324 Depth=3
	buffer_load_dword v1, off, s[0:3], s33 offset:84 ; 4-byte Folded Reload
	buffer_load_dword v2, off, s[0:3], s33 offset:88 ; 4-byte Folded Reload
	v_mov_b32_e32 v11, v51
	s_waitcnt vmcnt(0)
	v_and_b32_e32 v10, 7, v1
	buffer_load_dword v1, off, s[0:3], s33 offset:332 ; 4-byte Folded Reload
	buffer_load_dword v2, off, s[0:3], s33 offset:336 ; 4-byte Folded Reload
	;; [unrolled: 1-line block ×6, first 2 shown]
	s_waitcnt vmcnt(0)
	v_mad_u64_u32 v[1:2], s[94:95], v10, 24, v[1:2]
	v_mov_b32_e32 v4, v3
	v_ashrrev_i32_e32 v5, 31, v4
	buffer_store_dword v3, off, s[0:3], s33 offset:296 ; 4-byte Folded Spill
	s_nop 0
	buffer_store_dword v4, off, s[0:3], s33 offset:300 ; 4-byte Folded Spill
	flat_store_dwordx2 v[1:2], v[4:5] offset:8
.LBB6_4343:                             ;   in Loop: Header=BB6_4324 Depth=3
	s_or_b64 exec, exec, s[28:29]
	buffer_load_dword v1, off, s[0:3], s33 offset:72 ; 4-byte Folded Reload
	s_mov_b64 s[28:29], -1
                                        ; implicit-def: $vgpr12_vgpr13
	s_waitcnt vmcnt(0)
	v_and_b32_e32 v1, 0x100, v1
	v_cmp_ne_u32_e32 vcc, 0, v1
	s_and_saveexec_b64 s[94:95], vcc
	s_cbranch_execz .LBB6_4347
; %bb.4344:                             ;   in Loop: Header=BB6_4324 Depth=3
	buffer_load_dword v1, off, s[0:3], s33 offset:332 ; 4-byte Folded Reload
	buffer_load_dword v2, off, s[0:3], s33 offset:336 ; 4-byte Folded Reload
	;; [unrolled: 1-line block ×4, first 2 shown]
                                        ; implicit-def: $vgpr12_vgpr13
	s_waitcnt vmcnt(0)
	v_mad_u64_u32 v[4:5], s[28:29], v10, 24, v[1:2]
	v_mov_b32_e32 v1, v5
	v_mad_u64_u32 v[1:2], s[28:29], v11, 24, v[1:2]
	v_mov_b32_e32 v5, v1
	flat_load_dword v1, v[4:5]
	s_waitcnt vmcnt(0) lgkmcnt(0)
	v_cmp_ne_u32_e32 vcc, 1, v1
	v_cmp_eq_u32_e64 s[28:29], 1, v1
	s_and_saveexec_b64 s[30:31], s[28:29]
	s_cbranch_execz .LBB6_4346
; %bb.4345:                             ;   in Loop: Header=BB6_4324 Depth=3
	flat_load_dword v12, v[4:5] offset:4 glc
	s_waitcnt vmcnt(0) lgkmcnt(0)
	v_ashrrev_i32_e32 v13, 31, v12
.LBB6_4346:                             ;   in Loop: Header=BB6_4324 Depth=3
	s_or_b64 exec, exec, s[30:31]
	s_orn2_b64 s[28:29], vcc, exec
.LBB6_4347:                             ;   in Loop: Header=BB6_4324 Depth=3
	s_or_b64 exec, exec, s[94:95]
	s_and_saveexec_b64 s[94:95], s[28:29]
	s_cbranch_execz .LBB6_4349
; %bb.4348:                             ;   in Loop: Header=BB6_4324 Depth=3
	buffer_load_dword v3, off, s[0:3], s33 offset:368 ; 4-byte Folded Reload
	buffer_load_dword v2, off, s[0:3], s33 offset:388 ; 4-byte Folded Reload
	s_waitcnt vmcnt(0)
	v_mul_lo_u32 v1, v11, v3
	v_mul_lo_u32 v2, v10, v2
	v_mad_u64_u32 v[12:13], s[28:29], v10, v3, 0
	v_add3_u32 v13, v13, v2, v1
.LBB6_4349:                             ;   in Loop: Header=BB6_4324 Depth=3
	s_or_b64 exec, exec, s[94:95]
	v_cmp_eq_u32_e32 vcc, 0, v0
	v_mov_b32_e32 v0, 0xc8
	v_mov_b32_e32 v1, 0x90
	v_cndmask_b32_e32 v2, v0, v1, vcc
	buffer_load_dword v0, off, s[0:3], s33 offset:324 ; 4-byte Folded Reload
	buffer_load_dword v1, off, s[0:3], s33 offset:328 ; 4-byte Folded Reload
	s_waitcnt vmcnt(0)
	v_add_co_u32_e32 v0, vcc, v0, v12
	v_addc_co_u32_e32 v1, vcc, v1, v13, vcc
	v_add_u32_e32 v2, v0, v2
	ds_write_b64 v2, v[0:1] offset:584
	buffer_load_dword v0, off, s[0:3], s33 offset:72 ; 4-byte Folded Reload
	s_waitcnt vmcnt(0)
	v_and_b32_e32 v0, 0x2000, v0
	v_cmp_ne_u32_e32 vcc, 0, v0
	s_and_saveexec_b64 s[28:29], vcc
	s_cbranch_execz .LBB6_4351
; %bb.4350:                             ;   in Loop: Header=BB6_4324 Depth=3
	ds_read_b64 v[0:1], v0 offset:872
	s_waitcnt lgkmcnt(0)
	v_add_co_u32_e32 v0, vcc, 1, v0
	v_addc_co_u32_e32 v1, vcc, 0, v1, vcc
	ds_write_b64 v0, v[0:1] offset:872
.LBB6_4351:                             ;   in Loop: Header=BB6_4324 Depth=3
	s_or_b64 exec, exec, s[28:29]
	buffer_store_dword v8, off, s[0:3], s33 offset:84 ; 4-byte Folded Spill
	s_nop 0
	buffer_store_dword v9, off, s[0:3], s33 offset:88 ; 4-byte Folded Spill
.LBB6_4352:                             ;   in Loop: Header=BB6_4324 Depth=3
	s_or_b64 exec, exec, s[40:41]
	s_and_saveexec_b64 s[28:29], s[12:13]
	s_cbranch_execz .LBB6_4371
; %bb.4353:                             ;   in Loop: Header=BB6_4324 Depth=3
	s_and_saveexec_b64 s[40:41], s[58:59]
	s_xor_b64 s[40:41], exec, s[40:41]
	s_cbranch_execz .LBB6_4368
; %bb.4354:                             ;   in Loop: Header=BB6_4324 Depth=3
	s_and_saveexec_b64 s[94:95], s[6:7]
	s_cbranch_execz .LBB6_4367
; %bb.4355:                             ;   in Loop: Header=BB6_4324 Depth=3
	s_mov_b64 s[34:35], exec
	v_mbcnt_lo_u32_b32 v0, s34, 0
	v_mbcnt_hi_u32_b32 v0, s35, v0
	v_cmp_eq_u32_e32 vcc, 0, v0
	s_waitcnt vmcnt(0) lgkmcnt(0)
	buffer_wbinvl1_vol
	s_and_saveexec_b64 s[30:31], vcc
	s_cbranch_execz .LBB6_4357
; %bb.4356:                             ;   in Loop: Header=BB6_4324 Depth=3
	s_bcnt1_i32_b64 s9, s[34:35]
	v_mov_b32_e32 v0, s9
	v_mov_b32_e32 v1, v51
	ds_add_u64 v0, v[0:1]
	s_trap 2
.LBB6_4357:                             ;   in Loop: Header=BB6_4324 Depth=3
	s_or_b64 exec, exec, s[30:31]
	s_trap 2
	ds_read_b64 v[0:1], v0
	s_waitcnt lgkmcnt(0)
	buffer_load_dword v2, off, s[0:3], s33 offset:76 ; 4-byte Folded Reload
	buffer_load_dword v3, off, s[0:3], s33 offset:80 ; 4-byte Folded Reload
	buffer_load_dword v4, off, s[0:3], s33 offset:92 ; 4-byte Folded Reload
	s_waitcnt vmcnt(0)
	v_add_co_u32_e32 v2, vcc, v2, v4
	v_addc_co_u32_e32 v3, vcc, 0, v3, vcc
	buffer_store_dword v2, off, s[0:3], s33 offset:76 ; 4-byte Folded Spill
	s_nop 0
	buffer_store_dword v3, off, s[0:3], s33 offset:80 ; 4-byte Folded Spill
	v_cmp_lt_u64_e32 vcc, v[0:1], v[2:3]
	s_and_saveexec_b64 s[30:31], vcc
	s_cbranch_execz .LBB6_4366
; %bb.4358:                             ;   in Loop: Header=BB6_4324 Depth=3
	s_mov_b32 s9, 0
	s_mov_b64 s[34:35], 0
                                        ; implicit-def: $sgpr36_sgpr37
                                        ; implicit-def: $sgpr38_sgpr39
	s_branch .LBB6_4360
.LBB6_4359:                             ;   in Loop: Header=BB6_4360 Depth=4
	s_or_b64 exec, exec, s[50:51]
	s_and_b64 vcc, exec, vcc
	s_or_b64 s[34:35], vcc, s[34:35]
	s_andn2_b64 vcc, s[36:37], exec
	s_and_b64 s[36:37], s[38:39], exec
	s_or_b64 s[36:37], vcc, s[36:37]
	s_andn2_b64 exec, exec, s[34:35]
	s_cbranch_execz .LBB6_4364
.LBB6_4360:                             ;   Parent Loop BB6_47 Depth=1
                                        ;     Parent Loop BB6_4321 Depth=2
                                        ;       Parent Loop BB6_4324 Depth=3
                                        ; =>      This Inner Loop Header: Depth=4
	s_add_i32 s9, s9, 1
	s_cmpk_lg_i32 s9, 0x2710
	s_cselect_b64 s[48:49], -1, 0
	s_and_b64 vcc, exec, s[48:49]
	s_cbranch_vccz .LBB6_4362
; %bb.4361:                             ;   in Loop: Header=BB6_4360 Depth=4
	s_mov_b64 vcc, -1
	s_or_b64 s[38:39], s[38:39], exec
	s_and_saveexec_b64 s[50:51], s[48:49]
	s_cbranch_execz .LBB6_4359
	s_branch .LBB6_4363
.LBB6_4362:                             ;   in Loop: Header=BB6_4360 Depth=4
	s_trap 2
	ds_read_b64 v[0:1], v0
	s_andn2_b64 s[48:49], s[48:49], exec
	s_mov_b32 s9, 0
	s_waitcnt vmcnt(0) lgkmcnt(0)
	flat_load_dword v0, v[0:1] glc
	s_waitcnt vmcnt(0) lgkmcnt(0)
	buffer_wbinvl1_vol
	v_cmp_eq_u32_e32 vcc, 0, v0
	s_and_b64 vcc, vcc, exec
	s_or_b64 s[48:49], s[48:49], vcc
	s_mov_b64 vcc, -1
	s_or_b64 s[38:39], s[38:39], exec
	s_and_saveexec_b64 s[50:51], s[48:49]
	s_cbranch_execz .LBB6_4359
.LBB6_4363:                             ;   in Loop: Header=BB6_4360 Depth=4
	s_sleep 1
	s_trap 2
	ds_read_b64 v[0:1], v0
	s_waitcnt lgkmcnt(0)
	buffer_load_dword v2, off, s[0:3], s33 offset:76 ; 4-byte Folded Reload
	buffer_load_dword v3, off, s[0:3], s33 offset:80 ; 4-byte Folded Reload
	s_andn2_b64 s[38:39], s[38:39], exec
	s_waitcnt vmcnt(0)
	v_cmp_ge_u64_e32 vcc, v[0:1], v[2:3]
	s_orn2_b64 vcc, vcc, exec
	s_branch .LBB6_4359
.LBB6_4364:                             ;   in Loop: Header=BB6_4324 Depth=3
	s_or_b64 exec, exec, s[34:35]
	s_and_saveexec_b64 vcc, s[36:37]
	s_xor_b64 vcc, exec, vcc
	s_cbranch_execz .LBB6_4366
; %bb.4365:                             ;   in Loop: Header=BB6_4324 Depth=3
	v_mov_b32_e32 v0, 1
	ds_write_b32 v0, v0
	s_trap 2
.LBB6_4366:                             ;   in Loop: Header=BB6_4324 Depth=3
	s_or_b64 exec, exec, s[30:31]
	;;#ASMSTART
	s_wakeup
	;;#ASMEND
.LBB6_4367:                             ;   in Loop: Header=BB6_4324 Depth=3
	s_or_b64 exec, exec, s[94:95]
.LBB6_4368:                             ;   in Loop: Header=BB6_4324 Depth=3
	s_andn2_saveexec_b64 s[40:41], s[40:41]
	s_cbranch_execz .LBB6_4370
; %bb.4369:                             ;   in Loop: Header=BB6_4324 Depth=3
	s_waitcnt vmcnt(0) lgkmcnt(0)
	buffer_wbinvl1_vol
	s_barrier
.LBB6_4370:                             ;   in Loop: Header=BB6_4324 Depth=3
	s_or_b64 exec, exec, s[40:41]
.LBB6_4371:                             ;   in Loop: Header=BB6_4324 Depth=3
	s_or_b64 exec, exec, s[28:29]
	s_trap 2
	buffer_load_dword v1, off, s[0:3], s33 offset:72 ; 4-byte Folded Reload
	ds_read_b32 v0, v0
	s_xor_b64 s[28:29], s[10:11], -1
	s_waitcnt vmcnt(0)
	v_and_b32_e32 v1, 0x4000, v1
	v_cmp_ne_u32_e32 vcc, 0, v1
	s_and_b64 s[40:41], s[28:29], vcc
	s_and_saveexec_b64 s[28:29], s[40:41]
	s_cbranch_execz .LBB6_4390
; %bb.4372:                             ;   in Loop: Header=BB6_4324 Depth=3
	s_and_saveexec_b64 s[40:41], s[58:59]
	s_xor_b64 s[40:41], exec, s[40:41]
	s_cbranch_execz .LBB6_4387
; %bb.4373:                             ;   in Loop: Header=BB6_4324 Depth=3
	s_and_saveexec_b64 s[94:95], s[6:7]
	s_cbranch_execz .LBB6_4386
; %bb.4374:                             ;   in Loop: Header=BB6_4324 Depth=3
	s_mov_b64 s[34:35], exec
	v_mbcnt_lo_u32_b32 v1, s34, 0
	v_mbcnt_hi_u32_b32 v1, s35, v1
	v_cmp_eq_u32_e32 vcc, 0, v1
	s_waitcnt lgkmcnt(0)
	buffer_wbinvl1_vol
	s_and_saveexec_b64 s[30:31], vcc
	s_cbranch_execz .LBB6_4376
; %bb.4375:                             ;   in Loop: Header=BB6_4324 Depth=3
	s_bcnt1_i32_b64 s9, s[34:35]
	v_mov_b32_e32 v1, s9
	v_mov_b32_e32 v2, v51
	ds_add_u64 v0, v[1:2]
	s_trap 2
.LBB6_4376:                             ;   in Loop: Header=BB6_4324 Depth=3
	s_or_b64 exec, exec, s[30:31]
	s_trap 2
	ds_read_b64 v[1:2], v0
	s_waitcnt lgkmcnt(0)
	buffer_load_dword v3, off, s[0:3], s33 offset:76 ; 4-byte Folded Reload
	buffer_load_dword v4, off, s[0:3], s33 offset:80 ; 4-byte Folded Reload
	;; [unrolled: 1-line block ×3, first 2 shown]
	s_waitcnt vmcnt(0)
	v_add_co_u32_e32 v3, vcc, v3, v5
	v_addc_co_u32_e32 v4, vcc, 0, v4, vcc
	buffer_store_dword v3, off, s[0:3], s33 offset:76 ; 4-byte Folded Spill
	s_nop 0
	buffer_store_dword v4, off, s[0:3], s33 offset:80 ; 4-byte Folded Spill
	v_cmp_lt_u64_e32 vcc, v[1:2], v[3:4]
	s_and_saveexec_b64 s[30:31], vcc
	s_cbranch_execz .LBB6_4385
; %bb.4377:                             ;   in Loop: Header=BB6_4324 Depth=3
	s_mov_b32 s9, 0
	s_mov_b64 s[34:35], 0
                                        ; implicit-def: $sgpr36_sgpr37
                                        ; implicit-def: $sgpr38_sgpr39
	s_branch .LBB6_4379
.LBB6_4378:                             ;   in Loop: Header=BB6_4379 Depth=4
	s_or_b64 exec, exec, s[50:51]
	s_and_b64 vcc, exec, vcc
	s_or_b64 s[34:35], vcc, s[34:35]
	s_andn2_b64 vcc, s[36:37], exec
	s_and_b64 s[36:37], s[38:39], exec
	s_or_b64 s[36:37], vcc, s[36:37]
	s_andn2_b64 exec, exec, s[34:35]
	s_cbranch_execz .LBB6_4383
.LBB6_4379:                             ;   Parent Loop BB6_47 Depth=1
                                        ;     Parent Loop BB6_4321 Depth=2
                                        ;       Parent Loop BB6_4324 Depth=3
                                        ; =>      This Inner Loop Header: Depth=4
	s_add_i32 s9, s9, 1
	s_cmpk_lg_i32 s9, 0x2710
	s_cselect_b64 s[48:49], -1, 0
	s_and_b64 vcc, exec, s[48:49]
	s_cbranch_vccz .LBB6_4381
; %bb.4380:                             ;   in Loop: Header=BB6_4379 Depth=4
	s_mov_b64 vcc, -1
	s_or_b64 s[38:39], s[38:39], exec
	s_and_saveexec_b64 s[50:51], s[48:49]
	s_cbranch_execz .LBB6_4378
	s_branch .LBB6_4382
.LBB6_4381:                             ;   in Loop: Header=BB6_4379 Depth=4
	s_trap 2
	ds_read_b64 v[1:2], v0
	s_andn2_b64 s[48:49], s[48:49], exec
	s_mov_b32 s9, 0
	s_waitcnt vmcnt(0) lgkmcnt(0)
	flat_load_dword v1, v[1:2] glc
	s_waitcnt vmcnt(0) lgkmcnt(0)
	buffer_wbinvl1_vol
	v_cmp_eq_u32_e32 vcc, 0, v1
	s_and_b64 vcc, vcc, exec
	s_or_b64 s[48:49], s[48:49], vcc
	s_mov_b64 vcc, -1
	s_or_b64 s[38:39], s[38:39], exec
	s_and_saveexec_b64 s[50:51], s[48:49]
	s_cbranch_execz .LBB6_4378
.LBB6_4382:                             ;   in Loop: Header=BB6_4379 Depth=4
	s_sleep 1
	s_trap 2
	ds_read_b64 v[1:2], v0
	s_waitcnt lgkmcnt(0)
	buffer_load_dword v3, off, s[0:3], s33 offset:76 ; 4-byte Folded Reload
	buffer_load_dword v4, off, s[0:3], s33 offset:80 ; 4-byte Folded Reload
	s_andn2_b64 s[38:39], s[38:39], exec
	s_waitcnt vmcnt(0)
	v_cmp_ge_u64_e32 vcc, v[1:2], v[3:4]
	s_orn2_b64 vcc, vcc, exec
	s_branch .LBB6_4378
.LBB6_4383:                             ;   in Loop: Header=BB6_4324 Depth=3
	s_or_b64 exec, exec, s[34:35]
	s_and_saveexec_b64 vcc, s[36:37]
	s_xor_b64 vcc, exec, vcc
	s_cbranch_execz .LBB6_4385
; %bb.4384:                             ;   in Loop: Header=BB6_4324 Depth=3
	v_mov_b32_e32 v1, 1
	ds_write_b32 v0, v1
	s_trap 2
.LBB6_4385:                             ;   in Loop: Header=BB6_4324 Depth=3
	s_or_b64 exec, exec, s[30:31]
	;;#ASMSTART
	s_wakeup
	;;#ASMEND
.LBB6_4386:                             ;   in Loop: Header=BB6_4324 Depth=3
	s_or_b64 exec, exec, s[94:95]
.LBB6_4387:                             ;   in Loop: Header=BB6_4324 Depth=3
	s_andn2_saveexec_b64 s[40:41], s[40:41]
	s_cbranch_execz .LBB6_4389
; %bb.4388:                             ;   in Loop: Header=BB6_4324 Depth=3
	s_waitcnt vmcnt(0) lgkmcnt(0)
	buffer_wbinvl1_vol
	s_barrier
.LBB6_4389:                             ;   in Loop: Header=BB6_4324 Depth=3
	s_or_b64 exec, exec, s[40:41]
.LBB6_4390:                             ;   in Loop: Header=BB6_4324 Depth=3
	s_or_b64 exec, exec, s[28:29]
	s_trap 2
	s_waitcnt lgkmcnt(0)
	ds_read_b64 v[52:53], v0
	s_waitcnt lgkmcnt(0)
	v_cmp_eq_u64_e32 vcc, 0, v[52:53]
	s_cbranch_vccnz .LBB6_4398
; %bb.4391:                             ;   in Loop: Header=BB6_4324 Depth=3
	s_trap 2
	ds_read_b64 v[48:49], v0
	s_waitcnt lgkmcnt(0)
	v_cmp_eq_u64_e32 vcc, 0, v[48:49]
	s_cbranch_vccnz .LBB6_4398
; %bb.4392:                             ;   in Loop: Header=BB6_4324 Depth=3
	s_mov_b64 s[40:41], -1
	s_and_saveexec_b64 s[28:29], s[24:25]
	s_cbranch_execz .LBB6_4394
; %bb.4393:                             ;   in Loop: Header=BB6_4324 Depth=3
	ds_read_b32 v1, v0 offset:720
	s_waitcnt lgkmcnt(0)
	v_and_b32_e32 v1, 15, v1
	v_cmp_eq_u32_e32 vcc, 0, v1
	s_orn2_b64 s[40:41], vcc, exec
.LBB6_4394:                             ;   in Loop: Header=BB6_4324 Depth=3
	s_or_b64 exec, exec, s[28:29]
	s_and_saveexec_b64 s[28:29], s[16:17]
	s_cbranch_execz .LBB6_4396
; %bb.4395:                             ;   in Loop: Header=BB6_4324 Depth=3
	ds_read_b32 v1, v0 offset:784
	s_waitcnt lgkmcnt(0)
	v_and_b32_e32 v1, 15, v1
	v_cmp_eq_u32_e32 vcc, 0, v1
	s_and_b64 s[94:95], s[40:41], vcc
	s_andn2_b64 s[40:41], s[40:41], exec
	s_and_b64 s[94:95], s[94:95], exec
	s_or_b64 s[40:41], s[40:41], s[94:95]
.LBB6_4396:                             ;   in Loop: Header=BB6_4324 Depth=3
	s_or_b64 exec, exec, s[28:29]
	v_cmp_eq_u32_e32 vcc, 0, v0
	buffer_load_dword v0, off, s[0:3], s33 offset:296 ; 4-byte Folded Reload
	buffer_load_dword v1, off, s[0:3], s33 offset:300 ; 4-byte Folded Reload
	;; [unrolled: 1-line block ×3, first 2 shown]
	s_xor_b64 s[40:41], s[40:41], -1
	s_mov_b64 s[28:29], -1
	v_mov_b32_e32 v5, 0
	s_waitcnt vmcnt(1)
	v_cndmask_b32_e32 v1, 0, v0, vcc
	v_cndmask_b32_e64 v0, 0, 1, s[40:41]
	v_cmp_ne_u32_e32 vcc, 0, v0
	v_mov_b32_e32 v3, v1
	buffer_store_dword v1, off, s[0:3], s33 offset:364 ; 4-byte Folded Spill
	s_cbranch_vccz .LBB6_4403
; %bb.4397:                             ;   in Loop: Header=BB6_4324 Depth=3
	s_and_saveexec_b64 s[40:41], s[28:29]
	s_cbranch_execnz .LBB6_8430
; %bb.23115:                            ;   in Loop: Header=BB6_4324 Depth=3
	s_getpc_b64 s[98:99]
.Lpost_getpc21:
	s_add_u32 s98, s98, (.LBB6_10362-.Lpost_getpc21)&4294967295
	s_addc_u32 s99, s99, (.LBB6_10362-.Lpost_getpc21)>>32
	s_setpc_b64 s[98:99]
.LBB6_4398:                             ;   in Loop: Header=BB6_4324 Depth=3
	s_mov_b64 s[28:29], 0
	s_and_saveexec_b64 s[40:41], s[12:13]
	s_cbranch_execz .LBB6_4399
; %bb.23145:                            ;   in Loop: Header=BB6_4324 Depth=3
	s_getpc_b64 s[98:99]
.Lpost_getpc36:
	s_add_u32 s98, s98, (.LBB6_10363-.Lpost_getpc36)&4294967295
	s_addc_u32 s99, s99, (.LBB6_10363-.Lpost_getpc36)>>32
	s_setpc_b64 s[98:99]
.LBB6_4399:                             ;   in Loop: Header=BB6_4324 Depth=3
	s_or_b64 exec, exec, s[40:41]
                                        ; implicit-def: $vgpr0
	s_and_saveexec_b64 s[40:41], s[18:19]
	s_xor_b64 s[40:41], exec, s[40:41]
	s_cbranch_execnz .LBB6_4400
; %bb.23147:                            ;   in Loop: Header=BB6_4324 Depth=3
	s_getpc_b64 s[98:99]
.Lpost_getpc37:
	s_add_u32 s98, s98, (.LBB6_10381-.Lpost_getpc37)&4294967295
	s_addc_u32 s99, s99, (.LBB6_10381-.Lpost_getpc37)>>32
	s_setpc_b64 s[98:99]
.LBB6_4400:                             ;   in Loop: Header=BB6_4324 Depth=3
	buffer_load_dword v1, off, s[0:3], s33 offset:72 ; 4-byte Folded Reload
	s_waitcnt vmcnt(0)
	v_and_b32_e32 v0, 16, v1
	v_and_b32_e32 v1, 16, v1
	v_cmp_ne_u32_e32 vcc, 0, v1
	s_and_b64 s[94:95], vcc, s[28:29]
	s_and_saveexec_b64 s[28:29], s[94:95]
	s_cbranch_execz .LBB6_4402
; %bb.4401:                             ;   in Loop: Header=BB6_4324 Depth=3
	v_mov_b32_e32 v0, 1
	s_waitcnt lgkmcnt(0)
	buffer_wbinvl1_vol
.LBB6_4402:                             ;   in Loop: Header=BB6_4324 Depth=3
	s_or_b64 exec, exec, s[28:29]
	s_andn2_saveexec_b64 s[28:29], s[40:41]
	s_cbranch_execnz .LBB6_23117
; %bb.23149:                            ;   in Loop: Header=BB6_4324 Depth=3
	s_getpc_b64 s[98:99]
.Lpost_getpc38:
	s_add_u32 s98, s98, (.LBB6_10400-.Lpost_getpc38)&4294967295
	s_addc_u32 s99, s99, (.LBB6_10400-.Lpost_getpc38)>>32
	s_setpc_b64 s[98:99]
.LBB6_23117:                            ;   in Loop: Header=BB6_4324 Depth=3
	s_getpc_b64 s[98:99]
.Lpost_getpc22:
	s_add_u32 s98, s98, (.LBB6_10382-.Lpost_getpc22)&4294967295
	s_addc_u32 s99, s99, (.LBB6_10382-.Lpost_getpc22)>>32
	s_setpc_b64 s[98:99]
.LBB6_4403:                             ;   in Loop: Header=BB6_4324 Depth=3
	buffer_load_dword v1, off, s[0:3], s33 offset:364 ; 4-byte Folded Reload
	s_waitcnt vmcnt(0)
	v_ashrrev_i32_e32 v0, 31, v1
	v_lshrrev_b32_e32 v0, 20, v0
	v_add_u32_e32 v0, v1, v0
	v_ashrrev_i32_e32 v1, 12, v0
	buffer_load_dword v0, off, s[0:3], s33 offset:428 ; 4-byte Folded Reload
	s_waitcnt vmcnt(0)
	v_sub_u32_e32 v7, v1, v0
	v_cmp_lt_i32_e32 vcc, 0, v7
	s_and_saveexec_b64 s[40:41], vcc
	s_cbranch_execz .LBB6_7615
; %bb.4404:                             ;   in Loop: Header=BB6_4324 Depth=3
	buffer_store_dword v1, off, s[0:3], s33 offset:452 ; 4-byte Folded Spill
	s_trap 2
	buffer_load_dword v2, off, s[0:3], s33 offset:572 ; 4-byte Folded Reload
	ds_read_b64 v[0:1], v0
	s_waitcnt lgkmcnt(0)
	v_readfirstlane_b32 s9, v0
	s_and_b32 s28, s9, 7
	s_flbit_i32_b32 s28, s28
	s_min_u32 s28, s28, 32
	s_and_b32 s29, s9, 0x7f
	s_bfe_u32 s94, s9, 0x40003
	s_sub_i32 s95, s28, 28
	s_sub_i32 s28, 29, s28
	s_cmp_lt_u32 s29, 8
	s_cselect_b32 s95, s95, 0
	s_cselect_b32 s28, s28, s94
	s_lshl_b32 s94, s9, 24
	s_lshl_b32 s28, s28, 23
	s_and_b32 s94, s94, 0x80000000
	s_add_i32 s28, s28, 0x3c000000
	s_or_b32 s28, s94, s28
	s_cmpk_lg_i32 s29, 0x7f
	s_waitcnt vmcnt(0)
	v_add_co_u32_e32 v26, vcc, v52, v2
	buffer_store_dword v52, off, s[0:3], s33 offset:444 ; 4-byte Folded Spill
	s_nop 0
	buffer_store_dword v53, off, s[0:3], s33 offset:448 ; 4-byte Folded Spill
	v_addc_co_u32_e32 v27, vcc, 0, v53, vcc
	v_add_co_u32_e32 v60, vcc, v0, v2
	v_addc_co_u32_e32 v61, vcc, 0, v1, vcc
	v_add_co_u32_e32 v28, vcc, v48, v2
	buffer_store_dword v48, off, s[0:3], s33 offset:436 ; 4-byte Folded Spill
	s_nop 0
	buffer_store_dword v49, off, s[0:3], s33 offset:440 ; 4-byte Folded Spill
	v_lshlrev_b64 v[0:1], s95, v[0:1]
	v_mov_b32_e32 v1, 0x7f800001
	v_lshlrev_b32_e32 v0, 20, v0
	v_and_b32_e32 v0, 0x700000, v0
	v_or_b32_e32 v0, s28, v0
	s_mov_b64 s[94:95], 0
	v_addc_co_u32_e32 v29, vcc, 0, v49, vcc
	s_cselect_b64 vcc, -1, 0
	v_cndmask_b32_e32 v0, v1, v0, vcc
	s_and_b32 s9, s9, 0xff
	buffer_store_dword v0, off, s[0:3], s33 offset:360 ; 4-byte Folded Spill
	s_branch .LBB6_4406
.LBB6_4405:                             ;   in Loop: Header=BB6_4406 Depth=4
	s_or_b64 exec, exec, s[28:29]
	v_lshl_or_b32 v5, v45, 8, v44
	v_lshl_or_b32 v8, v37, 8, v19
	v_lshlrev_b32_e32 v9, 16, v17
	v_lshlrev_b32_e32 v10, 24, v16
	;; [unrolled: 1-line block ×4, first 2 shown]
	v_or3_b32 v9, v5, v9, v10
	v_or3_b32 v8, v8, v11, v16
	v_lshl_or_b32 v5, v47, 8, v40
	v_lshlrev_b32_e32 v10, 16, v56
	v_lshlrev_b32_e32 v11, 24, v58
	v_or3_b32 v10, v5, v10, v11
	v_lshl_or_b32 v5, v59, 8, v57
	v_lshlrev_b32_e32 v11, 24, v14
	v_lshlrev_b32_e32 v14, 16, v24
	;; [unrolled: 4-line block ×3, first 2 shown]
	buffer_load_dword v16, off, s[0:3], s33 offset:244 ; 4-byte Folded Reload
	buffer_load_dword v17, off, s[0:3], s33 offset:264 ; 4-byte Folded Reload
	v_or3_b32 v43, v5, v14, v0
	buffer_load_dword v0, off, s[0:3], s33 offset:288 ; 4-byte Folded Reload
	buffer_load_dword v5, off, s[0:3], s33 offset:292 ; 4-byte Folded Reload
	v_lshl_or_b32 v1, v49, 8, v1
	s_waitcnt vmcnt(2)
	v_lshl_or_b32 v16, v17, 8, v16
	s_waitcnt vmcnt(1)
	v_lshlrev_b32_e32 v0, 16, v0
	s_waitcnt vmcnt(0)
	v_lshlrev_b32_e32 v5, 24, v5
	v_or3_b32 v42, v16, v0, v5
	v_lshl_or_b32 v0, v33, 8, v2
	v_lshlrev_b32_e32 v2, 16, v36
	v_lshlrev_b32_e32 v5, 24, v53
	v_or3_b32 v44, v0, v2, v5
	v_lshlrev_b32_e32 v0, 24, v18
	v_lshlrev_b32_e32 v2, 16, v54
	v_or3_b32 v45, v1, v2, v0
	buffer_load_dword v0, off, s[0:3], s33 offset:144 ; 4-byte Folded Reload
	buffer_load_dword v1, off, s[0:3], s33 offset:160 ; 4-byte Folded Reload
	buffer_load_dword v2, off, s[0:3], s33 offset:200 ; 4-byte Folded Reload
	s_waitcnt vmcnt(1)
	v_lshl_or_b32 v0, v1, 8, v0
	buffer_load_dword v1, off, s[0:3], s33 offset:180 ; 4-byte Folded Reload
	s_waitcnt vmcnt(1)
	v_lshlrev_b32_e32 v2, 24, v2
	s_waitcnt vmcnt(0)
	v_lshlrev_b32_e32 v1, 16, v1
	v_or3_b32 v17, v0, v1, v2
	buffer_load_dword v0, off, s[0:3], s33 offset:96 ; 4-byte Folded Reload
	buffer_load_dword v1, off, s[0:3], s33 offset:100 ; 4-byte Folded Reload
	buffer_load_dword v2, off, s[0:3], s33 offset:124 ; 4-byte Folded Reload
	s_waitcnt vmcnt(1)
	v_lshl_or_b32 v0, v1, 8, v0
	buffer_load_dword v1, off, s[0:3], s33 offset:108 ; 4-byte Folded Reload
	s_waitcnt vmcnt(1)
	v_lshlrev_b32_e32 v2, 24, v2
	s_waitcnt vmcnt(0)
	;; [unrolled: 11-line block ×3, first 2 shown]
	v_lshlrev_b32_e32 v1, 16, v1
	v_or3_b32 v18, v0, v1, v2
	buffer_load_dword v0, off, s[0:3], s33 offset:284 ; 4-byte Folded Reload
	buffer_load_dword v1, off, s[0:3], s33 offset:280 ; 4-byte Folded Reload
	;; [unrolled: 1-line block ×4, first 2 shown]
	s_waitcnt vmcnt(3)
	v_lshlrev_b32_e32 v0, 24, v0
	s_waitcnt vmcnt(2)
	v_lshlrev_b32_e32 v1, 16, v1
	s_waitcnt vmcnt(0)
	v_lshl_or_b32 v2, v5, 8, v2
	v_or3_b32 v19, v2, v1, v0
	v_lshl_or_b32 v0, v38, 8, v46
	v_lshlrev_b32_e32 v1, 16, v13
	v_lshlrev_b32_e32 v2, 24, v12
	v_or3_b32 v1, v0, v1, v2
	v_lshl_or_b32 v0, v55, 8, v15
	v_lshlrev_b32_e32 v2, 16, v3
	v_lshlrev_b32_e32 v3, 24, v41
	;; [unrolled: 4-line block ×3, first 2 shown]
	v_or3_b32 v2, v2, v3, v5
	v_lshlrev_b32_e32 v3, 24, v4
	v_lshlrev_b32_e32 v4, 16, v22
	v_lshl_or_b32 v5, v52, 8, v6
	v_or3_b32 v3, v5, v4, v3
	global_store_dwordx4 v[28:29], v[16:19], off glc slc
	global_store_dwordx4 v[28:29], v[42:45], off offset:1024 glc slc
	global_store_dwordx4 v[28:29], v[8:11], off offset:2048 glc slc
	;; [unrolled: 1-line block ×3, first 2 shown]
	buffer_load_dword v1, off, s[0:3], s33 offset:320 ; 4-byte Folded Reload
	s_nop 0
	buffer_load_dword v0, off, s[0:3], s33 offset:92 ; 4-byte Folded Reload
	s_waitcnt vmcnt(1)
	v_add_co_u32_e32 v26, vcc, v26, v1
	v_addc_co_u32_e32 v27, vcc, 0, v27, vcc
	v_add_co_u32_e32 v60, vcc, v60, v1
	v_addc_co_u32_e32 v61, vcc, 0, v61, vcc
	s_waitcnt vmcnt(0)
	v_sub_u32_e32 v7, v7, v0
	v_cmp_gt_i32_e32 vcc, 1, v7
	s_or_b64 s[94:95], vcc, s[94:95]
	v_add_co_u32_e32 v28, vcc, v28, v1
	v_addc_co_u32_e32 v29, vcc, 0, v29, vcc
	s_andn2_b64 exec, exec, s[94:95]
	s_cbranch_execz .LBB6_7614
.LBB6_4406:                             ;   Parent Loop BB6_47 Depth=1
                                        ;     Parent Loop BB6_4321 Depth=2
                                        ;       Parent Loop BB6_4324 Depth=3
                                        ; =>      This Inner Loop Header: Depth=4
	s_cmpk_lt_i32 s9, 0x80
	s_cbranch_scc1 .LBB6_4410
; %bb.4407:                             ;   in Loop: Header=BB6_4406 Depth=4
	s_and_b32 vcc_lo, 0xffff, s9
	s_mov_b64 s[28:29], -1
	s_cmpk_eq_i32 vcc_lo, 0x80
	s_cbranch_scc0 .LBB6_4409
; %bb.4408:                             ;   in Loop: Header=BB6_4406 Depth=4
	s_mov_b64 s[28:29], 0
.LBB6_4409:                             ;   in Loop: Header=BB6_4406 Depth=4
	s_brev_b32 s30, 1
	s_branch .LBB6_4412
.LBB6_4410:                             ;   in Loop: Header=BB6_4406 Depth=4
	s_mov_b64 s[28:29], 0
	s_brev_b32 s30, 1
	s_cbranch_execz .LBB6_4412
; %bb.4411:                             ;   in Loop: Header=BB6_4406 Depth=4
	s_and_b32 s28, 0xffff, s9
	s_cmp_lg_u32 s28, 0
	s_mov_b32 s30, 0
	s_cselect_b64 s[28:29], -1, 0
.LBB6_4412:                             ;   in Loop: Header=BB6_4406 Depth=4
	s_andn2_b64 vcc, exec, s[28:29]
	v_mov_b32_e32 v14, s30
	s_cbranch_vccnz .LBB6_4414
; %bb.4413:                             ;   in Loop: Header=BB6_4406 Depth=4
	buffer_load_dword v14, off, s[0:3], s33 offset:360 ; 4-byte Folded Reload
.LBB6_4414:                             ;   in Loop: Header=BB6_4406 Depth=4
	global_load_dwordx4 v[8:11], v[26:27], off glc slc
	v_mov_b32_e32 v0, 0
	s_waitcnt vmcnt(0)
	v_cmp_ne_u16_sdwa vcc, v8, v51 src0_sel:BYTE_0 src1_sel:DWORD
	s_and_saveexec_b64 s[28:29], vcc
	s_cbranch_execz .LBB6_4420
; %bb.4415:                             ;   in Loop: Header=BB6_4406 Depth=4
	v_cmp_ne_u16_sdwa vcc, v8, s96 src0_sel:BYTE_0 src1_sel:DWORD
	v_bfrev_b32_e32 v0, 1
	s_and_saveexec_b64 s[30:31], vcc
	s_cbranch_execz .LBB6_4419
; %bb.4416:                             ;   in Loop: Header=BB6_4406 Depth=4
	v_and_b32_e32 v1, 0x7f, v8
	v_cmp_ne_u32_e32 vcc, s86, v1
	v_mov_b32_e32 v0, 0x7f800001
	s_and_saveexec_b64 s[34:35], vcc
	s_cbranch_execz .LBB6_4418
; %bb.4417:                             ;   in Loop: Header=BB6_4406 Depth=4
	v_and_b32_e32 v0, 7, v8
	v_ffbh_u32_e32 v0, v0
	v_min_u32_e32 v0, 32, v0
	v_lshrrev_b32_e32 v2, 3, v1
	v_cmp_gt_u32_e32 vcc, 8, v1
	v_subrev_u32_e32 v1, 28, v0
	v_sub_u32_e32 v0, 29, v0
	v_cndmask_b32_e32 v2, v2, v0, vcc
	v_cndmask_b32_e32 v0, 0, v1, vcc
	v_lshlrev_b64 v[0:1], v0, v[8:9]
	v_lshlrev_b32_e32 v1, 24, v8
	v_lshlrev_b32_e32 v0, 20, v0
	v_bfrev_b32_e32 v3, 60
	v_and_b32_e32 v0, 0x700000, v0
	v_and_b32_e32 v1, 0x80000000, v1
	v_lshl_add_u32 v2, v2, 23, v3
	v_or3_b32 v0, v1, v2, v0
.LBB6_4418:                             ;   in Loop: Header=BB6_4406 Depth=4
	s_or_b64 exec, exec, s[34:35]
.LBB6_4419:                             ;   in Loop: Header=BB6_4406 Depth=4
	s_or_b64 exec, exec, s[30:31]
.LBB6_4420:                             ;   in Loop: Header=BB6_4406 Depth=4
	s_or_b64 exec, exec, s[28:29]
	v_mul_f32_e32 v1, v14, v0
	v_and_b32_e32 v50, 0x7f800000, v1
	v_cmp_ne_u64_e32 vcc, s[76:77], v[50:51]
                                        ; implicit-def: $vgpr24
	s_and_saveexec_b64 s[28:29], vcc
	s_xor_b64 s[30:31], exec, s[28:29]
	s_cbranch_execz .LBB6_4434
; %bb.4421:                             ;   in Loop: Header=BB6_4406 Depth=4
	v_and_b32_e32 v50, 0x7fffffff, v1
	v_cmp_gt_u64_e32 vcc, s[78:79], v[50:51]
	v_and_b32_sdwa v0, v1, s96 dst_sel:DWORD dst_unused:UNUSED_PAD src0_sel:BYTE_3 src1_sel:DWORD
                                        ; implicit-def: $vgpr24
	s_and_saveexec_b64 s[28:29], vcc
	s_xor_b64 s[34:35], exec, s[28:29]
	s_cbranch_execz .LBB6_4431
; %bb.4422:                             ;   in Loop: Header=BB6_4406 Depth=4
	v_mov_b32_e32 v24, 0
	v_cmp_ne_u32_e32 vcc, 0, v1
	s_and_saveexec_b64 s[36:37], vcc
	s_cbranch_execz .LBB6_4430
; %bb.4423:                             ;   in Loop: Header=BB6_4406 Depth=4
	v_and_b32_e32 v3, 0x7fffff, v1
	v_bfe_u32 v1, v1, 23, 8
	v_cmp_gt_u32_e64 s[28:29], s97, v1
	v_sub_u32_e32 v2, 0x79, v1
	v_cmp_eq_u32_e32 vcc, 0, v1
	v_cndmask_b32_e64 v2, 0, v2, s[28:29]
	v_mov_b32_e32 v5, 0x78
	v_or_b32_e32 v4, 0x800000, v3
	v_cndmask_b32_e32 v2, v2, v5, vcc
	v_cndmask_b32_e32 v50, v4, v3, vcc
	v_add_u32_e32 v3, 20, v2
	v_lshlrev_b64 v[3:4], v3, -1
	v_add_u32_e32 v5, 19, v2
	v_lshlrev_b64 v[5:6], v5, 1
	v_bfi_b32 v4, v4, 0, 0
	v_bfi_b32 v3, v3, 0, v50
	v_lshrrev_b64 v[12:13], v2, v[50:51]
	v_cmp_eq_u64_e64 s[28:29], v[3:4], v[5:6]
	v_mov_b32_e32 v4, v12
	v_mov_b32_e32 v5, v13
	s_and_saveexec_b64 s[38:39], s[28:29]
; %bb.4424:                             ;   in Loop: Header=BB6_4406 Depth=4
	v_bfe_u32 v3, v12, 20, 1
	v_add_co_u32_e64 v3, s[28:29], v12, v3
	v_add_co_u32_e64 v4, s[28:29], -1, v3
; %bb.4425:                             ;   in Loop: Header=BB6_4406 Depth=4
	s_or_b64 exec, exec, s[38:39]
	v_add_u32_e32 v1, 0xffffff81, v1
	v_mov_b32_e32 v3, 0xffffff82
	v_cndmask_b32_e32 v1, v1, v3, vcc
	v_lshrrev_b32_e32 v3, 23, v12
	v_add3_u32 v3, v2, v1, v3
	v_add_u32_e32 v2, 6, v3
	v_and_b32_e32 v1, 0xfffff, v4
	v_add_u32_e32 v50, v1, v12
	v_cmp_ne_u32_e32 vcc, 0, v2
                                        ; implicit-def: $vgpr12_vgpr13
                                        ; implicit-def: $vgpr1
	s_and_saveexec_b64 s[28:29], vcc
	s_xor_b64 s[28:29], exec, s[28:29]
; %bb.4426:                             ;   in Loop: Header=BB6_4406 Depth=4
	v_cmp_lt_u64_e32 vcc, s[88:89], v[50:51]
	v_add_u32_e32 v1, 7, v3
	v_cndmask_b32_e32 v1, v2, v1, vcc
	v_cndmask_b32_e64 v2, 0, 1, vcc
	v_lshrrev_b64 v[12:13], v2, v[50:51]
; %bb.4427:                             ;   in Loop: Header=BB6_4406 Depth=4
	s_andn2_saveexec_b64 s[28:29], s[28:29]
; %bb.4428:                             ;   in Loop: Header=BB6_4406 Depth=4
	v_mov_b32_e32 v12, v50
	v_bfe_u32 v1, v50, 23, 1
	v_mov_b32_e32 v13, v51
; %bb.4429:                             ;   in Loop: Header=BB6_4406 Depth=4
	s_or_b64 exec, exec, s[28:29]
	v_lshrrev_b64 v[2:3], 20, v[12:13]
	v_cmp_gt_i32_e32 vcc, 16, v1
	v_cndmask_b32_e32 v3, 0, v3, vcc
	v_cndmask_b32_e32 v2, 7, v2, vcc
	v_cmp_eq_u32_e32 vcc, 0, v1
	v_min_i32_e32 v1, 15, v1
	v_cmp_eq_u64_e64 s[28:29], 0, v[2:3]
	v_lshlrev_b32_e32 v1, 3, v1
	v_and_b32_e32 v1, 0xf8, v1
	v_and_or_b32 v1, v2, 7, v1
	s_and_b64 s[28:29], vcc, s[28:29]
	v_cndmask_b32_e64 v1, v1, 0, s[28:29]
	v_or_b32_e32 v24, v1, v0
.LBB6_4430:                             ;   in Loop: Header=BB6_4406 Depth=4
	s_or_b64 exec, exec, s[36:37]
                                        ; implicit-def: $vgpr0
.LBB6_4431:                             ;   in Loop: Header=BB6_4406 Depth=4
	s_andn2_saveexec_b64 s[28:29], s[34:35]
; %bb.4432:                             ;   in Loop: Header=BB6_4406 Depth=4
	v_or_b32_e32 v24, 0x7e, v0
; %bb.4433:                             ;   in Loop: Header=BB6_4406 Depth=4
	s_or_b64 exec, exec, s[28:29]
                                        ; implicit-def: $vgpr1
.LBB6_4434:                             ;   in Loop: Header=BB6_4406 Depth=4
	s_andn2_saveexec_b64 s[28:29], s[30:31]
; %bb.4435:                             ;   in Loop: Header=BB6_4406 Depth=4
	v_or_b32_sdwa v24, v1, s86 dst_sel:DWORD dst_unused:UNUSED_PAD src0_sel:BYTE_3 src1_sel:DWORD
; %bb.4436:                             ;   in Loop: Header=BB6_4406 Depth=4
	s_or_b64 exec, exec, s[28:29]
	v_lshrrev_b16_e32 v12, 8, v8
	v_cmp_ne_u16_e32 vcc, 0, v12
	v_mov_b32_e32 v0, 0
	s_and_saveexec_b64 s[28:29], vcc
	s_cbranch_execz .LBB6_4442
; %bb.4437:                             ;   in Loop: Header=BB6_4406 Depth=4
	v_cmp_ne_u16_e32 vcc, s96, v12
	v_bfrev_b32_e32 v0, 1
	s_and_saveexec_b64 s[30:31], vcc
	s_cbranch_execz .LBB6_4441
; %bb.4438:                             ;   in Loop: Header=BB6_4406 Depth=4
	v_and_b32_e32 v1, 0x7f, v12
	v_cmp_ne_u32_e32 vcc, s86, v1
	v_mov_b32_e32 v0, 0x7f800001
	s_and_saveexec_b64 s[34:35], vcc
	s_cbranch_execz .LBB6_4440
; %bb.4439:                             ;   in Loop: Header=BB6_4406 Depth=4
	v_and_b32_e32 v2, 7, v12
	v_ffbh_u32_e32 v0, v2
	v_min_u32_e32 v4, 32, v0
	v_subrev_u32_e32 v0, 28, v4
	v_lshrrev_b32_e32 v3, 3, v1
	v_cmp_gt_u32_e32 vcc, 8, v1
	v_lshlrev_b64 v[0:1], v0, v[12:13]
	v_sub_u32_e32 v1, 29, v4
	v_and_b32_e32 v0, 7, v0
	v_cndmask_b32_e32 v1, v3, v1, vcc
	v_cndmask_b32_e32 v0, v2, v0, vcc
	v_lshlrev_b32_e32 v2, 16, v8
	v_bfrev_b32_e32 v3, 60
	v_lshlrev_b32_e32 v0, 20, v0
	v_and_b32_e32 v2, 0x80000000, v2
	v_lshl_add_u32 v1, v1, 23, v3
	v_or3_b32 v0, v2, v1, v0
.LBB6_4440:                             ;   in Loop: Header=BB6_4406 Depth=4
	s_or_b64 exec, exec, s[34:35]
.LBB6_4441:                             ;   in Loop: Header=BB6_4406 Depth=4
	s_or_b64 exec, exec, s[30:31]
.LBB6_4442:                             ;   in Loop: Header=BB6_4406 Depth=4
	s_or_b64 exec, exec, s[28:29]
	v_mul_f32_e32 v1, v14, v0
	v_and_b32_e32 v50, 0x7f800000, v1
	v_cmp_ne_u64_e32 vcc, s[76:77], v[50:51]
                                        ; implicit-def: $vgpr25
	s_and_saveexec_b64 s[28:29], vcc
	s_xor_b64 s[30:31], exec, s[28:29]
	s_cbranch_execz .LBB6_4456
; %bb.4443:                             ;   in Loop: Header=BB6_4406 Depth=4
	v_and_b32_e32 v50, 0x7fffffff, v1
	v_cmp_gt_u64_e32 vcc, s[78:79], v[50:51]
	v_and_b32_sdwa v0, v1, s96 dst_sel:DWORD dst_unused:UNUSED_PAD src0_sel:BYTE_3 src1_sel:DWORD
                                        ; implicit-def: $vgpr25
	s_and_saveexec_b64 s[28:29], vcc
	s_xor_b64 s[34:35], exec, s[28:29]
	s_cbranch_execz .LBB6_4453
; %bb.4444:                             ;   in Loop: Header=BB6_4406 Depth=4
	v_mov_b32_e32 v25, 0
	v_cmp_ne_u32_e32 vcc, 0, v1
	s_and_saveexec_b64 s[36:37], vcc
	s_cbranch_execz .LBB6_4452
; %bb.4445:                             ;   in Loop: Header=BB6_4406 Depth=4
	v_and_b32_e32 v3, 0x7fffff, v1
	v_bfe_u32 v1, v1, 23, 8
	v_cmp_gt_u32_e64 s[28:29], s97, v1
	v_sub_u32_e32 v2, 0x79, v1
	v_cmp_eq_u32_e32 vcc, 0, v1
	v_cndmask_b32_e64 v2, 0, v2, s[28:29]
	v_mov_b32_e32 v5, 0x78
	v_or_b32_e32 v4, 0x800000, v3
	v_cndmask_b32_e32 v2, v2, v5, vcc
	v_cndmask_b32_e32 v50, v4, v3, vcc
	v_add_u32_e32 v3, 20, v2
	v_lshlrev_b64 v[3:4], v3, -1
	v_add_u32_e32 v5, 19, v2
	v_lshlrev_b64 v[5:6], v5, 1
	v_bfi_b32 v4, v4, 0, 0
	v_bfi_b32 v3, v3, 0, v50
	v_lshrrev_b64 v[12:13], v2, v[50:51]
	v_cmp_eq_u64_e64 s[28:29], v[3:4], v[5:6]
	v_mov_b32_e32 v4, v12
	v_mov_b32_e32 v5, v13
	s_and_saveexec_b64 s[38:39], s[28:29]
; %bb.4446:                             ;   in Loop: Header=BB6_4406 Depth=4
	v_bfe_u32 v3, v12, 20, 1
	v_add_co_u32_e64 v3, s[28:29], v12, v3
	v_add_co_u32_e64 v4, s[28:29], -1, v3
; %bb.4447:                             ;   in Loop: Header=BB6_4406 Depth=4
	s_or_b64 exec, exec, s[38:39]
	v_add_u32_e32 v1, 0xffffff81, v1
	v_mov_b32_e32 v3, 0xffffff82
	v_cndmask_b32_e32 v1, v1, v3, vcc
	v_lshrrev_b32_e32 v3, 23, v12
	v_add3_u32 v3, v2, v1, v3
	v_add_u32_e32 v2, 6, v3
	v_and_b32_e32 v1, 0xfffff, v4
	v_add_u32_e32 v50, v1, v12
	v_cmp_ne_u32_e32 vcc, 0, v2
                                        ; implicit-def: $vgpr12_vgpr13
                                        ; implicit-def: $vgpr1
	s_and_saveexec_b64 s[28:29], vcc
	s_xor_b64 s[28:29], exec, s[28:29]
; %bb.4448:                             ;   in Loop: Header=BB6_4406 Depth=4
	v_cmp_lt_u64_e32 vcc, s[88:89], v[50:51]
	v_add_u32_e32 v1, 7, v3
	v_cndmask_b32_e32 v1, v2, v1, vcc
	v_cndmask_b32_e64 v2, 0, 1, vcc
	v_lshrrev_b64 v[12:13], v2, v[50:51]
; %bb.4449:                             ;   in Loop: Header=BB6_4406 Depth=4
	s_andn2_saveexec_b64 s[28:29], s[28:29]
; %bb.4450:                             ;   in Loop: Header=BB6_4406 Depth=4
	v_mov_b32_e32 v12, v50
	v_bfe_u32 v1, v50, 23, 1
	v_mov_b32_e32 v13, v51
; %bb.4451:                             ;   in Loop: Header=BB6_4406 Depth=4
	s_or_b64 exec, exec, s[28:29]
	v_lshrrev_b64 v[2:3], 20, v[12:13]
	v_cmp_gt_i32_e32 vcc, 16, v1
	v_cndmask_b32_e32 v3, 0, v3, vcc
	v_cndmask_b32_e32 v2, 7, v2, vcc
	v_cmp_eq_u32_e32 vcc, 0, v1
	v_min_i32_e32 v1, 15, v1
	v_cmp_eq_u64_e64 s[28:29], 0, v[2:3]
	v_lshlrev_b32_e32 v1, 3, v1
	v_and_b32_e32 v1, 0xf8, v1
	v_and_or_b32 v1, v2, 7, v1
	s_and_b64 s[28:29], vcc, s[28:29]
	v_cndmask_b32_e64 v1, v1, 0, s[28:29]
	v_or_b32_e32 v25, v1, v0
.LBB6_4452:                             ;   in Loop: Header=BB6_4406 Depth=4
	s_or_b64 exec, exec, s[36:37]
                                        ; implicit-def: $vgpr0
.LBB6_4453:                             ;   in Loop: Header=BB6_4406 Depth=4
	s_andn2_saveexec_b64 s[28:29], s[34:35]
; %bb.4454:                             ;   in Loop: Header=BB6_4406 Depth=4
	v_or_b32_e32 v25, 0x7e, v0
; %bb.4455:                             ;   in Loop: Header=BB6_4406 Depth=4
	s_or_b64 exec, exec, s[28:29]
                                        ; implicit-def: $vgpr1
.LBB6_4456:                             ;   in Loop: Header=BB6_4406 Depth=4
	s_andn2_saveexec_b64 s[28:29], s[30:31]
; %bb.4457:                             ;   in Loop: Header=BB6_4406 Depth=4
	v_or_b32_sdwa v25, v1, s86 dst_sel:DWORD dst_unused:UNUSED_PAD src0_sel:BYTE_3 src1_sel:DWORD
; %bb.4458:                             ;   in Loop: Header=BB6_4406 Depth=4
	s_or_b64 exec, exec, s[28:29]
	v_lshrrev_b32_e32 v12, 16, v8
	v_cmp_ne_u16_sdwa vcc, v12, v51 src0_sel:BYTE_0 src1_sel:DWORD
	v_mov_b32_e32 v0, 0
	s_and_saveexec_b64 s[28:29], vcc
	s_cbranch_execz .LBB6_4464
; %bb.4459:                             ;   in Loop: Header=BB6_4406 Depth=4
	v_cmp_ne_u16_sdwa vcc, v12, s96 src0_sel:BYTE_0 src1_sel:DWORD
	v_bfrev_b32_e32 v0, 1
	s_and_saveexec_b64 s[30:31], vcc
	s_cbranch_execz .LBB6_4463
; %bb.4460:                             ;   in Loop: Header=BB6_4406 Depth=4
	v_bfe_u32 v1, v8, 16, 7
	v_cmp_ne_u32_e32 vcc, s86, v1
	v_mov_b32_e32 v0, 0x7f800001
	s_and_saveexec_b64 s[34:35], vcc
	s_cbranch_execz .LBB6_4462
; %bb.4461:                             ;   in Loop: Header=BB6_4406 Depth=4
	v_and_b32_e32 v2, 7, v12
	v_ffbh_u32_e32 v0, v2
	v_min_u32_e32 v4, 32, v0
	v_subrev_u32_e32 v0, 28, v4
	v_lshrrev_b32_e32 v3, 3, v1
	v_cmp_gt_u32_e32 vcc, 8, v1
	v_lshlrev_b64 v[0:1], v0, v[12:13]
	v_sub_u32_e32 v1, 29, v4
	v_and_b32_e32 v0, 7, v0
	v_cndmask_b32_e32 v1, v3, v1, vcc
	v_cndmask_b32_e32 v0, v2, v0, vcc
	v_lshlrev_b32_e32 v2, 24, v12
	v_bfrev_b32_e32 v3, 60
	v_lshlrev_b32_e32 v0, 20, v0
	v_and_b32_e32 v2, 0x80000000, v2
	v_lshl_add_u32 v1, v1, 23, v3
	v_or3_b32 v0, v2, v1, v0
.LBB6_4462:                             ;   in Loop: Header=BB6_4406 Depth=4
	s_or_b64 exec, exec, s[34:35]
.LBB6_4463:                             ;   in Loop: Header=BB6_4406 Depth=4
	s_or_b64 exec, exec, s[30:31]
.LBB6_4464:                             ;   in Loop: Header=BB6_4406 Depth=4
	s_or_b64 exec, exec, s[28:29]
	v_mul_f32_e32 v1, v14, v0
	v_and_b32_e32 v50, 0x7f800000, v1
	v_cmp_ne_u64_e32 vcc, s[76:77], v[50:51]
                                        ; implicit-def: $vgpr52
	s_and_saveexec_b64 s[28:29], vcc
	s_xor_b64 s[30:31], exec, s[28:29]
	s_cbranch_execz .LBB6_4478
; %bb.4465:                             ;   in Loop: Header=BB6_4406 Depth=4
	v_and_b32_e32 v50, 0x7fffffff, v1
	v_cmp_gt_u64_e32 vcc, s[78:79], v[50:51]
	v_and_b32_sdwa v0, v1, s96 dst_sel:DWORD dst_unused:UNUSED_PAD src0_sel:BYTE_3 src1_sel:DWORD
                                        ; implicit-def: $vgpr52
	s_and_saveexec_b64 s[28:29], vcc
	s_xor_b64 s[34:35], exec, s[28:29]
	s_cbranch_execz .LBB6_4475
; %bb.4466:                             ;   in Loop: Header=BB6_4406 Depth=4
	v_mov_b32_e32 v52, 0
	v_cmp_ne_u32_e32 vcc, 0, v1
	s_and_saveexec_b64 s[36:37], vcc
	s_cbranch_execz .LBB6_4474
; %bb.4467:                             ;   in Loop: Header=BB6_4406 Depth=4
	v_and_b32_e32 v3, 0x7fffff, v1
	v_bfe_u32 v1, v1, 23, 8
	v_cmp_gt_u32_e64 s[28:29], s97, v1
	v_sub_u32_e32 v2, 0x79, v1
	v_cmp_eq_u32_e32 vcc, 0, v1
	v_cndmask_b32_e64 v2, 0, v2, s[28:29]
	v_mov_b32_e32 v5, 0x78
	v_or_b32_e32 v4, 0x800000, v3
	v_cndmask_b32_e32 v2, v2, v5, vcc
	v_cndmask_b32_e32 v50, v4, v3, vcc
	v_add_u32_e32 v3, 20, v2
	v_lshlrev_b64 v[3:4], v3, -1
	v_add_u32_e32 v5, 19, v2
	v_lshlrev_b64 v[5:6], v5, 1
	v_bfi_b32 v4, v4, 0, 0
	v_bfi_b32 v3, v3, 0, v50
	v_lshrrev_b64 v[12:13], v2, v[50:51]
	v_cmp_eq_u64_e64 s[28:29], v[3:4], v[5:6]
	v_mov_b32_e32 v4, v12
	v_mov_b32_e32 v5, v13
	s_and_saveexec_b64 s[38:39], s[28:29]
; %bb.4468:                             ;   in Loop: Header=BB6_4406 Depth=4
	v_bfe_u32 v3, v12, 20, 1
	v_add_co_u32_e64 v3, s[28:29], v12, v3
	v_add_co_u32_e64 v4, s[28:29], -1, v3
; %bb.4469:                             ;   in Loop: Header=BB6_4406 Depth=4
	s_or_b64 exec, exec, s[38:39]
	v_add_u32_e32 v1, 0xffffff81, v1
	v_mov_b32_e32 v3, 0xffffff82
	v_cndmask_b32_e32 v1, v1, v3, vcc
	v_lshrrev_b32_e32 v3, 23, v12
	v_add3_u32 v3, v2, v1, v3
	v_add_u32_e32 v2, 6, v3
	v_and_b32_e32 v1, 0xfffff, v4
	v_add_u32_e32 v50, v1, v12
	v_cmp_ne_u32_e32 vcc, 0, v2
                                        ; implicit-def: $vgpr12_vgpr13
                                        ; implicit-def: $vgpr1
	s_and_saveexec_b64 s[28:29], vcc
	s_xor_b64 s[28:29], exec, s[28:29]
; %bb.4470:                             ;   in Loop: Header=BB6_4406 Depth=4
	v_cmp_lt_u64_e32 vcc, s[88:89], v[50:51]
	v_add_u32_e32 v1, 7, v3
	v_cndmask_b32_e32 v1, v2, v1, vcc
	v_cndmask_b32_e64 v2, 0, 1, vcc
	v_lshrrev_b64 v[12:13], v2, v[50:51]
; %bb.4471:                             ;   in Loop: Header=BB6_4406 Depth=4
	s_andn2_saveexec_b64 s[28:29], s[28:29]
; %bb.4472:                             ;   in Loop: Header=BB6_4406 Depth=4
	v_mov_b32_e32 v12, v50
	v_bfe_u32 v1, v50, 23, 1
	v_mov_b32_e32 v13, v51
; %bb.4473:                             ;   in Loop: Header=BB6_4406 Depth=4
	s_or_b64 exec, exec, s[28:29]
	v_lshrrev_b64 v[2:3], 20, v[12:13]
	v_cmp_gt_i32_e32 vcc, 16, v1
	v_cndmask_b32_e32 v3, 0, v3, vcc
	v_cndmask_b32_e32 v2, 7, v2, vcc
	v_cmp_eq_u32_e32 vcc, 0, v1
	v_min_i32_e32 v1, 15, v1
	v_cmp_eq_u64_e64 s[28:29], 0, v[2:3]
	v_lshlrev_b32_e32 v1, 3, v1
	v_and_b32_e32 v1, 0xf8, v1
	v_and_or_b32 v1, v2, 7, v1
	s_and_b64 s[28:29], vcc, s[28:29]
	v_cndmask_b32_e64 v1, v1, 0, s[28:29]
	v_or_b32_e32 v52, v1, v0
.LBB6_4474:                             ;   in Loop: Header=BB6_4406 Depth=4
	s_or_b64 exec, exec, s[36:37]
                                        ; implicit-def: $vgpr0
.LBB6_4475:                             ;   in Loop: Header=BB6_4406 Depth=4
	s_andn2_saveexec_b64 s[28:29], s[34:35]
; %bb.4476:                             ;   in Loop: Header=BB6_4406 Depth=4
	v_or_b32_e32 v52, 0x7e, v0
; %bb.4477:                             ;   in Loop: Header=BB6_4406 Depth=4
	s_or_b64 exec, exec, s[28:29]
                                        ; implicit-def: $vgpr1
.LBB6_4478:                             ;   in Loop: Header=BB6_4406 Depth=4
	s_andn2_saveexec_b64 s[28:29], s[30:31]
; %bb.4479:                             ;   in Loop: Header=BB6_4406 Depth=4
	v_or_b32_sdwa v52, v1, s86 dst_sel:DWORD dst_unused:UNUSED_PAD src0_sel:BYTE_3 src1_sel:DWORD
; %bb.4480:                             ;   in Loop: Header=BB6_4406 Depth=4
	s_or_b64 exec, exec, s[28:29]
	v_cmp_lt_u32_e32 vcc, s57, v8
	v_mov_b32_e32 v0, 0
	s_and_saveexec_b64 s[28:29], vcc
	s_cbranch_execz .LBB6_4486
; %bb.4481:                             ;   in Loop: Header=BB6_4406 Depth=4
	v_lshrrev_b32_e32 v12, 24, v8
	v_cmp_ne_u32_e32 vcc, s96, v12
	v_bfrev_b32_e32 v0, 1
	s_and_saveexec_b64 s[30:31], vcc
	s_cbranch_execz .LBB6_4485
; %bb.4482:                             ;   in Loop: Header=BB6_4406 Depth=4
	v_bfe_u32 v1, v8, 24, 7
	v_cmp_ne_u32_e32 vcc, s86, v1
	v_mov_b32_e32 v0, 0x7f800001
	s_and_saveexec_b64 s[34:35], vcc
	s_cbranch_execz .LBB6_4484
; %bb.4483:                             ;   in Loop: Header=BB6_4406 Depth=4
	v_and_b32_e32 v2, 7, v12
	v_ffbh_u32_e32 v0, v2
	v_min_u32_e32 v4, 32, v0
	v_subrev_u32_e32 v0, 28, v4
	v_lshrrev_b32_e32 v3, 3, v1
	v_cmp_gt_u32_e32 vcc, 8, v1
	v_lshlrev_b64 v[0:1], v0, v[12:13]
	v_sub_u32_e32 v1, 29, v4
	v_and_b32_e32 v0, 7, v0
	v_cndmask_b32_e32 v1, v3, v1, vcc
	v_cndmask_b32_e32 v0, v2, v0, vcc
	v_lshlrev_b32_e32 v2, 24, v12
	v_bfrev_b32_e32 v3, 60
	v_lshlrev_b32_e32 v0, 20, v0
	v_and_b32_e32 v2, 0x80000000, v2
	v_lshl_add_u32 v1, v1, 23, v3
	v_or3_b32 v0, v2, v1, v0
.LBB6_4484:                             ;   in Loop: Header=BB6_4406 Depth=4
	s_or_b64 exec, exec, s[34:35]
.LBB6_4485:                             ;   in Loop: Header=BB6_4406 Depth=4
	s_or_b64 exec, exec, s[30:31]
.LBB6_4486:                             ;   in Loop: Header=BB6_4406 Depth=4
	s_or_b64 exec, exec, s[28:29]
	v_mul_f32_e32 v1, v14, v0
	v_and_b32_e32 v50, 0x7f800000, v1
	v_cmp_ne_u64_e32 vcc, s[76:77], v[50:51]
                                        ; implicit-def: $vgpr48
	s_and_saveexec_b64 s[28:29], vcc
	s_xor_b64 s[30:31], exec, s[28:29]
	s_cbranch_execz .LBB6_4500
; %bb.4487:                             ;   in Loop: Header=BB6_4406 Depth=4
	v_and_b32_e32 v50, 0x7fffffff, v1
	v_cmp_gt_u64_e32 vcc, s[78:79], v[50:51]
	v_and_b32_sdwa v0, v1, s96 dst_sel:DWORD dst_unused:UNUSED_PAD src0_sel:BYTE_3 src1_sel:DWORD
                                        ; implicit-def: $vgpr48
	s_and_saveexec_b64 s[28:29], vcc
	s_xor_b64 s[34:35], exec, s[28:29]
	s_cbranch_execz .LBB6_4497
; %bb.4488:                             ;   in Loop: Header=BB6_4406 Depth=4
	v_mov_b32_e32 v48, 0
	v_cmp_ne_u32_e32 vcc, 0, v1
	s_and_saveexec_b64 s[36:37], vcc
	s_cbranch_execz .LBB6_4496
; %bb.4489:                             ;   in Loop: Header=BB6_4406 Depth=4
	v_and_b32_e32 v3, 0x7fffff, v1
	v_bfe_u32 v1, v1, 23, 8
	v_cmp_gt_u32_e64 s[28:29], s97, v1
	v_sub_u32_e32 v2, 0x79, v1
	v_cmp_eq_u32_e32 vcc, 0, v1
	v_cndmask_b32_e64 v2, 0, v2, s[28:29]
	v_mov_b32_e32 v5, 0x78
	v_or_b32_e32 v4, 0x800000, v3
	v_cndmask_b32_e32 v2, v2, v5, vcc
	v_cndmask_b32_e32 v50, v4, v3, vcc
	v_add_u32_e32 v3, 20, v2
	v_lshlrev_b64 v[3:4], v3, -1
	v_add_u32_e32 v5, 19, v2
	v_lshlrev_b64 v[5:6], v5, 1
	v_bfi_b32 v4, v4, 0, 0
	v_bfi_b32 v3, v3, 0, v50
	v_lshrrev_b64 v[12:13], v2, v[50:51]
	v_cmp_eq_u64_e64 s[28:29], v[3:4], v[5:6]
	v_mov_b32_e32 v4, v12
	v_mov_b32_e32 v5, v13
	s_and_saveexec_b64 s[38:39], s[28:29]
; %bb.4490:                             ;   in Loop: Header=BB6_4406 Depth=4
	v_bfe_u32 v3, v12, 20, 1
	v_add_co_u32_e64 v3, s[28:29], v12, v3
	v_add_co_u32_e64 v4, s[28:29], -1, v3
; %bb.4491:                             ;   in Loop: Header=BB6_4406 Depth=4
	s_or_b64 exec, exec, s[38:39]
	v_add_u32_e32 v1, 0xffffff81, v1
	v_mov_b32_e32 v3, 0xffffff82
	v_cndmask_b32_e32 v1, v1, v3, vcc
	v_lshrrev_b32_e32 v3, 23, v12
	v_add3_u32 v3, v2, v1, v3
	v_add_u32_e32 v2, 6, v3
	v_and_b32_e32 v1, 0xfffff, v4
	v_add_u32_e32 v50, v1, v12
	v_cmp_ne_u32_e32 vcc, 0, v2
                                        ; implicit-def: $vgpr12_vgpr13
                                        ; implicit-def: $vgpr1
	s_and_saveexec_b64 s[28:29], vcc
	s_xor_b64 s[28:29], exec, s[28:29]
; %bb.4492:                             ;   in Loop: Header=BB6_4406 Depth=4
	v_cmp_lt_u64_e32 vcc, s[88:89], v[50:51]
	v_add_u32_e32 v1, 7, v3
	v_cndmask_b32_e32 v1, v2, v1, vcc
	v_cndmask_b32_e64 v2, 0, 1, vcc
	v_lshrrev_b64 v[12:13], v2, v[50:51]
; %bb.4493:                             ;   in Loop: Header=BB6_4406 Depth=4
	s_andn2_saveexec_b64 s[28:29], s[28:29]
; %bb.4494:                             ;   in Loop: Header=BB6_4406 Depth=4
	v_mov_b32_e32 v12, v50
	v_bfe_u32 v1, v50, 23, 1
	v_mov_b32_e32 v13, v51
; %bb.4495:                             ;   in Loop: Header=BB6_4406 Depth=4
	s_or_b64 exec, exec, s[28:29]
	v_lshrrev_b64 v[2:3], 20, v[12:13]
	v_cmp_gt_i32_e32 vcc, 16, v1
	v_cndmask_b32_e32 v3, 0, v3, vcc
	v_cndmask_b32_e32 v2, 7, v2, vcc
	v_cmp_eq_u32_e32 vcc, 0, v1
	v_min_i32_e32 v1, 15, v1
	v_cmp_eq_u64_e64 s[28:29], 0, v[2:3]
	v_lshlrev_b32_e32 v1, 3, v1
	v_and_b32_e32 v1, 0xf8, v1
	v_and_or_b32 v1, v2, 7, v1
	s_and_b64 s[28:29], vcc, s[28:29]
	v_cndmask_b32_e64 v1, v1, 0, s[28:29]
	v_or_b32_e32 v48, v1, v0
.LBB6_4496:                             ;   in Loop: Header=BB6_4406 Depth=4
	s_or_b64 exec, exec, s[36:37]
                                        ; implicit-def: $vgpr0
.LBB6_4497:                             ;   in Loop: Header=BB6_4406 Depth=4
	s_andn2_saveexec_b64 s[28:29], s[34:35]
; %bb.4498:                             ;   in Loop: Header=BB6_4406 Depth=4
	v_or_b32_e32 v48, 0x7e, v0
; %bb.4499:                             ;   in Loop: Header=BB6_4406 Depth=4
	s_or_b64 exec, exec, s[28:29]
                                        ; implicit-def: $vgpr1
.LBB6_4500:                             ;   in Loop: Header=BB6_4406 Depth=4
	s_andn2_saveexec_b64 s[28:29], s[30:31]
; %bb.4501:                             ;   in Loop: Header=BB6_4406 Depth=4
	v_or_b32_sdwa v48, v1, s86 dst_sel:DWORD dst_unused:UNUSED_PAD src0_sel:BYTE_3 src1_sel:DWORD
; %bb.4502:                             ;   in Loop: Header=BB6_4406 Depth=4
	s_or_b64 exec, exec, s[28:29]
	v_mov_b32_e32 v50, v9
	v_cmp_ne_u16_sdwa vcc, v9, v51 src0_sel:BYTE_0 src1_sel:DWORD
	v_mov_b32_e32 v0, 0
	s_and_saveexec_b64 s[28:29], vcc
	s_cbranch_execz .LBB6_4508
; %bb.4503:                             ;   in Loop: Header=BB6_4406 Depth=4
	v_cmp_ne_u16_sdwa vcc, v9, s96 src0_sel:BYTE_0 src1_sel:DWORD
	v_bfrev_b32_e32 v0, 1
	s_and_saveexec_b64 s[30:31], vcc
	s_cbranch_execz .LBB6_4507
; %bb.4504:                             ;   in Loop: Header=BB6_4406 Depth=4
	v_and_b32_e32 v1, 0x7f, v9
	v_cmp_ne_u32_e32 vcc, s86, v1
	v_mov_b32_e32 v0, 0x7f800001
	s_and_saveexec_b64 s[34:35], vcc
	s_cbranch_execz .LBB6_4506
; %bb.4505:                             ;   in Loop: Header=BB6_4406 Depth=4
	v_and_b32_e32 v0, 7, v9
	v_ffbh_u32_e32 v0, v0
	v_min_u32_e32 v0, 32, v0
	v_lshrrev_b32_e32 v2, 3, v1
	v_cmp_gt_u32_e32 vcc, 8, v1
	v_subrev_u32_e32 v1, 28, v0
	v_sub_u32_e32 v0, 29, v0
	v_cndmask_b32_e32 v2, v2, v0, vcc
	v_cndmask_b32_e32 v0, 0, v1, vcc
	v_lshlrev_b64 v[0:1], v0, v[50:51]
	v_lshlrev_b32_e32 v1, 24, v50
	v_lshlrev_b32_e32 v0, 20, v0
	v_bfrev_b32_e32 v3, 60
	v_and_b32_e32 v0, 0x700000, v0
	v_and_b32_e32 v1, 0x80000000, v1
	v_lshl_add_u32 v2, v2, 23, v3
	v_or3_b32 v0, v1, v2, v0
.LBB6_4506:                             ;   in Loop: Header=BB6_4406 Depth=4
	s_or_b64 exec, exec, s[34:35]
.LBB6_4507:                             ;   in Loop: Header=BB6_4406 Depth=4
	s_or_b64 exec, exec, s[30:31]
.LBB6_4508:                             ;   in Loop: Header=BB6_4406 Depth=4
	s_or_b64 exec, exec, s[28:29]
	v_mul_f32_e32 v1, v14, v0
	v_and_b32_e32 v2, 0x7f800000, v1
	v_mov_b32_e32 v3, v51
	v_cmp_ne_u64_e32 vcc, s[76:77], v[2:3]
                                        ; implicit-def: $vgpr38
	s_and_saveexec_b64 s[28:29], vcc
	s_xor_b64 s[30:31], exec, s[28:29]
	s_cbranch_execz .LBB6_4522
; %bb.4509:                             ;   in Loop: Header=BB6_4406 Depth=4
	v_and_b32_e32 v2, 0x7fffffff, v1
	v_mov_b32_e32 v3, v51
	v_cmp_gt_u64_e32 vcc, s[78:79], v[2:3]
	v_and_b32_sdwa v0, v1, s96 dst_sel:DWORD dst_unused:UNUSED_PAD src0_sel:BYTE_3 src1_sel:DWORD
                                        ; implicit-def: $vgpr38
	s_and_saveexec_b64 s[28:29], vcc
	s_xor_b64 s[34:35], exec, s[28:29]
	s_cbranch_execz .LBB6_4519
; %bb.4510:                             ;   in Loop: Header=BB6_4406 Depth=4
	v_mov_b32_e32 v38, 0
	v_cmp_ne_u32_e32 vcc, 0, v1
	s_and_saveexec_b64 s[36:37], vcc
	s_cbranch_execz .LBB6_4518
; %bb.4511:                             ;   in Loop: Header=BB6_4406 Depth=4
	v_and_b32_e32 v3, 0x7fffff, v1
	v_bfe_u32 v1, v1, 23, 8
	v_cmp_gt_u32_e64 s[28:29], s97, v1
	v_sub_u32_e32 v2, 0x79, v1
	v_cmp_eq_u32_e32 vcc, 0, v1
	v_cndmask_b32_e64 v2, 0, v2, s[28:29]
	v_mov_b32_e32 v5, 0x78
	v_cndmask_b32_e32 v2, v2, v5, vcc
	v_add_u32_e32 v5, 20, v2
	v_or_b32_e32 v4, 0x800000, v3
	v_lshlrev_b64 v[5:6], v5, -1
	v_add_u32_e32 v12, 19, v2
	v_cndmask_b32_e32 v3, v4, v3, vcc
	v_lshlrev_b64 v[12:13], v12, 1
	v_mov_b32_e32 v4, v51
	v_bfi_b32 v6, v6, 0, 0
	v_bfi_b32 v5, v5, 0, v3
	v_cmp_eq_u64_e64 s[28:29], v[5:6], v[12:13]
	v_lshrrev_b64 v[12:13], v2, v[3:4]
	v_mov_b32_e32 v4, v12
	v_mov_b32_e32 v5, v13
	s_and_saveexec_b64 s[38:39], s[28:29]
; %bb.4512:                             ;   in Loop: Header=BB6_4406 Depth=4
	v_bfe_u32 v3, v12, 20, 1
	v_add_co_u32_e64 v3, s[28:29], v12, v3
	v_add_co_u32_e64 v4, s[28:29], -1, v3
; %bb.4513:                             ;   in Loop: Header=BB6_4406 Depth=4
	s_or_b64 exec, exec, s[38:39]
	v_add_u32_e32 v1, 0xffffff81, v1
	v_mov_b32_e32 v3, 0xffffff82
	v_cndmask_b32_e32 v1, v1, v3, vcc
	v_lshrrev_b32_e32 v3, 23, v12
	v_add3_u32 v3, v2, v1, v3
	v_add_u32_e32 v2, 6, v3
	v_and_b32_e32 v1, 0xfffff, v4
	v_add_u32_e32 v12, v1, v12
	v_mov_b32_e32 v13, v51
	v_cmp_ne_u32_e32 vcc, 0, v2
                                        ; implicit-def: $vgpr1
	s_and_saveexec_b64 s[28:29], vcc
	s_xor_b64 s[28:29], exec, s[28:29]
; %bb.4514:                             ;   in Loop: Header=BB6_4406 Depth=4
	v_cmp_lt_u64_e32 vcc, s[88:89], v[12:13]
	v_add_u32_e32 v1, 7, v3
	v_cndmask_b32_e32 v1, v2, v1, vcc
	v_cndmask_b32_e64 v2, 0, 1, vcc
	v_lshrrev_b64 v[12:13], v2, v[12:13]
; %bb.4515:                             ;   in Loop: Header=BB6_4406 Depth=4
	s_andn2_saveexec_b64 s[28:29], s[28:29]
; %bb.4516:                             ;   in Loop: Header=BB6_4406 Depth=4
	v_bfe_u32 v1, v12, 23, 1
; %bb.4517:                             ;   in Loop: Header=BB6_4406 Depth=4
	s_or_b64 exec, exec, s[28:29]
	v_lshrrev_b64 v[2:3], 20, v[12:13]
	v_cmp_gt_i32_e32 vcc, 16, v1
	v_cndmask_b32_e32 v3, 0, v3, vcc
	v_cndmask_b32_e32 v2, 7, v2, vcc
	v_cmp_eq_u32_e32 vcc, 0, v1
	v_min_i32_e32 v1, 15, v1
	v_cmp_eq_u64_e64 s[28:29], 0, v[2:3]
	v_lshlrev_b32_e32 v1, 3, v1
	v_and_b32_e32 v1, 0xf8, v1
	v_and_or_b32 v1, v2, 7, v1
	s_and_b64 s[28:29], vcc, s[28:29]
	v_cndmask_b32_e64 v1, v1, 0, s[28:29]
	v_or_b32_e32 v38, v1, v0
.LBB6_4518:                             ;   in Loop: Header=BB6_4406 Depth=4
	s_or_b64 exec, exec, s[36:37]
                                        ; implicit-def: $vgpr0
.LBB6_4519:                             ;   in Loop: Header=BB6_4406 Depth=4
	s_andn2_saveexec_b64 s[28:29], s[34:35]
; %bb.4520:                             ;   in Loop: Header=BB6_4406 Depth=4
	v_or_b32_e32 v38, 0x7e, v0
; %bb.4521:                             ;   in Loop: Header=BB6_4406 Depth=4
	s_or_b64 exec, exec, s[28:29]
                                        ; implicit-def: $vgpr1
.LBB6_4522:                             ;   in Loop: Header=BB6_4406 Depth=4
	s_andn2_saveexec_b64 s[28:29], s[30:31]
; %bb.4523:                             ;   in Loop: Header=BB6_4406 Depth=4
	v_or_b32_sdwa v38, v1, s86 dst_sel:DWORD dst_unused:UNUSED_PAD src0_sel:BYTE_3 src1_sel:DWORD
; %bb.4524:                             ;   in Loop: Header=BB6_4406 Depth=4
	s_or_b64 exec, exec, s[28:29]
	v_lshrrev_b16_e32 v12, 8, v50
	v_cmp_ne_u16_e32 vcc, 0, v12
	v_mov_b32_e32 v0, 0
	s_and_saveexec_b64 s[28:29], vcc
	s_cbranch_execz .LBB6_4530
; %bb.4525:                             ;   in Loop: Header=BB6_4406 Depth=4
	v_cmp_ne_u16_e32 vcc, s96, v12
	v_bfrev_b32_e32 v0, 1
	s_and_saveexec_b64 s[30:31], vcc
	s_cbranch_execz .LBB6_4529
; %bb.4526:                             ;   in Loop: Header=BB6_4406 Depth=4
	v_and_b32_e32 v1, 0x7f, v12
	v_cmp_ne_u32_e32 vcc, s86, v1
	v_mov_b32_e32 v0, 0x7f800001
	s_and_saveexec_b64 s[34:35], vcc
	s_cbranch_execz .LBB6_4528
; %bb.4527:                             ;   in Loop: Header=BB6_4406 Depth=4
	v_and_b32_e32 v2, 7, v12
	v_ffbh_u32_e32 v0, v2
	v_min_u32_e32 v4, 32, v0
	v_subrev_u32_e32 v0, 28, v4
	v_lshrrev_b32_e32 v3, 3, v1
	v_cmp_gt_u32_e32 vcc, 8, v1
	v_lshlrev_b64 v[0:1], v0, v[12:13]
	v_sub_u32_e32 v1, 29, v4
	v_and_b32_e32 v0, 7, v0
	v_cndmask_b32_e32 v1, v3, v1, vcc
	v_cndmask_b32_e32 v0, v2, v0, vcc
	v_lshlrev_b32_e32 v2, 16, v50
	v_bfrev_b32_e32 v3, 60
	v_lshlrev_b32_e32 v0, 20, v0
	v_and_b32_e32 v2, 0x80000000, v2
	v_lshl_add_u32 v1, v1, 23, v3
	v_or3_b32 v0, v2, v1, v0
.LBB6_4528:                             ;   in Loop: Header=BB6_4406 Depth=4
	s_or_b64 exec, exec, s[34:35]
.LBB6_4529:                             ;   in Loop: Header=BB6_4406 Depth=4
	s_or_b64 exec, exec, s[30:31]
.LBB6_4530:                             ;   in Loop: Header=BB6_4406 Depth=4
	s_or_b64 exec, exec, s[28:29]
	v_mul_f32_e32 v1, v14, v0
	v_and_b32_e32 v50, 0x7f800000, v1
	v_cmp_ne_u64_e32 vcc, s[76:77], v[50:51]
                                        ; implicit-def: $vgpr47
	s_and_saveexec_b64 s[28:29], vcc
	s_xor_b64 s[30:31], exec, s[28:29]
	s_cbranch_execz .LBB6_4544
; %bb.4531:                             ;   in Loop: Header=BB6_4406 Depth=4
	v_and_b32_e32 v50, 0x7fffffff, v1
	v_cmp_gt_u64_e32 vcc, s[78:79], v[50:51]
	v_and_b32_sdwa v0, v1, s96 dst_sel:DWORD dst_unused:UNUSED_PAD src0_sel:BYTE_3 src1_sel:DWORD
                                        ; implicit-def: $vgpr47
	s_and_saveexec_b64 s[28:29], vcc
	s_xor_b64 s[34:35], exec, s[28:29]
	s_cbranch_execz .LBB6_4541
; %bb.4532:                             ;   in Loop: Header=BB6_4406 Depth=4
	v_mov_b32_e32 v47, 0
	v_cmp_ne_u32_e32 vcc, 0, v1
	s_and_saveexec_b64 s[36:37], vcc
	s_cbranch_execz .LBB6_4540
; %bb.4533:                             ;   in Loop: Header=BB6_4406 Depth=4
	v_and_b32_e32 v3, 0x7fffff, v1
	v_bfe_u32 v1, v1, 23, 8
	v_cmp_gt_u32_e64 s[28:29], s97, v1
	v_sub_u32_e32 v2, 0x79, v1
	v_cmp_eq_u32_e32 vcc, 0, v1
	v_cndmask_b32_e64 v2, 0, v2, s[28:29]
	v_mov_b32_e32 v5, 0x78
	v_or_b32_e32 v4, 0x800000, v3
	v_cndmask_b32_e32 v2, v2, v5, vcc
	v_cndmask_b32_e32 v50, v4, v3, vcc
	v_add_u32_e32 v3, 20, v2
	v_lshlrev_b64 v[3:4], v3, -1
	v_add_u32_e32 v5, 19, v2
	v_lshlrev_b64 v[5:6], v5, 1
	v_bfi_b32 v4, v4, 0, 0
	v_bfi_b32 v3, v3, 0, v50
	v_lshrrev_b64 v[12:13], v2, v[50:51]
	v_cmp_eq_u64_e64 s[28:29], v[3:4], v[5:6]
	v_mov_b32_e32 v4, v12
	v_mov_b32_e32 v5, v13
	s_and_saveexec_b64 s[38:39], s[28:29]
; %bb.4534:                             ;   in Loop: Header=BB6_4406 Depth=4
	v_bfe_u32 v3, v12, 20, 1
	v_add_co_u32_e64 v3, s[28:29], v12, v3
	v_add_co_u32_e64 v4, s[28:29], -1, v3
; %bb.4535:                             ;   in Loop: Header=BB6_4406 Depth=4
	s_or_b64 exec, exec, s[38:39]
	v_add_u32_e32 v1, 0xffffff81, v1
	v_mov_b32_e32 v3, 0xffffff82
	v_cndmask_b32_e32 v1, v1, v3, vcc
	v_lshrrev_b32_e32 v3, 23, v12
	v_add3_u32 v3, v2, v1, v3
	v_add_u32_e32 v2, 6, v3
	v_and_b32_e32 v1, 0xfffff, v4
	v_add_u32_e32 v50, v1, v12
	v_cmp_ne_u32_e32 vcc, 0, v2
                                        ; implicit-def: $vgpr12_vgpr13
                                        ; implicit-def: $vgpr1
	s_and_saveexec_b64 s[28:29], vcc
	s_xor_b64 s[28:29], exec, s[28:29]
; %bb.4536:                             ;   in Loop: Header=BB6_4406 Depth=4
	v_cmp_lt_u64_e32 vcc, s[88:89], v[50:51]
	v_add_u32_e32 v1, 7, v3
	v_cndmask_b32_e32 v1, v2, v1, vcc
	v_cndmask_b32_e64 v2, 0, 1, vcc
	v_lshrrev_b64 v[12:13], v2, v[50:51]
; %bb.4537:                             ;   in Loop: Header=BB6_4406 Depth=4
	s_andn2_saveexec_b64 s[28:29], s[28:29]
; %bb.4538:                             ;   in Loop: Header=BB6_4406 Depth=4
	v_mov_b32_e32 v12, v50
	v_bfe_u32 v1, v50, 23, 1
	v_mov_b32_e32 v13, v51
; %bb.4539:                             ;   in Loop: Header=BB6_4406 Depth=4
	s_or_b64 exec, exec, s[28:29]
	v_lshrrev_b64 v[2:3], 20, v[12:13]
	v_cmp_gt_i32_e32 vcc, 16, v1
	v_cndmask_b32_e32 v3, 0, v3, vcc
	v_cndmask_b32_e32 v2, 7, v2, vcc
	v_cmp_eq_u32_e32 vcc, 0, v1
	v_min_i32_e32 v1, 15, v1
	v_cmp_eq_u64_e64 s[28:29], 0, v[2:3]
	v_lshlrev_b32_e32 v1, 3, v1
	v_and_b32_e32 v1, 0xf8, v1
	v_and_or_b32 v1, v2, 7, v1
	s_and_b64 s[28:29], vcc, s[28:29]
	v_cndmask_b32_e64 v1, v1, 0, s[28:29]
	v_or_b32_e32 v47, v1, v0
.LBB6_4540:                             ;   in Loop: Header=BB6_4406 Depth=4
	s_or_b64 exec, exec, s[36:37]
                                        ; implicit-def: $vgpr0
.LBB6_4541:                             ;   in Loop: Header=BB6_4406 Depth=4
	s_andn2_saveexec_b64 s[28:29], s[34:35]
; %bb.4542:                             ;   in Loop: Header=BB6_4406 Depth=4
	v_or_b32_e32 v47, 0x7e, v0
; %bb.4543:                             ;   in Loop: Header=BB6_4406 Depth=4
	s_or_b64 exec, exec, s[28:29]
                                        ; implicit-def: $vgpr1
.LBB6_4544:                             ;   in Loop: Header=BB6_4406 Depth=4
	s_andn2_saveexec_b64 s[28:29], s[30:31]
; %bb.4545:                             ;   in Loop: Header=BB6_4406 Depth=4
	v_or_b32_sdwa v47, v1, s86 dst_sel:DWORD dst_unused:UNUSED_PAD src0_sel:BYTE_3 src1_sel:DWORD
; %bb.4546:                             ;   in Loop: Header=BB6_4406 Depth=4
	s_or_b64 exec, exec, s[28:29]
	v_lshrrev_b32_e32 v12, 16, v9
	v_cmp_ne_u16_sdwa vcc, v12, v51 src0_sel:BYTE_0 src1_sel:DWORD
	v_mov_b32_e32 v0, 0
	s_and_saveexec_b64 s[28:29], vcc
	s_cbranch_execz .LBB6_4552
; %bb.4547:                             ;   in Loop: Header=BB6_4406 Depth=4
	v_cmp_ne_u16_sdwa vcc, v12, s96 src0_sel:BYTE_0 src1_sel:DWORD
	v_bfrev_b32_e32 v0, 1
	s_and_saveexec_b64 s[30:31], vcc
	s_cbranch_execz .LBB6_4551
; %bb.4548:                             ;   in Loop: Header=BB6_4406 Depth=4
	v_bfe_u32 v1, v9, 16, 7
	v_cmp_ne_u32_e32 vcc, s86, v1
	v_mov_b32_e32 v0, 0x7f800001
	s_and_saveexec_b64 s[34:35], vcc
	s_cbranch_execz .LBB6_4550
; %bb.4549:                             ;   in Loop: Header=BB6_4406 Depth=4
	v_and_b32_e32 v2, 7, v12
	v_ffbh_u32_e32 v0, v2
	v_min_u32_e32 v4, 32, v0
	v_subrev_u32_e32 v0, 28, v4
	v_lshrrev_b32_e32 v3, 3, v1
	v_cmp_gt_u32_e32 vcc, 8, v1
	v_lshlrev_b64 v[0:1], v0, v[12:13]
	v_sub_u32_e32 v1, 29, v4
	v_and_b32_e32 v0, 7, v0
	v_cndmask_b32_e32 v1, v3, v1, vcc
	v_cndmask_b32_e32 v0, v2, v0, vcc
	v_lshlrev_b32_e32 v2, 24, v12
	v_bfrev_b32_e32 v3, 60
	v_lshlrev_b32_e32 v0, 20, v0
	v_and_b32_e32 v2, 0x80000000, v2
	v_lshl_add_u32 v1, v1, 23, v3
	v_or3_b32 v0, v2, v1, v0
.LBB6_4550:                             ;   in Loop: Header=BB6_4406 Depth=4
	s_or_b64 exec, exec, s[34:35]
.LBB6_4551:                             ;   in Loop: Header=BB6_4406 Depth=4
	s_or_b64 exec, exec, s[30:31]
.LBB6_4552:                             ;   in Loop: Header=BB6_4406 Depth=4
	s_or_b64 exec, exec, s[28:29]
	v_mul_f32_e32 v1, v14, v0
	v_and_b32_e32 v50, 0x7f800000, v1
	v_cmp_ne_u64_e32 vcc, s[76:77], v[50:51]
                                        ; implicit-def: $vgpr56
	s_and_saveexec_b64 s[28:29], vcc
	s_xor_b64 s[30:31], exec, s[28:29]
	s_cbranch_execz .LBB6_4566
; %bb.4553:                             ;   in Loop: Header=BB6_4406 Depth=4
	v_and_b32_e32 v50, 0x7fffffff, v1
	v_cmp_gt_u64_e32 vcc, s[78:79], v[50:51]
	v_and_b32_sdwa v0, v1, s96 dst_sel:DWORD dst_unused:UNUSED_PAD src0_sel:BYTE_3 src1_sel:DWORD
                                        ; implicit-def: $vgpr56
	s_and_saveexec_b64 s[28:29], vcc
	s_xor_b64 s[34:35], exec, s[28:29]
	s_cbranch_execz .LBB6_4563
; %bb.4554:                             ;   in Loop: Header=BB6_4406 Depth=4
	v_mov_b32_e32 v56, 0
	v_cmp_ne_u32_e32 vcc, 0, v1
	s_and_saveexec_b64 s[36:37], vcc
	s_cbranch_execz .LBB6_4562
; %bb.4555:                             ;   in Loop: Header=BB6_4406 Depth=4
	v_and_b32_e32 v3, 0x7fffff, v1
	v_bfe_u32 v1, v1, 23, 8
	v_cmp_gt_u32_e64 s[28:29], s97, v1
	v_sub_u32_e32 v2, 0x79, v1
	v_cmp_eq_u32_e32 vcc, 0, v1
	v_cndmask_b32_e64 v2, 0, v2, s[28:29]
	v_mov_b32_e32 v5, 0x78
	v_or_b32_e32 v4, 0x800000, v3
	v_cndmask_b32_e32 v2, v2, v5, vcc
	v_cndmask_b32_e32 v50, v4, v3, vcc
	v_add_u32_e32 v3, 20, v2
	v_lshlrev_b64 v[3:4], v3, -1
	v_add_u32_e32 v5, 19, v2
	v_lshlrev_b64 v[5:6], v5, 1
	v_bfi_b32 v4, v4, 0, 0
	v_bfi_b32 v3, v3, 0, v50
	v_lshrrev_b64 v[12:13], v2, v[50:51]
	v_cmp_eq_u64_e64 s[28:29], v[3:4], v[5:6]
	v_mov_b32_e32 v4, v12
	v_mov_b32_e32 v5, v13
	s_and_saveexec_b64 s[38:39], s[28:29]
; %bb.4556:                             ;   in Loop: Header=BB6_4406 Depth=4
	v_bfe_u32 v3, v12, 20, 1
	v_add_co_u32_e64 v3, s[28:29], v12, v3
	v_add_co_u32_e64 v4, s[28:29], -1, v3
; %bb.4557:                             ;   in Loop: Header=BB6_4406 Depth=4
	s_or_b64 exec, exec, s[38:39]
	v_add_u32_e32 v1, 0xffffff81, v1
	v_mov_b32_e32 v3, 0xffffff82
	v_cndmask_b32_e32 v1, v1, v3, vcc
	v_lshrrev_b32_e32 v3, 23, v12
	v_add3_u32 v3, v2, v1, v3
	v_add_u32_e32 v2, 6, v3
	v_and_b32_e32 v1, 0xfffff, v4
	v_add_u32_e32 v50, v1, v12
	v_cmp_ne_u32_e32 vcc, 0, v2
                                        ; implicit-def: $vgpr12_vgpr13
                                        ; implicit-def: $vgpr1
	s_and_saveexec_b64 s[28:29], vcc
	s_xor_b64 s[28:29], exec, s[28:29]
; %bb.4558:                             ;   in Loop: Header=BB6_4406 Depth=4
	v_cmp_lt_u64_e32 vcc, s[88:89], v[50:51]
	v_add_u32_e32 v1, 7, v3
	v_cndmask_b32_e32 v1, v2, v1, vcc
	v_cndmask_b32_e64 v2, 0, 1, vcc
	v_lshrrev_b64 v[12:13], v2, v[50:51]
; %bb.4559:                             ;   in Loop: Header=BB6_4406 Depth=4
	s_andn2_saveexec_b64 s[28:29], s[28:29]
; %bb.4560:                             ;   in Loop: Header=BB6_4406 Depth=4
	v_mov_b32_e32 v12, v50
	v_bfe_u32 v1, v50, 23, 1
	v_mov_b32_e32 v13, v51
; %bb.4561:                             ;   in Loop: Header=BB6_4406 Depth=4
	s_or_b64 exec, exec, s[28:29]
	v_lshrrev_b64 v[2:3], 20, v[12:13]
	v_cmp_gt_i32_e32 vcc, 16, v1
	v_cndmask_b32_e32 v3, 0, v3, vcc
	v_cndmask_b32_e32 v2, 7, v2, vcc
	v_cmp_eq_u32_e32 vcc, 0, v1
	v_min_i32_e32 v1, 15, v1
	v_cmp_eq_u64_e64 s[28:29], 0, v[2:3]
	v_lshlrev_b32_e32 v1, 3, v1
	v_and_b32_e32 v1, 0xf8, v1
	v_and_or_b32 v1, v2, 7, v1
	s_and_b64 s[28:29], vcc, s[28:29]
	v_cndmask_b32_e64 v1, v1, 0, s[28:29]
	v_or_b32_e32 v56, v1, v0
.LBB6_4562:                             ;   in Loop: Header=BB6_4406 Depth=4
	s_or_b64 exec, exec, s[36:37]
                                        ; implicit-def: $vgpr0
.LBB6_4563:                             ;   in Loop: Header=BB6_4406 Depth=4
	s_andn2_saveexec_b64 s[28:29], s[34:35]
; %bb.4564:                             ;   in Loop: Header=BB6_4406 Depth=4
	v_or_b32_e32 v56, 0x7e, v0
; %bb.4565:                             ;   in Loop: Header=BB6_4406 Depth=4
	s_or_b64 exec, exec, s[28:29]
                                        ; implicit-def: $vgpr1
.LBB6_4566:                             ;   in Loop: Header=BB6_4406 Depth=4
	s_andn2_saveexec_b64 s[28:29], s[30:31]
; %bb.4567:                             ;   in Loop: Header=BB6_4406 Depth=4
	v_or_b32_sdwa v56, v1, s86 dst_sel:DWORD dst_unused:UNUSED_PAD src0_sel:BYTE_3 src1_sel:DWORD
; %bb.4568:                             ;   in Loop: Header=BB6_4406 Depth=4
	s_or_b64 exec, exec, s[28:29]
	v_cmp_lt_u64_e32 vcc, s[56:57], v[8:9]
	v_mov_b32_e32 v0, 0
	s_and_saveexec_b64 s[28:29], vcc
	s_cbranch_execz .LBB6_4574
; %bb.4569:                             ;   in Loop: Header=BB6_4406 Depth=4
	v_lshrrev_b32_e32 v8, 24, v9
	v_cmp_ne_u32_e32 vcc, s96, v8
	v_bfrev_b32_e32 v0, 1
	s_and_saveexec_b64 s[30:31], vcc
	s_cbranch_execz .LBB6_4573
; %bb.4570:                             ;   in Loop: Header=BB6_4406 Depth=4
	v_bfe_u32 v1, v9, 24, 7
	v_cmp_ne_u32_e32 vcc, s86, v1
	v_mov_b32_e32 v0, 0x7f800001
	s_and_saveexec_b64 s[34:35], vcc
	s_cbranch_execz .LBB6_4572
; %bb.4571:                             ;   in Loop: Header=BB6_4406 Depth=4
	v_and_b32_e32 v2, 7, v8
	v_ffbh_u32_e32 v0, v2
	v_min_u32_e32 v4, 32, v0
	v_subrev_u32_e32 v0, 28, v4
	v_lshrrev_b32_e32 v3, 3, v1
	v_cmp_gt_u32_e32 vcc, 8, v1
	v_lshlrev_b64 v[0:1], v0, v[8:9]
	v_sub_u32_e32 v1, 29, v4
	v_and_b32_e32 v0, 7, v0
	v_cndmask_b32_e32 v1, v3, v1, vcc
	v_cndmask_b32_e32 v0, v2, v0, vcc
	v_lshlrev_b32_e32 v2, 24, v8
	v_bfrev_b32_e32 v3, 60
	v_lshlrev_b32_e32 v0, 20, v0
	v_and_b32_e32 v2, 0x80000000, v2
	v_lshl_add_u32 v1, v1, 23, v3
	v_or3_b32 v0, v2, v1, v0
.LBB6_4572:                             ;   in Loop: Header=BB6_4406 Depth=4
	s_or_b64 exec, exec, s[34:35]
.LBB6_4573:                             ;   in Loop: Header=BB6_4406 Depth=4
	s_or_b64 exec, exec, s[30:31]
.LBB6_4574:                             ;   in Loop: Header=BB6_4406 Depth=4
	s_or_b64 exec, exec, s[28:29]
	v_mul_f32_e32 v1, v14, v0
	v_and_b32_e32 v50, 0x7f800000, v1
	v_cmp_ne_u64_e32 vcc, s[76:77], v[50:51]
                                        ; implicit-def: $vgpr59
	s_and_saveexec_b64 s[28:29], vcc
	s_xor_b64 s[30:31], exec, s[28:29]
	s_cbranch_execz .LBB6_4588
; %bb.4575:                             ;   in Loop: Header=BB6_4406 Depth=4
	v_and_b32_e32 v50, 0x7fffffff, v1
	v_cmp_gt_u64_e32 vcc, s[78:79], v[50:51]
	v_and_b32_sdwa v0, v1, s96 dst_sel:DWORD dst_unused:UNUSED_PAD src0_sel:BYTE_3 src1_sel:DWORD
                                        ; implicit-def: $vgpr59
	s_and_saveexec_b64 s[28:29], vcc
	s_xor_b64 s[34:35], exec, s[28:29]
	s_cbranch_execz .LBB6_4585
; %bb.4576:                             ;   in Loop: Header=BB6_4406 Depth=4
	v_mov_b32_e32 v59, 0
	v_cmp_ne_u32_e32 vcc, 0, v1
	s_and_saveexec_b64 s[36:37], vcc
	s_cbranch_execz .LBB6_4584
; %bb.4577:                             ;   in Loop: Header=BB6_4406 Depth=4
	v_and_b32_e32 v3, 0x7fffff, v1
	v_bfe_u32 v1, v1, 23, 8
	v_cmp_gt_u32_e64 s[28:29], s97, v1
	v_sub_u32_e32 v2, 0x79, v1
	v_cmp_eq_u32_e32 vcc, 0, v1
	v_cndmask_b32_e64 v2, 0, v2, s[28:29]
	v_mov_b32_e32 v5, 0x78
	v_or_b32_e32 v4, 0x800000, v3
	v_cndmask_b32_e32 v2, v2, v5, vcc
	v_cndmask_b32_e32 v50, v4, v3, vcc
	v_add_u32_e32 v3, 20, v2
	v_lshlrev_b64 v[3:4], v3, -1
	v_add_u32_e32 v5, 19, v2
	v_lshlrev_b64 v[5:6], v5, 1
	v_bfi_b32 v4, v4, 0, 0
	v_bfi_b32 v3, v3, 0, v50
	v_lshrrev_b64 v[8:9], v2, v[50:51]
	v_cmp_eq_u64_e64 s[28:29], v[3:4], v[5:6]
	v_mov_b32_e32 v4, v8
	v_mov_b32_e32 v5, v9
	s_and_saveexec_b64 s[38:39], s[28:29]
; %bb.4578:                             ;   in Loop: Header=BB6_4406 Depth=4
	v_bfe_u32 v3, v8, 20, 1
	v_add_co_u32_e64 v3, s[28:29], v8, v3
	v_add_co_u32_e64 v4, s[28:29], -1, v3
; %bb.4579:                             ;   in Loop: Header=BB6_4406 Depth=4
	s_or_b64 exec, exec, s[38:39]
	v_add_u32_e32 v1, 0xffffff81, v1
	v_mov_b32_e32 v3, 0xffffff82
	v_cndmask_b32_e32 v1, v1, v3, vcc
	v_lshrrev_b32_e32 v3, 23, v8
	v_add3_u32 v3, v2, v1, v3
	v_add_u32_e32 v2, 6, v3
	v_and_b32_e32 v1, 0xfffff, v4
	v_add_u32_e32 v50, v1, v8
	v_cmp_ne_u32_e32 vcc, 0, v2
                                        ; implicit-def: $vgpr8_vgpr9
                                        ; implicit-def: $vgpr1
	s_and_saveexec_b64 s[28:29], vcc
	s_xor_b64 s[28:29], exec, s[28:29]
; %bb.4580:                             ;   in Loop: Header=BB6_4406 Depth=4
	v_cmp_lt_u64_e32 vcc, s[88:89], v[50:51]
	v_add_u32_e32 v1, 7, v3
	v_cndmask_b32_e32 v1, v2, v1, vcc
	v_cndmask_b32_e64 v2, 0, 1, vcc
	v_lshrrev_b64 v[8:9], v2, v[50:51]
; %bb.4581:                             ;   in Loop: Header=BB6_4406 Depth=4
	s_andn2_saveexec_b64 s[28:29], s[28:29]
; %bb.4582:                             ;   in Loop: Header=BB6_4406 Depth=4
	v_mov_b32_e32 v8, v50
	v_bfe_u32 v1, v50, 23, 1
	v_mov_b32_e32 v9, v51
; %bb.4583:                             ;   in Loop: Header=BB6_4406 Depth=4
	s_or_b64 exec, exec, s[28:29]
	v_lshrrev_b64 v[2:3], 20, v[8:9]
	v_cmp_gt_i32_e32 vcc, 16, v1
	v_cndmask_b32_e32 v3, 0, v3, vcc
	v_cndmask_b32_e32 v2, 7, v2, vcc
	v_cmp_eq_u32_e32 vcc, 0, v1
	v_min_i32_e32 v1, 15, v1
	v_cmp_eq_u64_e64 s[28:29], 0, v[2:3]
	v_lshlrev_b32_e32 v1, 3, v1
	v_and_b32_e32 v1, 0xf8, v1
	v_and_or_b32 v1, v2, 7, v1
	s_and_b64 s[28:29], vcc, s[28:29]
	v_cndmask_b32_e64 v1, v1, 0, s[28:29]
	v_or_b32_e32 v59, v1, v0
.LBB6_4584:                             ;   in Loop: Header=BB6_4406 Depth=4
	s_or_b64 exec, exec, s[36:37]
                                        ; implicit-def: $vgpr0
.LBB6_4585:                             ;   in Loop: Header=BB6_4406 Depth=4
	s_andn2_saveexec_b64 s[28:29], s[34:35]
; %bb.4586:                             ;   in Loop: Header=BB6_4406 Depth=4
	v_or_b32_e32 v59, 0x7e, v0
; %bb.4587:                             ;   in Loop: Header=BB6_4406 Depth=4
	s_or_b64 exec, exec, s[28:29]
                                        ; implicit-def: $vgpr1
.LBB6_4588:                             ;   in Loop: Header=BB6_4406 Depth=4
	s_andn2_saveexec_b64 s[28:29], s[30:31]
; %bb.4589:                             ;   in Loop: Header=BB6_4406 Depth=4
	v_or_b32_sdwa v59, v1, s86 dst_sel:DWORD dst_unused:UNUSED_PAD src0_sel:BYTE_3 src1_sel:DWORD
; %bb.4590:                             ;   in Loop: Header=BB6_4406 Depth=4
	s_or_b64 exec, exec, s[28:29]
	v_cmp_ne_u16_sdwa vcc, v10, v51 src0_sel:BYTE_0 src1_sel:DWORD
	v_mov_b32_e32 v0, 0
	s_and_saveexec_b64 s[28:29], vcc
	s_cbranch_execz .LBB6_4596
; %bb.4591:                             ;   in Loop: Header=BB6_4406 Depth=4
	v_cmp_ne_u16_sdwa vcc, v10, s96 src0_sel:BYTE_0 src1_sel:DWORD
	v_bfrev_b32_e32 v0, 1
	s_and_saveexec_b64 s[30:31], vcc
	s_cbranch_execz .LBB6_4595
; %bb.4592:                             ;   in Loop: Header=BB6_4406 Depth=4
	v_and_b32_e32 v1, 0x7f, v10
	v_cmp_ne_u32_e32 vcc, s86, v1
	v_mov_b32_e32 v0, 0x7f800001
	s_and_saveexec_b64 s[34:35], vcc
	s_cbranch_execz .LBB6_4594
; %bb.4593:                             ;   in Loop: Header=BB6_4406 Depth=4
	v_and_b32_e32 v0, 7, v10
	v_ffbh_u32_e32 v0, v0
	v_min_u32_e32 v0, 32, v0
	v_lshrrev_b32_e32 v2, 3, v1
	v_cmp_gt_u32_e32 vcc, 8, v1
	v_subrev_u32_e32 v1, 28, v0
	v_sub_u32_e32 v0, 29, v0
	v_cndmask_b32_e32 v2, v2, v0, vcc
	v_cndmask_b32_e32 v0, 0, v1, vcc
	v_lshlrev_b64 v[0:1], v0, v[10:11]
	v_lshlrev_b32_e32 v1, 24, v10
	v_lshlrev_b32_e32 v0, 20, v0
	v_bfrev_b32_e32 v3, 60
	v_and_b32_e32 v0, 0x700000, v0
	v_and_b32_e32 v1, 0x80000000, v1
	v_lshl_add_u32 v2, v2, 23, v3
	v_or3_b32 v0, v1, v2, v0
.LBB6_4594:                             ;   in Loop: Header=BB6_4406 Depth=4
	s_or_b64 exec, exec, s[34:35]
.LBB6_4595:                             ;   in Loop: Header=BB6_4406 Depth=4
	s_or_b64 exec, exec, s[30:31]
.LBB6_4596:                             ;   in Loop: Header=BB6_4406 Depth=4
	s_or_b64 exec, exec, s[28:29]
	v_mul_f32_e32 v1, v14, v0
	v_and_b32_e32 v50, 0x7f800000, v1
	v_cmp_ne_u64_e32 vcc, s[76:77], v[50:51]
                                        ; implicit-def: $vgpr3
	s_and_saveexec_b64 s[28:29], vcc
	s_xor_b64 s[30:31], exec, s[28:29]
	s_cbranch_execz .LBB6_4610
; %bb.4597:                             ;   in Loop: Header=BB6_4406 Depth=4
	v_and_b32_e32 v50, 0x7fffffff, v1
	v_cmp_gt_u64_e32 vcc, s[78:79], v[50:51]
	v_and_b32_sdwa v0, v1, s96 dst_sel:DWORD dst_unused:UNUSED_PAD src0_sel:BYTE_3 src1_sel:DWORD
                                        ; implicit-def: $vgpr3
	s_and_saveexec_b64 s[28:29], vcc
	s_xor_b64 s[34:35], exec, s[28:29]
	s_cbranch_execz .LBB6_4607
; %bb.4598:                             ;   in Loop: Header=BB6_4406 Depth=4
	v_mov_b32_e32 v3, 0
	v_cmp_ne_u32_e32 vcc, 0, v1
	s_and_saveexec_b64 s[36:37], vcc
	s_cbranch_execz .LBB6_4606
; %bb.4599:                             ;   in Loop: Header=BB6_4406 Depth=4
	v_and_b32_e32 v3, 0x7fffff, v1
	v_bfe_u32 v1, v1, 23, 8
	v_cmp_gt_u32_e64 s[28:29], s97, v1
	v_sub_u32_e32 v2, 0x79, v1
	v_cmp_eq_u32_e32 vcc, 0, v1
	v_cndmask_b32_e64 v2, 0, v2, s[28:29]
	v_mov_b32_e32 v5, 0x78
	v_or_b32_e32 v4, 0x800000, v3
	v_cndmask_b32_e32 v2, v2, v5, vcc
	v_cndmask_b32_e32 v50, v4, v3, vcc
	v_add_u32_e32 v3, 20, v2
	v_lshlrev_b64 v[3:4], v3, -1
	v_add_u32_e32 v5, 19, v2
	v_lshlrev_b64 v[5:6], v5, 1
	v_bfi_b32 v4, v4, 0, 0
	v_bfi_b32 v3, v3, 0, v50
	v_lshrrev_b64 v[8:9], v2, v[50:51]
	v_cmp_eq_u64_e64 s[28:29], v[3:4], v[5:6]
	v_mov_b32_e32 v4, v8
	v_mov_b32_e32 v5, v9
	s_and_saveexec_b64 s[38:39], s[28:29]
; %bb.4600:                             ;   in Loop: Header=BB6_4406 Depth=4
	v_bfe_u32 v3, v8, 20, 1
	v_add_co_u32_e64 v3, s[28:29], v8, v3
	v_add_co_u32_e64 v4, s[28:29], -1, v3
; %bb.4601:                             ;   in Loop: Header=BB6_4406 Depth=4
	s_or_b64 exec, exec, s[38:39]
	v_add_u32_e32 v1, 0xffffff81, v1
	v_mov_b32_e32 v3, 0xffffff82
	v_cndmask_b32_e32 v1, v1, v3, vcc
	v_lshrrev_b32_e32 v3, 23, v8
	v_add3_u32 v3, v2, v1, v3
	v_add_u32_e32 v2, 6, v3
	v_and_b32_e32 v1, 0xfffff, v4
	v_add_u32_e32 v50, v1, v8
	v_cmp_ne_u32_e32 vcc, 0, v2
                                        ; implicit-def: $vgpr8_vgpr9
                                        ; implicit-def: $vgpr1
	s_and_saveexec_b64 s[28:29], vcc
	s_xor_b64 s[28:29], exec, s[28:29]
; %bb.4602:                             ;   in Loop: Header=BB6_4406 Depth=4
	v_cmp_lt_u64_e32 vcc, s[88:89], v[50:51]
	v_add_u32_e32 v1, 7, v3
	v_cndmask_b32_e32 v1, v2, v1, vcc
	v_cndmask_b32_e64 v2, 0, 1, vcc
	v_lshrrev_b64 v[8:9], v2, v[50:51]
; %bb.4603:                             ;   in Loop: Header=BB6_4406 Depth=4
	s_andn2_saveexec_b64 s[28:29], s[28:29]
; %bb.4604:                             ;   in Loop: Header=BB6_4406 Depth=4
	v_mov_b32_e32 v8, v50
	v_bfe_u32 v1, v50, 23, 1
	v_mov_b32_e32 v9, v51
; %bb.4605:                             ;   in Loop: Header=BB6_4406 Depth=4
	s_or_b64 exec, exec, s[28:29]
	v_lshrrev_b64 v[2:3], 20, v[8:9]
	v_cmp_gt_i32_e32 vcc, 16, v1
	v_cndmask_b32_e32 v3, 0, v3, vcc
	v_cndmask_b32_e32 v2, 7, v2, vcc
	v_cmp_eq_u32_e32 vcc, 0, v1
	v_min_i32_e32 v1, 15, v1
	v_cmp_eq_u64_e64 s[28:29], 0, v[2:3]
	v_lshlrev_b32_e32 v1, 3, v1
	v_and_b32_e32 v1, 0xf8, v1
	v_and_or_b32 v1, v2, 7, v1
	s_and_b64 s[28:29], vcc, s[28:29]
	v_cndmask_b32_e64 v1, v1, 0, s[28:29]
	v_or_b32_e32 v3, v1, v0
.LBB6_4606:                             ;   in Loop: Header=BB6_4406 Depth=4
	s_or_b64 exec, exec, s[36:37]
                                        ; implicit-def: $vgpr0
.LBB6_4607:                             ;   in Loop: Header=BB6_4406 Depth=4
	s_andn2_saveexec_b64 s[28:29], s[34:35]
; %bb.4608:                             ;   in Loop: Header=BB6_4406 Depth=4
	v_or_b32_e32 v3, 0x7e, v0
; %bb.4609:                             ;   in Loop: Header=BB6_4406 Depth=4
	s_or_b64 exec, exec, s[28:29]
                                        ; implicit-def: $vgpr1
.LBB6_4610:                             ;   in Loop: Header=BB6_4406 Depth=4
	s_andn2_saveexec_b64 s[28:29], s[30:31]
; %bb.4611:                             ;   in Loop: Header=BB6_4406 Depth=4
	v_or_b32_sdwa v3, v1, s86 dst_sel:DWORD dst_unused:UNUSED_PAD src0_sel:BYTE_3 src1_sel:DWORD
; %bb.4612:                             ;   in Loop: Header=BB6_4406 Depth=4
	s_or_b64 exec, exec, s[28:29]
	v_lshrrev_b16_e32 v8, 8, v10
	v_cmp_ne_u16_e32 vcc, 0, v8
	v_mov_b32_e32 v0, 0
	s_and_saveexec_b64 s[28:29], vcc
	s_cbranch_execz .LBB6_4618
; %bb.4613:                             ;   in Loop: Header=BB6_4406 Depth=4
	v_cmp_ne_u16_e32 vcc, s96, v8
	v_bfrev_b32_e32 v0, 1
	s_and_saveexec_b64 s[30:31], vcc
	s_cbranch_execz .LBB6_4617
; %bb.4614:                             ;   in Loop: Header=BB6_4406 Depth=4
	v_and_b32_e32 v1, 0x7f, v8
	v_cmp_ne_u32_e32 vcc, s86, v1
	v_mov_b32_e32 v0, 0x7f800001
	s_and_saveexec_b64 s[34:35], vcc
	s_cbranch_execz .LBB6_4616
; %bb.4615:                             ;   in Loop: Header=BB6_4406 Depth=4
	v_and_b32_e32 v2, 7, v8
	v_ffbh_u32_e32 v0, v2
	v_min_u32_e32 v5, 32, v0
	v_subrev_u32_e32 v0, 28, v5
	v_lshrrev_b32_e32 v4, 3, v1
	v_cmp_gt_u32_e32 vcc, 8, v1
	v_lshlrev_b64 v[0:1], v0, v[8:9]
	v_sub_u32_e32 v1, 29, v5
	v_and_b32_e32 v0, 7, v0
	v_cndmask_b32_e32 v1, v4, v1, vcc
	v_cndmask_b32_e32 v0, v2, v0, vcc
	v_lshlrev_b32_e32 v2, 16, v10
	v_bfrev_b32_e32 v4, 60
	v_lshlrev_b32_e32 v0, 20, v0
	v_and_b32_e32 v2, 0x80000000, v2
	v_lshl_add_u32 v1, v1, 23, v4
	v_or3_b32 v0, v2, v1, v0
.LBB6_4616:                             ;   in Loop: Header=BB6_4406 Depth=4
	s_or_b64 exec, exec, s[34:35]
.LBB6_4617:                             ;   in Loop: Header=BB6_4406 Depth=4
	s_or_b64 exec, exec, s[30:31]
.LBB6_4618:                             ;   in Loop: Header=BB6_4406 Depth=4
	s_or_b64 exec, exec, s[28:29]
	v_mul_f32_e32 v1, v14, v0
	v_and_b32_e32 v50, 0x7f800000, v1
	v_cmp_ne_u64_e32 vcc, s[76:77], v[50:51]
                                        ; implicit-def: $vgpr33
	s_and_saveexec_b64 s[28:29], vcc
	s_xor_b64 s[30:31], exec, s[28:29]
	s_cbranch_execz .LBB6_4632
; %bb.4619:                             ;   in Loop: Header=BB6_4406 Depth=4
	v_and_b32_e32 v50, 0x7fffffff, v1
	v_cmp_gt_u64_e32 vcc, s[78:79], v[50:51]
	v_and_b32_sdwa v0, v1, s96 dst_sel:DWORD dst_unused:UNUSED_PAD src0_sel:BYTE_3 src1_sel:DWORD
                                        ; implicit-def: $vgpr33
	s_and_saveexec_b64 s[28:29], vcc
	s_xor_b64 s[34:35], exec, s[28:29]
	s_cbranch_execz .LBB6_4629
; %bb.4620:                             ;   in Loop: Header=BB6_4406 Depth=4
	v_mov_b32_e32 v33, 0
	v_cmp_ne_u32_e32 vcc, 0, v1
	s_and_saveexec_b64 s[36:37], vcc
	s_cbranch_execz .LBB6_4628
; %bb.4621:                             ;   in Loop: Header=BB6_4406 Depth=4
	v_and_b32_e32 v4, 0x7fffff, v1
	v_bfe_u32 v1, v1, 23, 8
	v_cmp_gt_u32_e64 s[28:29], s97, v1
	v_sub_u32_e32 v2, 0x79, v1
	v_cmp_eq_u32_e32 vcc, 0, v1
	v_cndmask_b32_e64 v2, 0, v2, s[28:29]
	v_mov_b32_e32 v6, 0x78
	v_or_b32_e32 v5, 0x800000, v4
	v_cndmask_b32_e32 v2, v2, v6, vcc
	v_cndmask_b32_e32 v50, v5, v4, vcc
	v_add_u32_e32 v4, 20, v2
	v_lshlrev_b64 v[4:5], v4, -1
	v_add_u32_e32 v6, 19, v2
	v_lshlrev_b64 v[8:9], v6, 1
	v_bfi_b32 v5, v5, 0, 0
	v_bfi_b32 v4, v4, 0, v50
	v_cmp_eq_u64_e64 s[28:29], v[4:5], v[8:9]
	v_lshrrev_b64 v[8:9], v2, v[50:51]
	v_mov_b32_e32 v4, v8
	v_mov_b32_e32 v5, v9
	s_and_saveexec_b64 s[38:39], s[28:29]
; %bb.4622:                             ;   in Loop: Header=BB6_4406 Depth=4
	v_bfe_u32 v4, v8, 20, 1
	v_add_co_u32_e64 v4, s[28:29], v8, v4
	v_add_co_u32_e64 v4, s[28:29], -1, v4
; %bb.4623:                             ;   in Loop: Header=BB6_4406 Depth=4
	s_or_b64 exec, exec, s[38:39]
	v_add_u32_e32 v1, 0xffffff81, v1
	v_mov_b32_e32 v5, 0xffffff82
	v_cndmask_b32_e32 v1, v1, v5, vcc
	v_lshrrev_b32_e32 v5, 23, v8
	v_add3_u32 v5, v2, v1, v5
	v_add_u32_e32 v2, 6, v5
	v_and_b32_e32 v1, 0xfffff, v4
	v_add_u32_e32 v50, v1, v8
	v_cmp_ne_u32_e32 vcc, 0, v2
                                        ; implicit-def: $vgpr8_vgpr9
                                        ; implicit-def: $vgpr1
	s_and_saveexec_b64 s[28:29], vcc
	s_xor_b64 s[28:29], exec, s[28:29]
; %bb.4624:                             ;   in Loop: Header=BB6_4406 Depth=4
	v_cmp_lt_u64_e32 vcc, s[88:89], v[50:51]
	v_add_u32_e32 v1, 7, v5
	v_cndmask_b32_e32 v1, v2, v1, vcc
	v_cndmask_b32_e64 v2, 0, 1, vcc
	v_lshrrev_b64 v[8:9], v2, v[50:51]
; %bb.4625:                             ;   in Loop: Header=BB6_4406 Depth=4
	s_andn2_saveexec_b64 s[28:29], s[28:29]
; %bb.4626:                             ;   in Loop: Header=BB6_4406 Depth=4
	v_mov_b32_e32 v8, v50
	v_bfe_u32 v1, v50, 23, 1
	v_mov_b32_e32 v9, v51
; %bb.4627:                             ;   in Loop: Header=BB6_4406 Depth=4
	s_or_b64 exec, exec, s[28:29]
	v_lshrrev_b64 v[4:5], 20, v[8:9]
	v_cmp_gt_i32_e32 vcc, 16, v1
	v_cndmask_b32_e32 v5, 0, v5, vcc
	v_cndmask_b32_e32 v4, 7, v4, vcc
	v_cmp_eq_u32_e32 vcc, 0, v1
	v_min_i32_e32 v1, 15, v1
	v_cmp_eq_u64_e64 s[28:29], 0, v[4:5]
	v_lshlrev_b32_e32 v1, 3, v1
	v_and_b32_e32 v1, 0xf8, v1
	v_and_or_b32 v1, v4, 7, v1
	s_and_b64 s[28:29], vcc, s[28:29]
	v_cndmask_b32_e64 v1, v1, 0, s[28:29]
	v_or_b32_e32 v33, v1, v0
.LBB6_4628:                             ;   in Loop: Header=BB6_4406 Depth=4
	s_or_b64 exec, exec, s[36:37]
                                        ; implicit-def: $vgpr0
.LBB6_4629:                             ;   in Loop: Header=BB6_4406 Depth=4
	s_andn2_saveexec_b64 s[28:29], s[34:35]
; %bb.4630:                             ;   in Loop: Header=BB6_4406 Depth=4
	v_or_b32_e32 v33, 0x7e, v0
; %bb.4631:                             ;   in Loop: Header=BB6_4406 Depth=4
	s_or_b64 exec, exec, s[28:29]
                                        ; implicit-def: $vgpr1
.LBB6_4632:                             ;   in Loop: Header=BB6_4406 Depth=4
	s_andn2_saveexec_b64 s[28:29], s[30:31]
; %bb.4633:                             ;   in Loop: Header=BB6_4406 Depth=4
	v_or_b32_sdwa v33, v1, s86 dst_sel:DWORD dst_unused:UNUSED_PAD src0_sel:BYTE_3 src1_sel:DWORD
; %bb.4634:                             ;   in Loop: Header=BB6_4406 Depth=4
	s_or_b64 exec, exec, s[28:29]
	v_lshrrev_b32_e32 v8, 16, v10
	v_cmp_ne_u16_sdwa vcc, v8, v51 src0_sel:BYTE_0 src1_sel:DWORD
	v_mov_b32_e32 v0, 0
	s_and_saveexec_b64 s[28:29], vcc
	s_cbranch_execz .LBB6_4640
; %bb.4635:                             ;   in Loop: Header=BB6_4406 Depth=4
	v_cmp_ne_u16_sdwa vcc, v8, s96 src0_sel:BYTE_0 src1_sel:DWORD
	v_bfrev_b32_e32 v0, 1
	s_and_saveexec_b64 s[30:31], vcc
	s_cbranch_execz .LBB6_4639
; %bb.4636:                             ;   in Loop: Header=BB6_4406 Depth=4
	v_bfe_u32 v1, v10, 16, 7
	v_cmp_ne_u32_e32 vcc, s86, v1
	v_mov_b32_e32 v0, 0x7f800001
	s_and_saveexec_b64 s[34:35], vcc
	s_cbranch_execz .LBB6_4638
; %bb.4637:                             ;   in Loop: Header=BB6_4406 Depth=4
	v_and_b32_e32 v2, 7, v8
	v_ffbh_u32_e32 v0, v2
	v_min_u32_e32 v5, 32, v0
	v_subrev_u32_e32 v0, 28, v5
	v_lshrrev_b32_e32 v4, 3, v1
	v_cmp_gt_u32_e32 vcc, 8, v1
	v_lshlrev_b64 v[0:1], v0, v[8:9]
	v_sub_u32_e32 v1, 29, v5
	v_and_b32_e32 v0, 7, v0
	v_cndmask_b32_e32 v1, v4, v1, vcc
	v_cndmask_b32_e32 v0, v2, v0, vcc
	v_lshlrev_b32_e32 v2, 24, v8
	v_bfrev_b32_e32 v4, 60
	v_lshlrev_b32_e32 v0, 20, v0
	v_and_b32_e32 v2, 0x80000000, v2
	v_lshl_add_u32 v1, v1, 23, v4
	v_or3_b32 v0, v2, v1, v0
.LBB6_4638:                             ;   in Loop: Header=BB6_4406 Depth=4
	s_or_b64 exec, exec, s[34:35]
.LBB6_4639:                             ;   in Loop: Header=BB6_4406 Depth=4
	s_or_b64 exec, exec, s[30:31]
.LBB6_4640:                             ;   in Loop: Header=BB6_4406 Depth=4
	s_or_b64 exec, exec, s[28:29]
	v_mul_f32_e32 v1, v14, v0
	v_and_b32_e32 v50, 0x7f800000, v1
	v_cmp_ne_u64_e32 vcc, s[76:77], v[50:51]
                                        ; implicit-def: $vgpr54
	s_and_saveexec_b64 s[28:29], vcc
	s_xor_b64 s[30:31], exec, s[28:29]
	s_cbranch_execz .LBB6_4654
; %bb.4641:                             ;   in Loop: Header=BB6_4406 Depth=4
	v_and_b32_e32 v50, 0x7fffffff, v1
	v_cmp_gt_u64_e32 vcc, s[78:79], v[50:51]
	v_and_b32_sdwa v0, v1, s96 dst_sel:DWORD dst_unused:UNUSED_PAD src0_sel:BYTE_3 src1_sel:DWORD
                                        ; implicit-def: $vgpr54
	s_and_saveexec_b64 s[28:29], vcc
	s_xor_b64 s[34:35], exec, s[28:29]
	s_cbranch_execz .LBB6_4651
; %bb.4642:                             ;   in Loop: Header=BB6_4406 Depth=4
	v_mov_b32_e32 v54, 0
	v_cmp_ne_u32_e32 vcc, 0, v1
	s_and_saveexec_b64 s[36:37], vcc
	s_cbranch_execz .LBB6_4650
; %bb.4643:                             ;   in Loop: Header=BB6_4406 Depth=4
	v_and_b32_e32 v4, 0x7fffff, v1
	v_bfe_u32 v1, v1, 23, 8
	v_cmp_gt_u32_e64 s[28:29], s97, v1
	v_sub_u32_e32 v2, 0x79, v1
	v_cmp_eq_u32_e32 vcc, 0, v1
	v_cndmask_b32_e64 v2, 0, v2, s[28:29]
	v_mov_b32_e32 v6, 0x78
	v_or_b32_e32 v5, 0x800000, v4
	v_cndmask_b32_e32 v2, v2, v6, vcc
	v_cndmask_b32_e32 v50, v5, v4, vcc
	v_add_u32_e32 v4, 20, v2
	v_lshlrev_b64 v[4:5], v4, -1
	v_add_u32_e32 v6, 19, v2
	v_lshlrev_b64 v[8:9], v6, 1
	v_bfi_b32 v5, v5, 0, 0
	v_bfi_b32 v4, v4, 0, v50
	v_cmp_eq_u64_e64 s[28:29], v[4:5], v[8:9]
	v_lshrrev_b64 v[8:9], v2, v[50:51]
	v_mov_b32_e32 v4, v8
	v_mov_b32_e32 v5, v9
	s_and_saveexec_b64 s[38:39], s[28:29]
; %bb.4644:                             ;   in Loop: Header=BB6_4406 Depth=4
	v_bfe_u32 v4, v8, 20, 1
	v_add_co_u32_e64 v4, s[28:29], v8, v4
	v_add_co_u32_e64 v4, s[28:29], -1, v4
; %bb.4645:                             ;   in Loop: Header=BB6_4406 Depth=4
	s_or_b64 exec, exec, s[38:39]
	v_add_u32_e32 v1, 0xffffff81, v1
	v_mov_b32_e32 v5, 0xffffff82
	v_cndmask_b32_e32 v1, v1, v5, vcc
	v_lshrrev_b32_e32 v5, 23, v8
	v_add3_u32 v5, v2, v1, v5
	v_add_u32_e32 v2, 6, v5
	v_and_b32_e32 v1, 0xfffff, v4
	v_add_u32_e32 v50, v1, v8
	v_cmp_ne_u32_e32 vcc, 0, v2
                                        ; implicit-def: $vgpr8_vgpr9
                                        ; implicit-def: $vgpr1
	s_and_saveexec_b64 s[28:29], vcc
	s_xor_b64 s[28:29], exec, s[28:29]
; %bb.4646:                             ;   in Loop: Header=BB6_4406 Depth=4
	v_cmp_lt_u64_e32 vcc, s[88:89], v[50:51]
	v_add_u32_e32 v1, 7, v5
	v_cndmask_b32_e32 v1, v2, v1, vcc
	v_cndmask_b32_e64 v2, 0, 1, vcc
	v_lshrrev_b64 v[8:9], v2, v[50:51]
; %bb.4647:                             ;   in Loop: Header=BB6_4406 Depth=4
	s_andn2_saveexec_b64 s[28:29], s[28:29]
; %bb.4648:                             ;   in Loop: Header=BB6_4406 Depth=4
	v_mov_b32_e32 v8, v50
	v_bfe_u32 v1, v50, 23, 1
	v_mov_b32_e32 v9, v51
; %bb.4649:                             ;   in Loop: Header=BB6_4406 Depth=4
	s_or_b64 exec, exec, s[28:29]
	v_lshrrev_b64 v[4:5], 20, v[8:9]
	v_cmp_gt_i32_e32 vcc, 16, v1
	v_cndmask_b32_e32 v5, 0, v5, vcc
	v_cndmask_b32_e32 v4, 7, v4, vcc
	v_cmp_eq_u32_e32 vcc, 0, v1
	v_min_i32_e32 v1, 15, v1
	v_cmp_eq_u64_e64 s[28:29], 0, v[4:5]
	v_lshlrev_b32_e32 v1, 3, v1
	v_and_b32_e32 v1, 0xf8, v1
	v_and_or_b32 v1, v4, 7, v1
	s_and_b64 s[28:29], vcc, s[28:29]
	v_cndmask_b32_e64 v1, v1, 0, s[28:29]
	v_or_b32_e32 v54, v1, v0
.LBB6_4650:                             ;   in Loop: Header=BB6_4406 Depth=4
	s_or_b64 exec, exec, s[36:37]
                                        ; implicit-def: $vgpr0
.LBB6_4651:                             ;   in Loop: Header=BB6_4406 Depth=4
	s_andn2_saveexec_b64 s[28:29], s[34:35]
; %bb.4652:                             ;   in Loop: Header=BB6_4406 Depth=4
	v_or_b32_e32 v54, 0x7e, v0
; %bb.4653:                             ;   in Loop: Header=BB6_4406 Depth=4
	s_or_b64 exec, exec, s[28:29]
                                        ; implicit-def: $vgpr1
.LBB6_4654:                             ;   in Loop: Header=BB6_4406 Depth=4
	s_andn2_saveexec_b64 s[28:29], s[30:31]
; %bb.4655:                             ;   in Loop: Header=BB6_4406 Depth=4
	v_or_b32_sdwa v54, v1, s86 dst_sel:DWORD dst_unused:UNUSED_PAD src0_sel:BYTE_3 src1_sel:DWORD
; %bb.4656:                             ;   in Loop: Header=BB6_4406 Depth=4
	s_or_b64 exec, exec, s[28:29]
	v_cmp_lt_u32_e32 vcc, s57, v10
	v_mov_b32_e32 v0, 0
	s_and_saveexec_b64 s[28:29], vcc
	s_cbranch_execz .LBB6_4662
; %bb.4657:                             ;   in Loop: Header=BB6_4406 Depth=4
	v_lshrrev_b32_e32 v8, 24, v10
	v_cmp_ne_u32_e32 vcc, s96, v8
	v_bfrev_b32_e32 v0, 1
	s_and_saveexec_b64 s[30:31], vcc
	s_cbranch_execz .LBB6_4661
; %bb.4658:                             ;   in Loop: Header=BB6_4406 Depth=4
	v_bfe_u32 v1, v10, 24, 7
	v_cmp_ne_u32_e32 vcc, s86, v1
	v_mov_b32_e32 v0, 0x7f800001
	s_and_saveexec_b64 s[34:35], vcc
	s_cbranch_execz .LBB6_4660
; %bb.4659:                             ;   in Loop: Header=BB6_4406 Depth=4
	v_and_b32_e32 v2, 7, v8
	v_ffbh_u32_e32 v0, v2
	v_min_u32_e32 v5, 32, v0
	v_subrev_u32_e32 v0, 28, v5
	v_lshrrev_b32_e32 v4, 3, v1
	v_cmp_gt_u32_e32 vcc, 8, v1
	v_lshlrev_b64 v[0:1], v0, v[8:9]
	v_sub_u32_e32 v1, 29, v5
	v_and_b32_e32 v0, 7, v0
	v_cndmask_b32_e32 v1, v4, v1, vcc
	v_cndmask_b32_e32 v0, v2, v0, vcc
	v_lshlrev_b32_e32 v2, 24, v8
	v_bfrev_b32_e32 v4, 60
	v_lshlrev_b32_e32 v0, 20, v0
	v_and_b32_e32 v2, 0x80000000, v2
	v_lshl_add_u32 v1, v1, 23, v4
	v_or3_b32 v0, v2, v1, v0
.LBB6_4660:                             ;   in Loop: Header=BB6_4406 Depth=4
	s_or_b64 exec, exec, s[34:35]
.LBB6_4661:                             ;   in Loop: Header=BB6_4406 Depth=4
	s_or_b64 exec, exec, s[30:31]
.LBB6_4662:                             ;   in Loop: Header=BB6_4406 Depth=4
	s_or_b64 exec, exec, s[28:29]
	v_mul_f32_e32 v1, v14, v0
	v_and_b32_e32 v50, 0x7f800000, v1
	v_cmp_ne_u64_e32 vcc, s[76:77], v[50:51]
                                        ; implicit-def: $vgpr43
	s_and_saveexec_b64 s[28:29], vcc
	s_xor_b64 s[30:31], exec, s[28:29]
	s_cbranch_execz .LBB6_4676
; %bb.4663:                             ;   in Loop: Header=BB6_4406 Depth=4
	v_and_b32_e32 v50, 0x7fffffff, v1
	v_cmp_gt_u64_e32 vcc, s[78:79], v[50:51]
	v_and_b32_sdwa v0, v1, s96 dst_sel:DWORD dst_unused:UNUSED_PAD src0_sel:BYTE_3 src1_sel:DWORD
                                        ; implicit-def: $vgpr43
	s_and_saveexec_b64 s[28:29], vcc
	s_xor_b64 s[34:35], exec, s[28:29]
	s_cbranch_execz .LBB6_4673
; %bb.4664:                             ;   in Loop: Header=BB6_4406 Depth=4
	v_mov_b32_e32 v43, 0
	v_cmp_ne_u32_e32 vcc, 0, v1
	s_and_saveexec_b64 s[36:37], vcc
	s_cbranch_execz .LBB6_4672
; %bb.4665:                             ;   in Loop: Header=BB6_4406 Depth=4
	v_and_b32_e32 v4, 0x7fffff, v1
	v_bfe_u32 v1, v1, 23, 8
	v_cmp_gt_u32_e64 s[28:29], s97, v1
	v_sub_u32_e32 v2, 0x79, v1
	v_cmp_eq_u32_e32 vcc, 0, v1
	v_cndmask_b32_e64 v2, 0, v2, s[28:29]
	v_mov_b32_e32 v6, 0x78
	v_or_b32_e32 v5, 0x800000, v4
	v_cndmask_b32_e32 v2, v2, v6, vcc
	v_cndmask_b32_e32 v50, v5, v4, vcc
	v_add_u32_e32 v4, 20, v2
	v_lshlrev_b64 v[4:5], v4, -1
	v_add_u32_e32 v6, 19, v2
	v_lshlrev_b64 v[8:9], v6, 1
	v_bfi_b32 v5, v5, 0, 0
	v_bfi_b32 v4, v4, 0, v50
	v_cmp_eq_u64_e64 s[28:29], v[4:5], v[8:9]
	v_lshrrev_b64 v[8:9], v2, v[50:51]
	v_mov_b32_e32 v4, v8
	v_mov_b32_e32 v5, v9
	s_and_saveexec_b64 s[38:39], s[28:29]
; %bb.4666:                             ;   in Loop: Header=BB6_4406 Depth=4
	v_bfe_u32 v4, v8, 20, 1
	v_add_co_u32_e64 v4, s[28:29], v8, v4
	v_add_co_u32_e64 v4, s[28:29], -1, v4
; %bb.4667:                             ;   in Loop: Header=BB6_4406 Depth=4
	s_or_b64 exec, exec, s[38:39]
	v_add_u32_e32 v1, 0xffffff81, v1
	v_mov_b32_e32 v5, 0xffffff82
	v_cndmask_b32_e32 v1, v1, v5, vcc
	v_lshrrev_b32_e32 v5, 23, v8
	v_add3_u32 v5, v2, v1, v5
	v_add_u32_e32 v2, 6, v5
	v_and_b32_e32 v1, 0xfffff, v4
	v_add_u32_e32 v50, v1, v8
	v_cmp_ne_u32_e32 vcc, 0, v2
                                        ; implicit-def: $vgpr8_vgpr9
                                        ; implicit-def: $vgpr1
	s_and_saveexec_b64 s[28:29], vcc
	s_xor_b64 s[28:29], exec, s[28:29]
; %bb.4668:                             ;   in Loop: Header=BB6_4406 Depth=4
	v_cmp_lt_u64_e32 vcc, s[88:89], v[50:51]
	v_add_u32_e32 v1, 7, v5
	v_cndmask_b32_e32 v1, v2, v1, vcc
	v_cndmask_b32_e64 v2, 0, 1, vcc
	v_lshrrev_b64 v[8:9], v2, v[50:51]
; %bb.4669:                             ;   in Loop: Header=BB6_4406 Depth=4
	s_andn2_saveexec_b64 s[28:29], s[28:29]
; %bb.4670:                             ;   in Loop: Header=BB6_4406 Depth=4
	v_mov_b32_e32 v8, v50
	v_bfe_u32 v1, v50, 23, 1
	v_mov_b32_e32 v9, v51
; %bb.4671:                             ;   in Loop: Header=BB6_4406 Depth=4
	s_or_b64 exec, exec, s[28:29]
	v_lshrrev_b64 v[4:5], 20, v[8:9]
	v_cmp_gt_i32_e32 vcc, 16, v1
	v_cndmask_b32_e32 v5, 0, v5, vcc
	v_cndmask_b32_e32 v4, 7, v4, vcc
	v_cmp_eq_u32_e32 vcc, 0, v1
	v_min_i32_e32 v1, 15, v1
	v_cmp_eq_u64_e64 s[28:29], 0, v[4:5]
	v_lshlrev_b32_e32 v1, 3, v1
	v_and_b32_e32 v1, 0xf8, v1
	v_and_or_b32 v1, v4, 7, v1
	s_and_b64 s[28:29], vcc, s[28:29]
	v_cndmask_b32_e64 v1, v1, 0, s[28:29]
	v_or_b32_e32 v43, v1, v0
.LBB6_4672:                             ;   in Loop: Header=BB6_4406 Depth=4
	s_or_b64 exec, exec, s[36:37]
                                        ; implicit-def: $vgpr0
.LBB6_4673:                             ;   in Loop: Header=BB6_4406 Depth=4
	s_andn2_saveexec_b64 s[28:29], s[34:35]
; %bb.4674:                             ;   in Loop: Header=BB6_4406 Depth=4
	v_or_b32_e32 v43, 0x7e, v0
; %bb.4675:                             ;   in Loop: Header=BB6_4406 Depth=4
	s_or_b64 exec, exec, s[28:29]
                                        ; implicit-def: $vgpr1
.LBB6_4676:                             ;   in Loop: Header=BB6_4406 Depth=4
	s_andn2_saveexec_b64 s[28:29], s[30:31]
; %bb.4677:                             ;   in Loop: Header=BB6_4406 Depth=4
	v_or_b32_sdwa v43, v1, s86 dst_sel:DWORD dst_unused:UNUSED_PAD src0_sel:BYTE_3 src1_sel:DWORD
; %bb.4678:                             ;   in Loop: Header=BB6_4406 Depth=4
	s_or_b64 exec, exec, s[28:29]
	v_mov_b32_e32 v50, v11
	v_cmp_ne_u16_sdwa vcc, v11, v51 src0_sel:BYTE_0 src1_sel:DWORD
	v_mov_b32_e32 v0, 0
	s_and_saveexec_b64 s[28:29], vcc
	s_cbranch_execz .LBB6_4684
; %bb.4679:                             ;   in Loop: Header=BB6_4406 Depth=4
	v_cmp_ne_u16_sdwa vcc, v11, s96 src0_sel:BYTE_0 src1_sel:DWORD
	v_bfrev_b32_e32 v0, 1
	s_and_saveexec_b64 s[30:31], vcc
	s_cbranch_execz .LBB6_4683
; %bb.4680:                             ;   in Loop: Header=BB6_4406 Depth=4
	v_and_b32_e32 v1, 0x7f, v11
	v_cmp_ne_u32_e32 vcc, s86, v1
	v_mov_b32_e32 v0, 0x7f800001
	s_and_saveexec_b64 s[34:35], vcc
	s_cbranch_execz .LBB6_4682
; %bb.4681:                             ;   in Loop: Header=BB6_4406 Depth=4
	v_and_b32_e32 v0, 7, v11
	v_ffbh_u32_e32 v0, v0
	v_min_u32_e32 v0, 32, v0
	v_lshrrev_b32_e32 v2, 3, v1
	v_cmp_gt_u32_e32 vcc, 8, v1
	v_subrev_u32_e32 v1, 28, v0
	v_sub_u32_e32 v0, 29, v0
	v_cndmask_b32_e32 v2, v2, v0, vcc
	v_cndmask_b32_e32 v0, 0, v1, vcc
	v_lshlrev_b64 v[0:1], v0, v[50:51]
	v_lshlrev_b32_e32 v1, 24, v50
	v_lshlrev_b32_e32 v0, 20, v0
	v_bfrev_b32_e32 v4, 60
	v_and_b32_e32 v0, 0x700000, v0
	v_and_b32_e32 v1, 0x80000000, v1
	v_lshl_add_u32 v2, v2, 23, v4
	v_or3_b32 v0, v1, v2, v0
.LBB6_4682:                             ;   in Loop: Header=BB6_4406 Depth=4
	s_or_b64 exec, exec, s[34:35]
.LBB6_4683:                             ;   in Loop: Header=BB6_4406 Depth=4
	s_or_b64 exec, exec, s[30:31]
.LBB6_4684:                             ;   in Loop: Header=BB6_4406 Depth=4
	s_or_b64 exec, exec, s[28:29]
	v_mul_f32_e32 v1, v14, v0
	v_and_b32_e32 v4, 0x7f800000, v1
	v_mov_b32_e32 v5, v51
	v_cmp_ne_u64_e32 vcc, s[76:77], v[4:5]
                                        ; implicit-def: $vgpr30
	s_and_saveexec_b64 s[28:29], vcc
	s_xor_b64 s[30:31], exec, s[28:29]
	s_cbranch_execz .LBB6_4698
; %bb.4685:                             ;   in Loop: Header=BB6_4406 Depth=4
	v_and_b32_e32 v4, 0x7fffffff, v1
	v_mov_b32_e32 v5, v51
	v_cmp_gt_u64_e32 vcc, s[78:79], v[4:5]
	v_and_b32_sdwa v0, v1, s96 dst_sel:DWORD dst_unused:UNUSED_PAD src0_sel:BYTE_3 src1_sel:DWORD
                                        ; implicit-def: $vgpr30
	s_and_saveexec_b64 s[28:29], vcc
	s_xor_b64 s[34:35], exec, s[28:29]
	s_cbranch_execz .LBB6_4695
; %bb.4686:                             ;   in Loop: Header=BB6_4406 Depth=4
	v_mov_b32_e32 v30, 0
	v_cmp_ne_u32_e32 vcc, 0, v1
	s_and_saveexec_b64 s[36:37], vcc
	s_cbranch_execz .LBB6_4694
; %bb.4687:                             ;   in Loop: Header=BB6_4406 Depth=4
	v_and_b32_e32 v4, 0x7fffff, v1
	v_bfe_u32 v1, v1, 23, 8
	v_cmp_gt_u32_e64 s[28:29], s97, v1
	v_sub_u32_e32 v2, 0x79, v1
	v_cmp_eq_u32_e32 vcc, 0, v1
	v_cndmask_b32_e64 v2, 0, v2, s[28:29]
	v_mov_b32_e32 v6, 0x78
	v_cndmask_b32_e32 v2, v2, v6, vcc
	v_add_u32_e32 v6, 20, v2
	v_or_b32_e32 v5, 0x800000, v4
	v_lshlrev_b64 v[8:9], v6, -1
	v_add_u32_e32 v6, 19, v2
	v_cndmask_b32_e32 v4, v5, v4, vcc
	v_lshlrev_b64 v[12:13], v6, 1
	v_mov_b32_e32 v5, v51
	v_bfi_b32 v9, v9, 0, 0
	v_bfi_b32 v8, v8, 0, v4
	v_cmp_eq_u64_e64 s[28:29], v[8:9], v[12:13]
	v_lshrrev_b64 v[8:9], v2, v[4:5]
	v_mov_b32_e32 v4, v8
	v_mov_b32_e32 v5, v9
	s_and_saveexec_b64 s[38:39], s[28:29]
; %bb.4688:                             ;   in Loop: Header=BB6_4406 Depth=4
	v_bfe_u32 v4, v8, 20, 1
	v_add_co_u32_e64 v4, s[28:29], v8, v4
	v_add_co_u32_e64 v4, s[28:29], -1, v4
; %bb.4689:                             ;   in Loop: Header=BB6_4406 Depth=4
	s_or_b64 exec, exec, s[38:39]
	v_add_u32_e32 v1, 0xffffff81, v1
	v_mov_b32_e32 v5, 0xffffff82
	v_cndmask_b32_e32 v1, v1, v5, vcc
	v_lshrrev_b32_e32 v5, 23, v8
	v_add3_u32 v5, v2, v1, v5
	v_add_u32_e32 v2, 6, v5
	v_and_b32_e32 v1, 0xfffff, v4
	v_add_u32_e32 v8, v1, v8
	v_mov_b32_e32 v9, v51
	v_cmp_ne_u32_e32 vcc, 0, v2
                                        ; implicit-def: $vgpr1
	s_and_saveexec_b64 s[28:29], vcc
	s_xor_b64 s[28:29], exec, s[28:29]
; %bb.4690:                             ;   in Loop: Header=BB6_4406 Depth=4
	v_cmp_lt_u64_e32 vcc, s[88:89], v[8:9]
	v_add_u32_e32 v1, 7, v5
	v_cndmask_b32_e32 v1, v2, v1, vcc
	v_cndmask_b32_e64 v2, 0, 1, vcc
	v_lshrrev_b64 v[8:9], v2, v[8:9]
; %bb.4691:                             ;   in Loop: Header=BB6_4406 Depth=4
	s_andn2_saveexec_b64 s[28:29], s[28:29]
; %bb.4692:                             ;   in Loop: Header=BB6_4406 Depth=4
	v_bfe_u32 v1, v8, 23, 1
; %bb.4693:                             ;   in Loop: Header=BB6_4406 Depth=4
	s_or_b64 exec, exec, s[28:29]
	v_lshrrev_b64 v[4:5], 20, v[8:9]
	v_cmp_gt_i32_e32 vcc, 16, v1
	v_cndmask_b32_e32 v5, 0, v5, vcc
	v_cndmask_b32_e32 v4, 7, v4, vcc
	v_cmp_eq_u32_e32 vcc, 0, v1
	v_min_i32_e32 v1, 15, v1
	v_cmp_eq_u64_e64 s[28:29], 0, v[4:5]
	v_lshlrev_b32_e32 v1, 3, v1
	v_and_b32_e32 v1, 0xf8, v1
	v_and_or_b32 v1, v4, 7, v1
	s_and_b64 s[28:29], vcc, s[28:29]
	v_cndmask_b32_e64 v1, v1, 0, s[28:29]
	v_or_b32_e32 v30, v1, v0
.LBB6_4694:                             ;   in Loop: Header=BB6_4406 Depth=4
	s_or_b64 exec, exec, s[36:37]
                                        ; implicit-def: $vgpr0
.LBB6_4695:                             ;   in Loop: Header=BB6_4406 Depth=4
	s_andn2_saveexec_b64 s[28:29], s[34:35]
; %bb.4696:                             ;   in Loop: Header=BB6_4406 Depth=4
	v_or_b32_e32 v30, 0x7e, v0
; %bb.4697:                             ;   in Loop: Header=BB6_4406 Depth=4
	s_or_b64 exec, exec, s[28:29]
                                        ; implicit-def: $vgpr1
.LBB6_4698:                             ;   in Loop: Header=BB6_4406 Depth=4
	s_andn2_saveexec_b64 s[28:29], s[30:31]
; %bb.4699:                             ;   in Loop: Header=BB6_4406 Depth=4
	v_or_b32_sdwa v30, v1, s86 dst_sel:DWORD dst_unused:UNUSED_PAD src0_sel:BYTE_3 src1_sel:DWORD
; %bb.4700:                             ;   in Loop: Header=BB6_4406 Depth=4
	s_or_b64 exec, exec, s[28:29]
	v_lshrrev_b16_e32 v8, 8, v50
	v_cmp_ne_u16_e32 vcc, 0, v8
	v_mov_b32_e32 v0, 0
	s_and_saveexec_b64 s[28:29], vcc
	s_cbranch_execz .LBB6_4706
; %bb.4701:                             ;   in Loop: Header=BB6_4406 Depth=4
	v_cmp_ne_u16_e32 vcc, s96, v8
	v_bfrev_b32_e32 v0, 1
	s_and_saveexec_b64 s[30:31], vcc
	s_cbranch_execz .LBB6_4705
; %bb.4702:                             ;   in Loop: Header=BB6_4406 Depth=4
	v_and_b32_e32 v1, 0x7f, v8
	v_cmp_ne_u32_e32 vcc, s86, v1
	v_mov_b32_e32 v0, 0x7f800001
	s_and_saveexec_b64 s[34:35], vcc
	s_cbranch_execz .LBB6_4704
; %bb.4703:                             ;   in Loop: Header=BB6_4406 Depth=4
	v_and_b32_e32 v2, 7, v8
	v_ffbh_u32_e32 v0, v2
	v_min_u32_e32 v5, 32, v0
	v_subrev_u32_e32 v0, 28, v5
	v_lshrrev_b32_e32 v4, 3, v1
	v_cmp_gt_u32_e32 vcc, 8, v1
	v_lshlrev_b64 v[0:1], v0, v[8:9]
	v_sub_u32_e32 v1, 29, v5
	v_and_b32_e32 v0, 7, v0
	v_cndmask_b32_e32 v1, v4, v1, vcc
	v_cndmask_b32_e32 v0, v2, v0, vcc
	v_lshlrev_b32_e32 v2, 16, v50
	v_bfrev_b32_e32 v4, 60
	v_lshlrev_b32_e32 v0, 20, v0
	v_and_b32_e32 v2, 0x80000000, v2
	v_lshl_add_u32 v1, v1, 23, v4
	v_or3_b32 v0, v2, v1, v0
.LBB6_4704:                             ;   in Loop: Header=BB6_4406 Depth=4
	s_or_b64 exec, exec, s[34:35]
.LBB6_4705:                             ;   in Loop: Header=BB6_4406 Depth=4
	s_or_b64 exec, exec, s[30:31]
.LBB6_4706:                             ;   in Loop: Header=BB6_4406 Depth=4
	s_or_b64 exec, exec, s[28:29]
	v_mul_f32_e32 v1, v14, v0
	v_and_b32_e32 v50, 0x7f800000, v1
	v_cmp_ne_u64_e32 vcc, s[76:77], v[50:51]
                                        ; implicit-def: $vgpr0
                                        ; kill: killed $vgpr0
	s_and_saveexec_b64 s[28:29], vcc
	s_xor_b64 s[30:31], exec, s[28:29]
	s_cbranch_execz .LBB6_4720
; %bb.4707:                             ;   in Loop: Header=BB6_4406 Depth=4
	v_and_b32_e32 v50, 0x7fffffff, v1
	v_cmp_gt_u64_e32 vcc, s[78:79], v[50:51]
	v_and_b32_sdwa v0, v1, s96 dst_sel:DWORD dst_unused:UNUSED_PAD src0_sel:BYTE_3 src1_sel:DWORD
                                        ; implicit-def: $vgpr2
                                        ; kill: killed $vgpr2
	s_and_saveexec_b64 s[28:29], vcc
	s_xor_b64 s[34:35], exec, s[28:29]
	s_cbranch_execz .LBB6_4717
; %bb.4708:                             ;   in Loop: Header=BB6_4406 Depth=4
	v_mov_b32_e32 v2, 0
	v_cmp_ne_u32_e32 vcc, 0, v1
	buffer_store_dword v2, off, s[0:3], s33 offset:260 ; 4-byte Folded Spill
	s_and_saveexec_b64 s[36:37], vcc
	s_cbranch_execz .LBB6_4716
; %bb.4709:                             ;   in Loop: Header=BB6_4406 Depth=4
	v_and_b32_e32 v4, 0x7fffff, v1
	v_bfe_u32 v1, v1, 23, 8
	v_cmp_gt_u32_e64 s[28:29], s97, v1
	v_sub_u32_e32 v2, 0x79, v1
	v_cmp_eq_u32_e32 vcc, 0, v1
	v_cndmask_b32_e64 v2, 0, v2, s[28:29]
	v_mov_b32_e32 v6, 0x78
	v_or_b32_e32 v5, 0x800000, v4
	v_cndmask_b32_e32 v2, v2, v6, vcc
	v_cndmask_b32_e32 v50, v5, v4, vcc
	v_add_u32_e32 v4, 20, v2
	v_lshlrev_b64 v[4:5], v4, -1
	v_add_u32_e32 v6, 19, v2
	v_lshlrev_b64 v[8:9], v6, 1
	v_bfi_b32 v5, v5, 0, 0
	v_bfi_b32 v4, v4, 0, v50
	v_cmp_eq_u64_e64 s[28:29], v[4:5], v[8:9]
	v_lshrrev_b64 v[8:9], v2, v[50:51]
	v_mov_b32_e32 v4, v8
	v_mov_b32_e32 v5, v9
	s_and_saveexec_b64 s[38:39], s[28:29]
; %bb.4710:                             ;   in Loop: Header=BB6_4406 Depth=4
	v_bfe_u32 v4, v8, 20, 1
	v_add_co_u32_e64 v4, s[28:29], v8, v4
	v_add_co_u32_e64 v4, s[28:29], -1, v4
; %bb.4711:                             ;   in Loop: Header=BB6_4406 Depth=4
	s_or_b64 exec, exec, s[38:39]
	v_add_u32_e32 v1, 0xffffff81, v1
	v_mov_b32_e32 v5, 0xffffff82
	v_cndmask_b32_e32 v1, v1, v5, vcc
	v_lshrrev_b32_e32 v5, 23, v8
	v_add3_u32 v5, v2, v1, v5
	v_add_u32_e32 v2, 6, v5
	v_and_b32_e32 v1, 0xfffff, v4
	v_add_u32_e32 v50, v1, v8
	v_cmp_ne_u32_e32 vcc, 0, v2
                                        ; implicit-def: $vgpr8_vgpr9
                                        ; implicit-def: $vgpr1
	s_and_saveexec_b64 s[28:29], vcc
	s_xor_b64 s[28:29], exec, s[28:29]
; %bb.4712:                             ;   in Loop: Header=BB6_4406 Depth=4
	v_cmp_lt_u64_e32 vcc, s[88:89], v[50:51]
	v_add_u32_e32 v1, 7, v5
	v_cndmask_b32_e32 v1, v2, v1, vcc
	v_cndmask_b32_e64 v2, 0, 1, vcc
	v_lshrrev_b64 v[8:9], v2, v[50:51]
; %bb.4713:                             ;   in Loop: Header=BB6_4406 Depth=4
	s_andn2_saveexec_b64 s[28:29], s[28:29]
; %bb.4714:                             ;   in Loop: Header=BB6_4406 Depth=4
	v_mov_b32_e32 v8, v50
	v_bfe_u32 v1, v50, 23, 1
	v_mov_b32_e32 v9, v51
; %bb.4715:                             ;   in Loop: Header=BB6_4406 Depth=4
	s_or_b64 exec, exec, s[28:29]
	v_lshrrev_b64 v[4:5], 20, v[8:9]
	v_cmp_gt_i32_e32 vcc, 16, v1
	v_cndmask_b32_e32 v5, 0, v5, vcc
	v_cndmask_b32_e32 v4, 7, v4, vcc
	v_cmp_eq_u32_e32 vcc, 0, v1
	v_min_i32_e32 v1, 15, v1
	v_cmp_eq_u64_e64 s[28:29], 0, v[4:5]
	v_lshlrev_b32_e32 v1, 3, v1
	v_and_b32_e32 v1, 0xf8, v1
	v_and_or_b32 v1, v4, 7, v1
	s_and_b64 s[28:29], vcc, s[28:29]
	v_cndmask_b32_e64 v1, v1, 0, s[28:29]
	v_or_b32_e32 v0, v1, v0
	buffer_store_dword v0, off, s[0:3], s33 offset:260 ; 4-byte Folded Spill
.LBB6_4716:                             ;   in Loop: Header=BB6_4406 Depth=4
	s_or_b64 exec, exec, s[36:37]
                                        ; implicit-def: $vgpr0
.LBB6_4717:                             ;   in Loop: Header=BB6_4406 Depth=4
	s_andn2_saveexec_b64 s[28:29], s[34:35]
	s_cbranch_execz .LBB6_4719
; %bb.4718:                             ;   in Loop: Header=BB6_4406 Depth=4
	v_or_b32_e32 v0, 0x7e, v0
	buffer_store_dword v0, off, s[0:3], s33 offset:260 ; 4-byte Folded Spill
.LBB6_4719:                             ;   in Loop: Header=BB6_4406 Depth=4
	s_or_b64 exec, exec, s[28:29]
                                        ; implicit-def: $vgpr1
.LBB6_4720:                             ;   in Loop: Header=BB6_4406 Depth=4
	s_andn2_saveexec_b64 s[28:29], s[30:31]
	s_cbranch_execz .LBB6_4722
; %bb.4721:                             ;   in Loop: Header=BB6_4406 Depth=4
	v_or_b32_sdwa v0, v1, s86 dst_sel:DWORD dst_unused:UNUSED_PAD src0_sel:BYTE_3 src1_sel:DWORD
	buffer_store_dword v0, off, s[0:3], s33 offset:260 ; 4-byte Folded Spill
.LBB6_4722:                             ;   in Loop: Header=BB6_4406 Depth=4
	s_or_b64 exec, exec, s[28:29]
	v_lshrrev_b32_e32 v8, 16, v11
	v_cmp_ne_u16_sdwa vcc, v8, v51 src0_sel:BYTE_0 src1_sel:DWORD
	v_mov_b32_e32 v0, 0
	s_and_saveexec_b64 s[28:29], vcc
	s_cbranch_execz .LBB6_4728
; %bb.4723:                             ;   in Loop: Header=BB6_4406 Depth=4
	v_cmp_ne_u16_sdwa vcc, v8, s96 src0_sel:BYTE_0 src1_sel:DWORD
	v_bfrev_b32_e32 v0, 1
	s_and_saveexec_b64 s[30:31], vcc
	s_cbranch_execz .LBB6_4727
; %bb.4724:                             ;   in Loop: Header=BB6_4406 Depth=4
	v_bfe_u32 v1, v11, 16, 7
	v_cmp_ne_u32_e32 vcc, s86, v1
	v_mov_b32_e32 v0, 0x7f800001
	s_and_saveexec_b64 s[34:35], vcc
	s_cbranch_execz .LBB6_4726
; %bb.4725:                             ;   in Loop: Header=BB6_4406 Depth=4
	v_and_b32_e32 v2, 7, v8
	v_ffbh_u32_e32 v0, v2
	v_min_u32_e32 v5, 32, v0
	v_subrev_u32_e32 v0, 28, v5
	v_lshrrev_b32_e32 v4, 3, v1
	v_cmp_gt_u32_e32 vcc, 8, v1
	v_lshlrev_b64 v[0:1], v0, v[8:9]
	v_sub_u32_e32 v1, 29, v5
	v_and_b32_e32 v0, 7, v0
	v_cndmask_b32_e32 v1, v4, v1, vcc
	v_cndmask_b32_e32 v0, v2, v0, vcc
	v_lshlrev_b32_e32 v2, 24, v8
	v_bfrev_b32_e32 v4, 60
	v_lshlrev_b32_e32 v0, 20, v0
	v_and_b32_e32 v2, 0x80000000, v2
	v_lshl_add_u32 v1, v1, 23, v4
	v_or3_b32 v0, v2, v1, v0
.LBB6_4726:                             ;   in Loop: Header=BB6_4406 Depth=4
	s_or_b64 exec, exec, s[34:35]
.LBB6_4727:                             ;   in Loop: Header=BB6_4406 Depth=4
	s_or_b64 exec, exec, s[30:31]
.LBB6_4728:                             ;   in Loop: Header=BB6_4406 Depth=4
	s_or_b64 exec, exec, s[28:29]
	v_mul_f32_e32 v1, v14, v0
	v_and_b32_e32 v50, 0x7f800000, v1
	v_cmp_ne_u64_e32 vcc, s[76:77], v[50:51]
                                        ; implicit-def: $vgpr36
	s_and_saveexec_b64 s[28:29], vcc
	s_xor_b64 s[30:31], exec, s[28:29]
	s_cbranch_execz .LBB6_4742
; %bb.4729:                             ;   in Loop: Header=BB6_4406 Depth=4
	v_and_b32_e32 v50, 0x7fffffff, v1
	v_cmp_gt_u64_e32 vcc, s[78:79], v[50:51]
	v_and_b32_sdwa v0, v1, s96 dst_sel:DWORD dst_unused:UNUSED_PAD src0_sel:BYTE_3 src1_sel:DWORD
                                        ; implicit-def: $vgpr36
	s_and_saveexec_b64 s[28:29], vcc
	s_xor_b64 s[34:35], exec, s[28:29]
	s_cbranch_execz .LBB6_4739
; %bb.4730:                             ;   in Loop: Header=BB6_4406 Depth=4
	v_mov_b32_e32 v36, 0
	v_cmp_ne_u32_e32 vcc, 0, v1
	s_and_saveexec_b64 s[36:37], vcc
	s_cbranch_execz .LBB6_4738
; %bb.4731:                             ;   in Loop: Header=BB6_4406 Depth=4
	v_and_b32_e32 v4, 0x7fffff, v1
	v_bfe_u32 v1, v1, 23, 8
	v_cmp_gt_u32_e64 s[28:29], s97, v1
	v_sub_u32_e32 v2, 0x79, v1
	v_cmp_eq_u32_e32 vcc, 0, v1
	v_cndmask_b32_e64 v2, 0, v2, s[28:29]
	v_mov_b32_e32 v6, 0x78
	v_or_b32_e32 v5, 0x800000, v4
	v_cndmask_b32_e32 v2, v2, v6, vcc
	v_cndmask_b32_e32 v50, v5, v4, vcc
	v_add_u32_e32 v4, 20, v2
	v_lshlrev_b64 v[4:5], v4, -1
	v_add_u32_e32 v6, 19, v2
	v_lshlrev_b64 v[8:9], v6, 1
	v_bfi_b32 v5, v5, 0, 0
	v_bfi_b32 v4, v4, 0, v50
	v_cmp_eq_u64_e64 s[28:29], v[4:5], v[8:9]
	v_lshrrev_b64 v[8:9], v2, v[50:51]
	v_mov_b32_e32 v4, v8
	v_mov_b32_e32 v5, v9
	s_and_saveexec_b64 s[38:39], s[28:29]
; %bb.4732:                             ;   in Loop: Header=BB6_4406 Depth=4
	v_bfe_u32 v4, v8, 20, 1
	v_add_co_u32_e64 v4, s[28:29], v8, v4
	v_add_co_u32_e64 v4, s[28:29], -1, v4
; %bb.4733:                             ;   in Loop: Header=BB6_4406 Depth=4
	s_or_b64 exec, exec, s[38:39]
	v_add_u32_e32 v1, 0xffffff81, v1
	v_mov_b32_e32 v5, 0xffffff82
	v_cndmask_b32_e32 v1, v1, v5, vcc
	v_lshrrev_b32_e32 v5, 23, v8
	v_add3_u32 v5, v2, v1, v5
	v_add_u32_e32 v2, 6, v5
	v_and_b32_e32 v1, 0xfffff, v4
	v_add_u32_e32 v50, v1, v8
	v_cmp_ne_u32_e32 vcc, 0, v2
                                        ; implicit-def: $vgpr8_vgpr9
                                        ; implicit-def: $vgpr1
	s_and_saveexec_b64 s[28:29], vcc
	s_xor_b64 s[28:29], exec, s[28:29]
; %bb.4734:                             ;   in Loop: Header=BB6_4406 Depth=4
	v_cmp_lt_u64_e32 vcc, s[88:89], v[50:51]
	v_add_u32_e32 v1, 7, v5
	v_cndmask_b32_e32 v1, v2, v1, vcc
	v_cndmask_b32_e64 v2, 0, 1, vcc
	v_lshrrev_b64 v[8:9], v2, v[50:51]
; %bb.4735:                             ;   in Loop: Header=BB6_4406 Depth=4
	s_andn2_saveexec_b64 s[28:29], s[28:29]
; %bb.4736:                             ;   in Loop: Header=BB6_4406 Depth=4
	v_mov_b32_e32 v8, v50
	v_bfe_u32 v1, v50, 23, 1
	v_mov_b32_e32 v9, v51
; %bb.4737:                             ;   in Loop: Header=BB6_4406 Depth=4
	s_or_b64 exec, exec, s[28:29]
	v_lshrrev_b64 v[4:5], 20, v[8:9]
	v_cmp_gt_i32_e32 vcc, 16, v1
	v_cndmask_b32_e32 v5, 0, v5, vcc
	v_cndmask_b32_e32 v4, 7, v4, vcc
	v_cmp_eq_u32_e32 vcc, 0, v1
	v_min_i32_e32 v1, 15, v1
	v_cmp_eq_u64_e64 s[28:29], 0, v[4:5]
	v_lshlrev_b32_e32 v1, 3, v1
	v_and_b32_e32 v1, 0xf8, v1
	v_and_or_b32 v1, v4, 7, v1
	s_and_b64 s[28:29], vcc, s[28:29]
	v_cndmask_b32_e64 v1, v1, 0, s[28:29]
	v_or_b32_e32 v36, v1, v0
.LBB6_4738:                             ;   in Loop: Header=BB6_4406 Depth=4
	s_or_b64 exec, exec, s[36:37]
                                        ; implicit-def: $vgpr0
.LBB6_4739:                             ;   in Loop: Header=BB6_4406 Depth=4
	s_andn2_saveexec_b64 s[28:29], s[34:35]
; %bb.4740:                             ;   in Loop: Header=BB6_4406 Depth=4
	v_or_b32_e32 v36, 0x7e, v0
; %bb.4741:                             ;   in Loop: Header=BB6_4406 Depth=4
	s_or_b64 exec, exec, s[28:29]
                                        ; implicit-def: $vgpr1
.LBB6_4742:                             ;   in Loop: Header=BB6_4406 Depth=4
	s_andn2_saveexec_b64 s[28:29], s[30:31]
; %bb.4743:                             ;   in Loop: Header=BB6_4406 Depth=4
	v_or_b32_sdwa v36, v1, s86 dst_sel:DWORD dst_unused:UNUSED_PAD src0_sel:BYTE_3 src1_sel:DWORD
; %bb.4744:                             ;   in Loop: Header=BB6_4406 Depth=4
	s_or_b64 exec, exec, s[28:29]
	v_cmp_lt_u64_e32 vcc, s[56:57], v[10:11]
	v_mov_b32_e32 v0, 0
	s_and_saveexec_b64 s[28:29], vcc
	s_cbranch_execz .LBB6_4750
; %bb.4745:                             ;   in Loop: Header=BB6_4406 Depth=4
	v_lshrrev_b32_e32 v8, 24, v11
	v_cmp_ne_u32_e32 vcc, s96, v8
	v_bfrev_b32_e32 v0, 1
	s_and_saveexec_b64 s[30:31], vcc
	s_cbranch_execz .LBB6_4749
; %bb.4746:                             ;   in Loop: Header=BB6_4406 Depth=4
	v_bfe_u32 v1, v11, 24, 7
	v_cmp_ne_u32_e32 vcc, s86, v1
	v_mov_b32_e32 v0, 0x7f800001
	s_and_saveexec_b64 s[34:35], vcc
	s_cbranch_execz .LBB6_4748
; %bb.4747:                             ;   in Loop: Header=BB6_4406 Depth=4
	v_and_b32_e32 v2, 7, v8
	v_ffbh_u32_e32 v0, v2
	v_min_u32_e32 v5, 32, v0
	v_subrev_u32_e32 v0, 28, v5
	v_lshrrev_b32_e32 v4, 3, v1
	v_cmp_gt_u32_e32 vcc, 8, v1
	v_lshlrev_b64 v[0:1], v0, v[8:9]
	v_sub_u32_e32 v1, 29, v5
	v_and_b32_e32 v0, 7, v0
	v_cndmask_b32_e32 v1, v4, v1, vcc
	v_cndmask_b32_e32 v0, v2, v0, vcc
	v_lshlrev_b32_e32 v2, 24, v8
	v_bfrev_b32_e32 v4, 60
	v_lshlrev_b32_e32 v0, 20, v0
	v_and_b32_e32 v2, 0x80000000, v2
	v_lshl_add_u32 v1, v1, 23, v4
	v_or3_b32 v0, v2, v1, v0
.LBB6_4748:                             ;   in Loop: Header=BB6_4406 Depth=4
	s_or_b64 exec, exec, s[34:35]
.LBB6_4749:                             ;   in Loop: Header=BB6_4406 Depth=4
	s_or_b64 exec, exec, s[30:31]
.LBB6_4750:                             ;   in Loop: Header=BB6_4406 Depth=4
	s_or_b64 exec, exec, s[28:29]
	v_mul_f32_e32 v1, v14, v0
	v_and_b32_e32 v50, 0x7f800000, v1
	v_cmp_ne_u64_e32 vcc, s[76:77], v[50:51]
                                        ; implicit-def: $vgpr45
	s_and_saveexec_b64 s[28:29], vcc
	s_xor_b64 s[30:31], exec, s[28:29]
	s_cbranch_execz .LBB6_4764
; %bb.4751:                             ;   in Loop: Header=BB6_4406 Depth=4
	v_and_b32_e32 v50, 0x7fffffff, v1
	v_cmp_gt_u64_e32 vcc, s[78:79], v[50:51]
	v_and_b32_sdwa v0, v1, s96 dst_sel:DWORD dst_unused:UNUSED_PAD src0_sel:BYTE_3 src1_sel:DWORD
                                        ; implicit-def: $vgpr45
	s_and_saveexec_b64 s[28:29], vcc
	s_xor_b64 s[34:35], exec, s[28:29]
	s_cbranch_execz .LBB6_4761
; %bb.4752:                             ;   in Loop: Header=BB6_4406 Depth=4
	v_mov_b32_e32 v45, 0
	v_cmp_ne_u32_e32 vcc, 0, v1
	s_and_saveexec_b64 s[36:37], vcc
	s_cbranch_execz .LBB6_4760
; %bb.4753:                             ;   in Loop: Header=BB6_4406 Depth=4
	v_and_b32_e32 v4, 0x7fffff, v1
	v_bfe_u32 v1, v1, 23, 8
	v_cmp_gt_u32_e64 s[28:29], s97, v1
	v_sub_u32_e32 v2, 0x79, v1
	v_cmp_eq_u32_e32 vcc, 0, v1
	v_cndmask_b32_e64 v2, 0, v2, s[28:29]
	v_mov_b32_e32 v6, 0x78
	v_or_b32_e32 v5, 0x800000, v4
	v_cndmask_b32_e32 v2, v2, v6, vcc
	v_cndmask_b32_e32 v50, v5, v4, vcc
	v_add_u32_e32 v4, 20, v2
	v_lshlrev_b64 v[4:5], v4, -1
	v_add_u32_e32 v6, 19, v2
	v_lshlrev_b64 v[8:9], v6, 1
	v_bfi_b32 v5, v5, 0, 0
	v_bfi_b32 v4, v4, 0, v50
	v_cmp_eq_u64_e64 s[28:29], v[4:5], v[8:9]
	v_lshrrev_b64 v[8:9], v2, v[50:51]
	v_mov_b32_e32 v4, v8
	v_mov_b32_e32 v5, v9
	s_and_saveexec_b64 s[38:39], s[28:29]
; %bb.4754:                             ;   in Loop: Header=BB6_4406 Depth=4
	v_bfe_u32 v4, v8, 20, 1
	v_add_co_u32_e64 v4, s[28:29], v8, v4
	v_add_co_u32_e64 v4, s[28:29], -1, v4
; %bb.4755:                             ;   in Loop: Header=BB6_4406 Depth=4
	s_or_b64 exec, exec, s[38:39]
	v_add_u32_e32 v1, 0xffffff81, v1
	v_mov_b32_e32 v5, 0xffffff82
	v_cndmask_b32_e32 v1, v1, v5, vcc
	v_lshrrev_b32_e32 v5, 23, v8
	v_add3_u32 v5, v2, v1, v5
	v_add_u32_e32 v2, 6, v5
	v_and_b32_e32 v1, 0xfffff, v4
	v_add_u32_e32 v50, v1, v8
	v_cmp_ne_u32_e32 vcc, 0, v2
                                        ; implicit-def: $vgpr8_vgpr9
                                        ; implicit-def: $vgpr1
	s_and_saveexec_b64 s[28:29], vcc
	s_xor_b64 s[28:29], exec, s[28:29]
; %bb.4756:                             ;   in Loop: Header=BB6_4406 Depth=4
	v_cmp_lt_u64_e32 vcc, s[88:89], v[50:51]
	v_add_u32_e32 v1, 7, v5
	v_cndmask_b32_e32 v1, v2, v1, vcc
	v_cndmask_b32_e64 v2, 0, 1, vcc
	v_lshrrev_b64 v[8:9], v2, v[50:51]
; %bb.4757:                             ;   in Loop: Header=BB6_4406 Depth=4
	s_andn2_saveexec_b64 s[28:29], s[28:29]
; %bb.4758:                             ;   in Loop: Header=BB6_4406 Depth=4
	v_mov_b32_e32 v8, v50
	v_bfe_u32 v1, v50, 23, 1
	v_mov_b32_e32 v9, v51
; %bb.4759:                             ;   in Loop: Header=BB6_4406 Depth=4
	s_or_b64 exec, exec, s[28:29]
	v_lshrrev_b64 v[4:5], 20, v[8:9]
	v_cmp_gt_i32_e32 vcc, 16, v1
	v_cndmask_b32_e32 v5, 0, v5, vcc
	v_cndmask_b32_e32 v4, 7, v4, vcc
	v_cmp_eq_u32_e32 vcc, 0, v1
	v_min_i32_e32 v1, 15, v1
	v_cmp_eq_u64_e64 s[28:29], 0, v[4:5]
	v_lshlrev_b32_e32 v1, 3, v1
	v_and_b32_e32 v1, 0xf8, v1
	v_and_or_b32 v1, v4, 7, v1
	s_and_b64 s[28:29], vcc, s[28:29]
	v_cndmask_b32_e64 v1, v1, 0, s[28:29]
	v_or_b32_e32 v45, v1, v0
.LBB6_4760:                             ;   in Loop: Header=BB6_4406 Depth=4
	s_or_b64 exec, exec, s[36:37]
                                        ; implicit-def: $vgpr0
.LBB6_4761:                             ;   in Loop: Header=BB6_4406 Depth=4
	s_andn2_saveexec_b64 s[28:29], s[34:35]
; %bb.4762:                             ;   in Loop: Header=BB6_4406 Depth=4
	v_or_b32_e32 v45, 0x7e, v0
; %bb.4763:                             ;   in Loop: Header=BB6_4406 Depth=4
	s_or_b64 exec, exec, s[28:29]
                                        ; implicit-def: $vgpr1
.LBB6_4764:                             ;   in Loop: Header=BB6_4406 Depth=4
	s_andn2_saveexec_b64 s[28:29], s[30:31]
; %bb.4765:                             ;   in Loop: Header=BB6_4406 Depth=4
	v_or_b32_sdwa v45, v1, s86 dst_sel:DWORD dst_unused:UNUSED_PAD src0_sel:BYTE_3 src1_sel:DWORD
; %bb.4766:                             ;   in Loop: Header=BB6_4406 Depth=4
	s_or_b64 exec, exec, s[28:29]
	global_load_dwordx4 v[8:11], v[26:27], off offset:1024 glc slc
	v_mov_b32_e32 v0, 0
	s_waitcnt vmcnt(0)
	v_cmp_ne_u16_sdwa vcc, v8, v51 src0_sel:BYTE_0 src1_sel:DWORD
	s_and_saveexec_b64 s[28:29], vcc
	s_cbranch_execz .LBB6_4772
; %bb.4767:                             ;   in Loop: Header=BB6_4406 Depth=4
	v_cmp_ne_u16_sdwa vcc, v8, s96 src0_sel:BYTE_0 src1_sel:DWORD
	v_bfrev_b32_e32 v0, 1
	s_and_saveexec_b64 s[30:31], vcc
	s_cbranch_execz .LBB6_4771
; %bb.4768:                             ;   in Loop: Header=BB6_4406 Depth=4
	v_and_b32_e32 v1, 0x7f, v8
	v_cmp_ne_u32_e32 vcc, s86, v1
	v_mov_b32_e32 v0, 0x7f800001
	s_and_saveexec_b64 s[34:35], vcc
	s_cbranch_execz .LBB6_4770
; %bb.4769:                             ;   in Loop: Header=BB6_4406 Depth=4
	v_and_b32_e32 v0, 7, v8
	v_ffbh_u32_e32 v0, v0
	v_min_u32_e32 v0, 32, v0
	v_lshrrev_b32_e32 v2, 3, v1
	v_cmp_gt_u32_e32 vcc, 8, v1
	v_subrev_u32_e32 v1, 28, v0
	v_sub_u32_e32 v0, 29, v0
	v_cndmask_b32_e32 v2, v2, v0, vcc
	v_cndmask_b32_e32 v0, 0, v1, vcc
	v_lshlrev_b64 v[0:1], v0, v[8:9]
	v_lshlrev_b32_e32 v1, 24, v8
	v_lshlrev_b32_e32 v0, 20, v0
	v_bfrev_b32_e32 v4, 60
	v_and_b32_e32 v0, 0x700000, v0
	v_and_b32_e32 v1, 0x80000000, v1
	v_lshl_add_u32 v2, v2, 23, v4
	v_or3_b32 v0, v1, v2, v0
.LBB6_4770:                             ;   in Loop: Header=BB6_4406 Depth=4
	s_or_b64 exec, exec, s[34:35]
.LBB6_4771:                             ;   in Loop: Header=BB6_4406 Depth=4
	s_or_b64 exec, exec, s[30:31]
.LBB6_4772:                             ;   in Loop: Header=BB6_4406 Depth=4
	s_or_b64 exec, exec, s[28:29]
	v_mul_f32_e32 v1, v14, v0
	v_and_b32_e32 v50, 0x7f800000, v1
	v_cmp_ne_u64_e32 vcc, s[76:77], v[50:51]
                                        ; implicit-def: $vgpr58
	s_and_saveexec_b64 s[28:29], vcc
	s_xor_b64 s[30:31], exec, s[28:29]
	s_cbranch_execz .LBB6_4786
; %bb.4773:                             ;   in Loop: Header=BB6_4406 Depth=4
	v_and_b32_e32 v50, 0x7fffffff, v1
	v_cmp_gt_u64_e32 vcc, s[78:79], v[50:51]
	v_and_b32_sdwa v0, v1, s96 dst_sel:DWORD dst_unused:UNUSED_PAD src0_sel:BYTE_3 src1_sel:DWORD
                                        ; implicit-def: $vgpr58
	s_and_saveexec_b64 s[28:29], vcc
	s_xor_b64 s[34:35], exec, s[28:29]
	s_cbranch_execz .LBB6_4783
; %bb.4774:                             ;   in Loop: Header=BB6_4406 Depth=4
	v_mov_b32_e32 v58, 0
	v_cmp_ne_u32_e32 vcc, 0, v1
	s_and_saveexec_b64 s[36:37], vcc
	s_cbranch_execz .LBB6_4782
; %bb.4775:                             ;   in Loop: Header=BB6_4406 Depth=4
	v_and_b32_e32 v4, 0x7fffff, v1
	v_bfe_u32 v1, v1, 23, 8
	v_cmp_gt_u32_e64 s[28:29], s97, v1
	v_sub_u32_e32 v2, 0x79, v1
	v_cmp_eq_u32_e32 vcc, 0, v1
	v_cndmask_b32_e64 v2, 0, v2, s[28:29]
	v_mov_b32_e32 v6, 0x78
	v_or_b32_e32 v5, 0x800000, v4
	v_cndmask_b32_e32 v2, v2, v6, vcc
	v_cndmask_b32_e32 v50, v5, v4, vcc
	v_add_u32_e32 v4, 20, v2
	v_lshlrev_b64 v[4:5], v4, -1
	v_add_u32_e32 v6, 19, v2
	v_lshlrev_b64 v[12:13], v6, 1
	v_bfi_b32 v5, v5, 0, 0
	v_bfi_b32 v4, v4, 0, v50
	v_cmp_eq_u64_e64 s[28:29], v[4:5], v[12:13]
	v_lshrrev_b64 v[12:13], v2, v[50:51]
	v_mov_b32_e32 v4, v12
	v_mov_b32_e32 v5, v13
	s_and_saveexec_b64 s[38:39], s[28:29]
; %bb.4776:                             ;   in Loop: Header=BB6_4406 Depth=4
	v_bfe_u32 v4, v12, 20, 1
	v_add_co_u32_e64 v4, s[28:29], v12, v4
	v_add_co_u32_e64 v4, s[28:29], -1, v4
; %bb.4777:                             ;   in Loop: Header=BB6_4406 Depth=4
	s_or_b64 exec, exec, s[38:39]
	v_add_u32_e32 v1, 0xffffff81, v1
	v_mov_b32_e32 v5, 0xffffff82
	v_cndmask_b32_e32 v1, v1, v5, vcc
	v_lshrrev_b32_e32 v5, 23, v12
	v_add3_u32 v5, v2, v1, v5
	v_add_u32_e32 v2, 6, v5
	v_and_b32_e32 v1, 0xfffff, v4
	v_add_u32_e32 v50, v1, v12
	v_cmp_ne_u32_e32 vcc, 0, v2
                                        ; implicit-def: $vgpr12_vgpr13
                                        ; implicit-def: $vgpr1
	s_and_saveexec_b64 s[28:29], vcc
	s_xor_b64 s[28:29], exec, s[28:29]
; %bb.4778:                             ;   in Loop: Header=BB6_4406 Depth=4
	v_cmp_lt_u64_e32 vcc, s[88:89], v[50:51]
	v_add_u32_e32 v1, 7, v5
	v_cndmask_b32_e32 v1, v2, v1, vcc
	v_cndmask_b32_e64 v2, 0, 1, vcc
	v_lshrrev_b64 v[12:13], v2, v[50:51]
; %bb.4779:                             ;   in Loop: Header=BB6_4406 Depth=4
	s_andn2_saveexec_b64 s[28:29], s[28:29]
; %bb.4780:                             ;   in Loop: Header=BB6_4406 Depth=4
	v_mov_b32_e32 v12, v50
	v_bfe_u32 v1, v50, 23, 1
	v_mov_b32_e32 v13, v51
; %bb.4781:                             ;   in Loop: Header=BB6_4406 Depth=4
	s_or_b64 exec, exec, s[28:29]
	v_lshrrev_b64 v[4:5], 20, v[12:13]
	v_cmp_gt_i32_e32 vcc, 16, v1
	v_cndmask_b32_e32 v5, 0, v5, vcc
	v_cndmask_b32_e32 v4, 7, v4, vcc
	v_cmp_eq_u32_e32 vcc, 0, v1
	v_min_i32_e32 v1, 15, v1
	v_cmp_eq_u64_e64 s[28:29], 0, v[4:5]
	v_lshlrev_b32_e32 v1, 3, v1
	v_and_b32_e32 v1, 0xf8, v1
	v_and_or_b32 v1, v4, 7, v1
	s_and_b64 s[28:29], vcc, s[28:29]
	v_cndmask_b32_e64 v1, v1, 0, s[28:29]
	v_or_b32_e32 v58, v1, v0
.LBB6_4782:                             ;   in Loop: Header=BB6_4406 Depth=4
	s_or_b64 exec, exec, s[36:37]
                                        ; implicit-def: $vgpr0
.LBB6_4783:                             ;   in Loop: Header=BB6_4406 Depth=4
	s_andn2_saveexec_b64 s[28:29], s[34:35]
; %bb.4784:                             ;   in Loop: Header=BB6_4406 Depth=4
	v_or_b32_e32 v58, 0x7e, v0
; %bb.4785:                             ;   in Loop: Header=BB6_4406 Depth=4
	s_or_b64 exec, exec, s[28:29]
                                        ; implicit-def: $vgpr1
.LBB6_4786:                             ;   in Loop: Header=BB6_4406 Depth=4
	s_andn2_saveexec_b64 s[28:29], s[30:31]
; %bb.4787:                             ;   in Loop: Header=BB6_4406 Depth=4
	v_or_b32_sdwa v58, v1, s86 dst_sel:DWORD dst_unused:UNUSED_PAD src0_sel:BYTE_3 src1_sel:DWORD
; %bb.4788:                             ;   in Loop: Header=BB6_4406 Depth=4
	s_or_b64 exec, exec, s[28:29]
	v_lshrrev_b16_e32 v12, 8, v8
	v_cmp_ne_u16_e32 vcc, 0, v12
	v_mov_b32_e32 v0, 0
	s_and_saveexec_b64 s[28:29], vcc
	s_cbranch_execz .LBB6_4794
; %bb.4789:                             ;   in Loop: Header=BB6_4406 Depth=4
	v_cmp_ne_u16_e32 vcc, s96, v12
	v_bfrev_b32_e32 v0, 1
	s_and_saveexec_b64 s[30:31], vcc
	s_cbranch_execz .LBB6_4793
; %bb.4790:                             ;   in Loop: Header=BB6_4406 Depth=4
	v_and_b32_e32 v1, 0x7f, v12
	v_cmp_ne_u32_e32 vcc, s86, v1
	v_mov_b32_e32 v0, 0x7f800001
	s_and_saveexec_b64 s[34:35], vcc
	s_cbranch_execz .LBB6_4792
; %bb.4791:                             ;   in Loop: Header=BB6_4406 Depth=4
	v_and_b32_e32 v2, 7, v12
	v_ffbh_u32_e32 v0, v2
	v_min_u32_e32 v5, 32, v0
	v_subrev_u32_e32 v0, 28, v5
	v_lshrrev_b32_e32 v4, 3, v1
	v_cmp_gt_u32_e32 vcc, 8, v1
	v_lshlrev_b64 v[0:1], v0, v[12:13]
	v_sub_u32_e32 v1, 29, v5
	v_and_b32_e32 v0, 7, v0
	v_cndmask_b32_e32 v1, v4, v1, vcc
	v_cndmask_b32_e32 v0, v2, v0, vcc
	v_lshlrev_b32_e32 v2, 16, v8
	v_bfrev_b32_e32 v4, 60
	v_lshlrev_b32_e32 v0, 20, v0
	v_and_b32_e32 v2, 0x80000000, v2
	v_lshl_add_u32 v1, v1, 23, v4
	v_or3_b32 v0, v2, v1, v0
.LBB6_4792:                             ;   in Loop: Header=BB6_4406 Depth=4
	s_or_b64 exec, exec, s[34:35]
.LBB6_4793:                             ;   in Loop: Header=BB6_4406 Depth=4
	s_or_b64 exec, exec, s[30:31]
.LBB6_4794:                             ;   in Loop: Header=BB6_4406 Depth=4
	s_or_b64 exec, exec, s[28:29]
	v_mul_f32_e32 v1, v14, v0
	v_and_b32_e32 v50, 0x7f800000, v1
	v_cmp_ne_u64_e32 vcc, s[76:77], v[50:51]
                                        ; implicit-def: $vgpr0
                                        ; kill: killed $vgpr0
	s_and_saveexec_b64 s[28:29], vcc
	s_xor_b64 s[30:31], exec, s[28:29]
	s_cbranch_execz .LBB6_4808
; %bb.4795:                             ;   in Loop: Header=BB6_4406 Depth=4
	v_and_b32_e32 v50, 0x7fffffff, v1
	v_cmp_gt_u64_e32 vcc, s[78:79], v[50:51]
	v_and_b32_sdwa v0, v1, s96 dst_sel:DWORD dst_unused:UNUSED_PAD src0_sel:BYTE_3 src1_sel:DWORD
                                        ; implicit-def: $vgpr2
                                        ; kill: killed $vgpr2
	s_and_saveexec_b64 s[28:29], vcc
	s_xor_b64 s[34:35], exec, s[28:29]
	s_cbranch_execz .LBB6_4805
; %bb.4796:                             ;   in Loop: Header=BB6_4406 Depth=4
	v_mov_b32_e32 v2, 0
	v_cmp_ne_u32_e32 vcc, 0, v1
	buffer_store_dword v2, off, s[0:3], s33 offset:244 ; 4-byte Folded Spill
	s_and_saveexec_b64 s[36:37], vcc
	s_cbranch_execz .LBB6_4804
; %bb.4797:                             ;   in Loop: Header=BB6_4406 Depth=4
	v_and_b32_e32 v4, 0x7fffff, v1
	v_bfe_u32 v1, v1, 23, 8
	v_cmp_gt_u32_e64 s[28:29], s97, v1
	v_sub_u32_e32 v2, 0x79, v1
	v_cmp_eq_u32_e32 vcc, 0, v1
	v_cndmask_b32_e64 v2, 0, v2, s[28:29]
	v_mov_b32_e32 v6, 0x78
	v_or_b32_e32 v5, 0x800000, v4
	v_cndmask_b32_e32 v2, v2, v6, vcc
	v_cndmask_b32_e32 v50, v5, v4, vcc
	v_add_u32_e32 v4, 20, v2
	v_lshlrev_b64 v[4:5], v4, -1
	v_add_u32_e32 v6, 19, v2
	v_lshlrev_b64 v[12:13], v6, 1
	v_bfi_b32 v5, v5, 0, 0
	v_bfi_b32 v4, v4, 0, v50
	v_cmp_eq_u64_e64 s[28:29], v[4:5], v[12:13]
	v_lshrrev_b64 v[12:13], v2, v[50:51]
	v_mov_b32_e32 v4, v12
	v_mov_b32_e32 v5, v13
	s_and_saveexec_b64 s[38:39], s[28:29]
; %bb.4798:                             ;   in Loop: Header=BB6_4406 Depth=4
	v_bfe_u32 v4, v12, 20, 1
	v_add_co_u32_e64 v4, s[28:29], v12, v4
	v_add_co_u32_e64 v4, s[28:29], -1, v4
; %bb.4799:                             ;   in Loop: Header=BB6_4406 Depth=4
	s_or_b64 exec, exec, s[38:39]
	v_add_u32_e32 v1, 0xffffff81, v1
	v_mov_b32_e32 v5, 0xffffff82
	v_cndmask_b32_e32 v1, v1, v5, vcc
	v_lshrrev_b32_e32 v5, 23, v12
	v_add3_u32 v5, v2, v1, v5
	v_add_u32_e32 v2, 6, v5
	v_and_b32_e32 v1, 0xfffff, v4
	v_add_u32_e32 v50, v1, v12
	v_cmp_ne_u32_e32 vcc, 0, v2
                                        ; implicit-def: $vgpr12_vgpr13
                                        ; implicit-def: $vgpr1
	s_and_saveexec_b64 s[28:29], vcc
	s_xor_b64 s[28:29], exec, s[28:29]
; %bb.4800:                             ;   in Loop: Header=BB6_4406 Depth=4
	v_cmp_lt_u64_e32 vcc, s[88:89], v[50:51]
	v_add_u32_e32 v1, 7, v5
	v_cndmask_b32_e32 v1, v2, v1, vcc
	v_cndmask_b32_e64 v2, 0, 1, vcc
	v_lshrrev_b64 v[12:13], v2, v[50:51]
; %bb.4801:                             ;   in Loop: Header=BB6_4406 Depth=4
	s_andn2_saveexec_b64 s[28:29], s[28:29]
; %bb.4802:                             ;   in Loop: Header=BB6_4406 Depth=4
	v_mov_b32_e32 v12, v50
	v_bfe_u32 v1, v50, 23, 1
	v_mov_b32_e32 v13, v51
; %bb.4803:                             ;   in Loop: Header=BB6_4406 Depth=4
	s_or_b64 exec, exec, s[28:29]
	v_lshrrev_b64 v[4:5], 20, v[12:13]
	v_cmp_gt_i32_e32 vcc, 16, v1
	v_cndmask_b32_e32 v5, 0, v5, vcc
	v_cndmask_b32_e32 v4, 7, v4, vcc
	v_cmp_eq_u32_e32 vcc, 0, v1
	v_min_i32_e32 v1, 15, v1
	v_cmp_eq_u64_e64 s[28:29], 0, v[4:5]
	v_lshlrev_b32_e32 v1, 3, v1
	v_and_b32_e32 v1, 0xf8, v1
	v_and_or_b32 v1, v4, 7, v1
	s_and_b64 s[28:29], vcc, s[28:29]
	v_cndmask_b32_e64 v1, v1, 0, s[28:29]
	v_or_b32_e32 v0, v1, v0
	buffer_store_dword v0, off, s[0:3], s33 offset:244 ; 4-byte Folded Spill
.LBB6_4804:                             ;   in Loop: Header=BB6_4406 Depth=4
	s_or_b64 exec, exec, s[36:37]
                                        ; implicit-def: $vgpr0
.LBB6_4805:                             ;   in Loop: Header=BB6_4406 Depth=4
	s_andn2_saveexec_b64 s[28:29], s[34:35]
	s_cbranch_execz .LBB6_4807
; %bb.4806:                             ;   in Loop: Header=BB6_4406 Depth=4
	v_or_b32_e32 v0, 0x7e, v0
	buffer_store_dword v0, off, s[0:3], s33 offset:244 ; 4-byte Folded Spill
.LBB6_4807:                             ;   in Loop: Header=BB6_4406 Depth=4
	s_or_b64 exec, exec, s[28:29]
                                        ; implicit-def: $vgpr1
.LBB6_4808:                             ;   in Loop: Header=BB6_4406 Depth=4
	s_andn2_saveexec_b64 s[28:29], s[30:31]
	s_cbranch_execz .LBB6_4810
; %bb.4809:                             ;   in Loop: Header=BB6_4406 Depth=4
	v_or_b32_sdwa v0, v1, s86 dst_sel:DWORD dst_unused:UNUSED_PAD src0_sel:BYTE_3 src1_sel:DWORD
	buffer_store_dword v0, off, s[0:3], s33 offset:244 ; 4-byte Folded Spill
.LBB6_4810:                             ;   in Loop: Header=BB6_4406 Depth=4
	s_or_b64 exec, exec, s[28:29]
	v_lshrrev_b32_e32 v12, 16, v8
	v_cmp_ne_u16_sdwa vcc, v12, v51 src0_sel:BYTE_0 src1_sel:DWORD
	v_mov_b32_e32 v0, 0
	s_and_saveexec_b64 s[28:29], vcc
	s_cbranch_execz .LBB6_4816
; %bb.4811:                             ;   in Loop: Header=BB6_4406 Depth=4
	v_cmp_ne_u16_sdwa vcc, v12, s96 src0_sel:BYTE_0 src1_sel:DWORD
	v_bfrev_b32_e32 v0, 1
	s_and_saveexec_b64 s[30:31], vcc
	s_cbranch_execz .LBB6_4815
; %bb.4812:                             ;   in Loop: Header=BB6_4406 Depth=4
	v_bfe_u32 v1, v8, 16, 7
	v_cmp_ne_u32_e32 vcc, s86, v1
	v_mov_b32_e32 v0, 0x7f800001
	s_and_saveexec_b64 s[34:35], vcc
	s_cbranch_execz .LBB6_4814
; %bb.4813:                             ;   in Loop: Header=BB6_4406 Depth=4
	v_and_b32_e32 v2, 7, v12
	v_ffbh_u32_e32 v0, v2
	v_min_u32_e32 v5, 32, v0
	v_subrev_u32_e32 v0, 28, v5
	v_lshrrev_b32_e32 v4, 3, v1
	v_cmp_gt_u32_e32 vcc, 8, v1
	v_lshlrev_b64 v[0:1], v0, v[12:13]
	v_sub_u32_e32 v1, 29, v5
	v_and_b32_e32 v0, 7, v0
	v_cndmask_b32_e32 v1, v4, v1, vcc
	v_cndmask_b32_e32 v0, v2, v0, vcc
	v_lshlrev_b32_e32 v2, 24, v12
	v_bfrev_b32_e32 v4, 60
	v_lshlrev_b32_e32 v0, 20, v0
	v_and_b32_e32 v2, 0x80000000, v2
	v_lshl_add_u32 v1, v1, 23, v4
	v_or3_b32 v0, v2, v1, v0
.LBB6_4814:                             ;   in Loop: Header=BB6_4406 Depth=4
	s_or_b64 exec, exec, s[34:35]
.LBB6_4815:                             ;   in Loop: Header=BB6_4406 Depth=4
	s_or_b64 exec, exec, s[30:31]
.LBB6_4816:                             ;   in Loop: Header=BB6_4406 Depth=4
	s_or_b64 exec, exec, s[28:29]
	v_mul_f32_e32 v1, v14, v0
	v_and_b32_e32 v50, 0x7f800000, v1
	v_cmp_ne_u64_e32 vcc, s[76:77], v[50:51]
                                        ; implicit-def: $vgpr0
                                        ; kill: killed $vgpr0
	s_and_saveexec_b64 s[28:29], vcc
	s_xor_b64 s[30:31], exec, s[28:29]
	s_cbranch_execz .LBB6_4830
; %bb.4817:                             ;   in Loop: Header=BB6_4406 Depth=4
	v_and_b32_e32 v50, 0x7fffffff, v1
	v_cmp_gt_u64_e32 vcc, s[78:79], v[50:51]
	v_and_b32_sdwa v0, v1, s96 dst_sel:DWORD dst_unused:UNUSED_PAD src0_sel:BYTE_3 src1_sel:DWORD
                                        ; implicit-def: $vgpr2
                                        ; kill: killed $vgpr2
	s_and_saveexec_b64 s[28:29], vcc
	s_xor_b64 s[34:35], exec, s[28:29]
	s_cbranch_execz .LBB6_4827
; %bb.4818:                             ;   in Loop: Header=BB6_4406 Depth=4
	v_mov_b32_e32 v2, 0
	v_cmp_ne_u32_e32 vcc, 0, v1
	buffer_store_dword v2, off, s[0:3], s33 offset:264 ; 4-byte Folded Spill
	s_and_saveexec_b64 s[36:37], vcc
	s_cbranch_execz .LBB6_4826
; %bb.4819:                             ;   in Loop: Header=BB6_4406 Depth=4
	v_and_b32_e32 v4, 0x7fffff, v1
	v_bfe_u32 v1, v1, 23, 8
	v_cmp_gt_u32_e64 s[28:29], s97, v1
	v_sub_u32_e32 v2, 0x79, v1
	v_cmp_eq_u32_e32 vcc, 0, v1
	v_cndmask_b32_e64 v2, 0, v2, s[28:29]
	v_mov_b32_e32 v6, 0x78
	v_or_b32_e32 v5, 0x800000, v4
	v_cndmask_b32_e32 v2, v2, v6, vcc
	v_cndmask_b32_e32 v50, v5, v4, vcc
	v_add_u32_e32 v4, 20, v2
	v_lshlrev_b64 v[4:5], v4, -1
	v_add_u32_e32 v6, 19, v2
	v_lshlrev_b64 v[12:13], v6, 1
	v_bfi_b32 v5, v5, 0, 0
	v_bfi_b32 v4, v4, 0, v50
	v_cmp_eq_u64_e64 s[28:29], v[4:5], v[12:13]
	v_lshrrev_b64 v[12:13], v2, v[50:51]
	v_mov_b32_e32 v4, v12
	v_mov_b32_e32 v5, v13
	s_and_saveexec_b64 s[38:39], s[28:29]
; %bb.4820:                             ;   in Loop: Header=BB6_4406 Depth=4
	v_bfe_u32 v4, v12, 20, 1
	v_add_co_u32_e64 v4, s[28:29], v12, v4
	v_add_co_u32_e64 v4, s[28:29], -1, v4
; %bb.4821:                             ;   in Loop: Header=BB6_4406 Depth=4
	s_or_b64 exec, exec, s[38:39]
	v_add_u32_e32 v1, 0xffffff81, v1
	v_mov_b32_e32 v5, 0xffffff82
	v_cndmask_b32_e32 v1, v1, v5, vcc
	v_lshrrev_b32_e32 v5, 23, v12
	v_add3_u32 v5, v2, v1, v5
	v_add_u32_e32 v2, 6, v5
	v_and_b32_e32 v1, 0xfffff, v4
	v_add_u32_e32 v50, v1, v12
	v_cmp_ne_u32_e32 vcc, 0, v2
                                        ; implicit-def: $vgpr12_vgpr13
                                        ; implicit-def: $vgpr1
	s_and_saveexec_b64 s[28:29], vcc
	s_xor_b64 s[28:29], exec, s[28:29]
; %bb.4822:                             ;   in Loop: Header=BB6_4406 Depth=4
	v_cmp_lt_u64_e32 vcc, s[88:89], v[50:51]
	v_add_u32_e32 v1, 7, v5
	v_cndmask_b32_e32 v1, v2, v1, vcc
	v_cndmask_b32_e64 v2, 0, 1, vcc
	v_lshrrev_b64 v[12:13], v2, v[50:51]
; %bb.4823:                             ;   in Loop: Header=BB6_4406 Depth=4
	s_andn2_saveexec_b64 s[28:29], s[28:29]
; %bb.4824:                             ;   in Loop: Header=BB6_4406 Depth=4
	v_mov_b32_e32 v12, v50
	v_bfe_u32 v1, v50, 23, 1
	v_mov_b32_e32 v13, v51
; %bb.4825:                             ;   in Loop: Header=BB6_4406 Depth=4
	s_or_b64 exec, exec, s[28:29]
	v_lshrrev_b64 v[4:5], 20, v[12:13]
	v_cmp_gt_i32_e32 vcc, 16, v1
	v_cndmask_b32_e32 v5, 0, v5, vcc
	v_cndmask_b32_e32 v4, 7, v4, vcc
	v_cmp_eq_u32_e32 vcc, 0, v1
	v_min_i32_e32 v1, 15, v1
	v_cmp_eq_u64_e64 s[28:29], 0, v[4:5]
	v_lshlrev_b32_e32 v1, 3, v1
	v_and_b32_e32 v1, 0xf8, v1
	v_and_or_b32 v1, v4, 7, v1
	s_and_b64 s[28:29], vcc, s[28:29]
	v_cndmask_b32_e64 v1, v1, 0, s[28:29]
	v_or_b32_e32 v0, v1, v0
	buffer_store_dword v0, off, s[0:3], s33 offset:264 ; 4-byte Folded Spill
.LBB6_4826:                             ;   in Loop: Header=BB6_4406 Depth=4
	s_or_b64 exec, exec, s[36:37]
                                        ; implicit-def: $vgpr0
.LBB6_4827:                             ;   in Loop: Header=BB6_4406 Depth=4
	s_andn2_saveexec_b64 s[28:29], s[34:35]
	s_cbranch_execz .LBB6_4829
; %bb.4828:                             ;   in Loop: Header=BB6_4406 Depth=4
	v_or_b32_e32 v0, 0x7e, v0
	buffer_store_dword v0, off, s[0:3], s33 offset:264 ; 4-byte Folded Spill
.LBB6_4829:                             ;   in Loop: Header=BB6_4406 Depth=4
	s_or_b64 exec, exec, s[28:29]
                                        ; implicit-def: $vgpr1
.LBB6_4830:                             ;   in Loop: Header=BB6_4406 Depth=4
	s_andn2_saveexec_b64 s[28:29], s[30:31]
	s_cbranch_execz .LBB6_4832
; %bb.4831:                             ;   in Loop: Header=BB6_4406 Depth=4
	v_or_b32_sdwa v0, v1, s86 dst_sel:DWORD dst_unused:UNUSED_PAD src0_sel:BYTE_3 src1_sel:DWORD
	buffer_store_dword v0, off, s[0:3], s33 offset:264 ; 4-byte Folded Spill
.LBB6_4832:                             ;   in Loop: Header=BB6_4406 Depth=4
	s_or_b64 exec, exec, s[28:29]
	v_cmp_lt_u32_e32 vcc, s57, v8
	v_mov_b32_e32 v0, 0
	s_and_saveexec_b64 s[28:29], vcc
	s_cbranch_execz .LBB6_4838
; %bb.4833:                             ;   in Loop: Header=BB6_4406 Depth=4
	v_lshrrev_b32_e32 v12, 24, v8
	v_cmp_ne_u32_e32 vcc, s96, v12
	v_bfrev_b32_e32 v0, 1
	s_and_saveexec_b64 s[30:31], vcc
	s_cbranch_execz .LBB6_4837
; %bb.4834:                             ;   in Loop: Header=BB6_4406 Depth=4
	v_bfe_u32 v1, v8, 24, 7
	v_cmp_ne_u32_e32 vcc, s86, v1
	v_mov_b32_e32 v0, 0x7f800001
	s_and_saveexec_b64 s[34:35], vcc
	s_cbranch_execz .LBB6_4836
; %bb.4835:                             ;   in Loop: Header=BB6_4406 Depth=4
	v_and_b32_e32 v2, 7, v12
	v_ffbh_u32_e32 v0, v2
	v_min_u32_e32 v5, 32, v0
	v_subrev_u32_e32 v0, 28, v5
	v_lshrrev_b32_e32 v4, 3, v1
	v_cmp_gt_u32_e32 vcc, 8, v1
	v_lshlrev_b64 v[0:1], v0, v[12:13]
	v_sub_u32_e32 v1, 29, v5
	v_and_b32_e32 v0, 7, v0
	v_cndmask_b32_e32 v1, v4, v1, vcc
	v_cndmask_b32_e32 v0, v2, v0, vcc
	v_lshlrev_b32_e32 v2, 24, v12
	v_bfrev_b32_e32 v4, 60
	v_lshlrev_b32_e32 v0, 20, v0
	v_and_b32_e32 v2, 0x80000000, v2
	v_lshl_add_u32 v1, v1, 23, v4
	v_or3_b32 v0, v2, v1, v0
.LBB6_4836:                             ;   in Loop: Header=BB6_4406 Depth=4
	s_or_b64 exec, exec, s[34:35]
.LBB6_4837:                             ;   in Loop: Header=BB6_4406 Depth=4
	s_or_b64 exec, exec, s[30:31]
.LBB6_4838:                             ;   in Loop: Header=BB6_4406 Depth=4
	s_or_b64 exec, exec, s[28:29]
	v_mul_f32_e32 v1, v14, v0
	v_and_b32_e32 v50, 0x7f800000, v1
	v_cmp_ne_u64_e32 vcc, s[76:77], v[50:51]
                                        ; implicit-def: $vgpr35
	s_and_saveexec_b64 s[28:29], vcc
	s_xor_b64 s[30:31], exec, s[28:29]
	s_cbranch_execz .LBB6_4852
; %bb.4839:                             ;   in Loop: Header=BB6_4406 Depth=4
	v_and_b32_e32 v50, 0x7fffffff, v1
	v_cmp_gt_u64_e32 vcc, s[78:79], v[50:51]
	v_and_b32_sdwa v0, v1, s96 dst_sel:DWORD dst_unused:UNUSED_PAD src0_sel:BYTE_3 src1_sel:DWORD
                                        ; implicit-def: $vgpr35
	s_and_saveexec_b64 s[28:29], vcc
	s_xor_b64 s[34:35], exec, s[28:29]
	s_cbranch_execz .LBB6_4849
; %bb.4840:                             ;   in Loop: Header=BB6_4406 Depth=4
	v_mov_b32_e32 v35, 0
	v_cmp_ne_u32_e32 vcc, 0, v1
	s_and_saveexec_b64 s[36:37], vcc
	s_cbranch_execz .LBB6_4848
; %bb.4841:                             ;   in Loop: Header=BB6_4406 Depth=4
	v_and_b32_e32 v4, 0x7fffff, v1
	v_bfe_u32 v1, v1, 23, 8
	v_cmp_gt_u32_e64 s[28:29], s97, v1
	v_sub_u32_e32 v2, 0x79, v1
	v_cmp_eq_u32_e32 vcc, 0, v1
	v_cndmask_b32_e64 v2, 0, v2, s[28:29]
	v_mov_b32_e32 v6, 0x78
	v_or_b32_e32 v5, 0x800000, v4
	v_cndmask_b32_e32 v2, v2, v6, vcc
	v_cndmask_b32_e32 v50, v5, v4, vcc
	v_add_u32_e32 v4, 20, v2
	v_lshlrev_b64 v[4:5], v4, -1
	v_add_u32_e32 v6, 19, v2
	v_lshlrev_b64 v[12:13], v6, 1
	v_bfi_b32 v5, v5, 0, 0
	v_bfi_b32 v4, v4, 0, v50
	v_cmp_eq_u64_e64 s[28:29], v[4:5], v[12:13]
	v_lshrrev_b64 v[12:13], v2, v[50:51]
	v_mov_b32_e32 v4, v12
	v_mov_b32_e32 v5, v13
	s_and_saveexec_b64 s[38:39], s[28:29]
; %bb.4842:                             ;   in Loop: Header=BB6_4406 Depth=4
	v_bfe_u32 v4, v12, 20, 1
	v_add_co_u32_e64 v4, s[28:29], v12, v4
	v_add_co_u32_e64 v4, s[28:29], -1, v4
; %bb.4843:                             ;   in Loop: Header=BB6_4406 Depth=4
	s_or_b64 exec, exec, s[38:39]
	v_add_u32_e32 v1, 0xffffff81, v1
	v_mov_b32_e32 v5, 0xffffff82
	v_cndmask_b32_e32 v1, v1, v5, vcc
	v_lshrrev_b32_e32 v5, 23, v12
	v_add3_u32 v5, v2, v1, v5
	v_add_u32_e32 v2, 6, v5
	v_and_b32_e32 v1, 0xfffff, v4
	v_add_u32_e32 v50, v1, v12
	v_cmp_ne_u32_e32 vcc, 0, v2
                                        ; implicit-def: $vgpr12_vgpr13
                                        ; implicit-def: $vgpr1
	s_and_saveexec_b64 s[28:29], vcc
	s_xor_b64 s[28:29], exec, s[28:29]
; %bb.4844:                             ;   in Loop: Header=BB6_4406 Depth=4
	v_cmp_lt_u64_e32 vcc, s[88:89], v[50:51]
	v_add_u32_e32 v1, 7, v5
	v_cndmask_b32_e32 v1, v2, v1, vcc
	v_cndmask_b32_e64 v2, 0, 1, vcc
	v_lshrrev_b64 v[12:13], v2, v[50:51]
; %bb.4845:                             ;   in Loop: Header=BB6_4406 Depth=4
	s_andn2_saveexec_b64 s[28:29], s[28:29]
; %bb.4846:                             ;   in Loop: Header=BB6_4406 Depth=4
	v_mov_b32_e32 v12, v50
	v_bfe_u32 v1, v50, 23, 1
	v_mov_b32_e32 v13, v51
; %bb.4847:                             ;   in Loop: Header=BB6_4406 Depth=4
	s_or_b64 exec, exec, s[28:29]
	v_lshrrev_b64 v[4:5], 20, v[12:13]
	v_cmp_gt_i32_e32 vcc, 16, v1
	v_cndmask_b32_e32 v5, 0, v5, vcc
	v_cndmask_b32_e32 v4, 7, v4, vcc
	v_cmp_eq_u32_e32 vcc, 0, v1
	v_min_i32_e32 v1, 15, v1
	v_cmp_eq_u64_e64 s[28:29], 0, v[4:5]
	v_lshlrev_b32_e32 v1, 3, v1
	v_and_b32_e32 v1, 0xf8, v1
	v_and_or_b32 v1, v4, 7, v1
	s_and_b64 s[28:29], vcc, s[28:29]
	v_cndmask_b32_e64 v1, v1, 0, s[28:29]
	v_or_b32_e32 v35, v1, v0
.LBB6_4848:                             ;   in Loop: Header=BB6_4406 Depth=4
	s_or_b64 exec, exec, s[36:37]
                                        ; implicit-def: $vgpr0
.LBB6_4849:                             ;   in Loop: Header=BB6_4406 Depth=4
	s_andn2_saveexec_b64 s[28:29], s[34:35]
; %bb.4850:                             ;   in Loop: Header=BB6_4406 Depth=4
	v_or_b32_e32 v35, 0x7e, v0
; %bb.4851:                             ;   in Loop: Header=BB6_4406 Depth=4
	s_or_b64 exec, exec, s[28:29]
                                        ; implicit-def: $vgpr1
.LBB6_4852:                             ;   in Loop: Header=BB6_4406 Depth=4
	s_andn2_saveexec_b64 s[28:29], s[30:31]
; %bb.4853:                             ;   in Loop: Header=BB6_4406 Depth=4
	v_or_b32_sdwa v35, v1, s86 dst_sel:DWORD dst_unused:UNUSED_PAD src0_sel:BYTE_3 src1_sel:DWORD
; %bb.4854:                             ;   in Loop: Header=BB6_4406 Depth=4
	s_or_b64 exec, exec, s[28:29]
	v_mov_b32_e32 v50, v9
	v_cmp_ne_u16_sdwa vcc, v9, v51 src0_sel:BYTE_0 src1_sel:DWORD
	v_mov_b32_e32 v0, 0
	s_and_saveexec_b64 s[28:29], vcc
	s_cbranch_execz .LBB6_4860
; %bb.4855:                             ;   in Loop: Header=BB6_4406 Depth=4
	v_cmp_ne_u16_sdwa vcc, v9, s96 src0_sel:BYTE_0 src1_sel:DWORD
	v_bfrev_b32_e32 v0, 1
	s_and_saveexec_b64 s[30:31], vcc
	s_cbranch_execz .LBB6_4859
; %bb.4856:                             ;   in Loop: Header=BB6_4406 Depth=4
	v_and_b32_e32 v1, 0x7f, v9
	v_cmp_ne_u32_e32 vcc, s86, v1
	v_mov_b32_e32 v0, 0x7f800001
	s_and_saveexec_b64 s[34:35], vcc
	s_cbranch_execz .LBB6_4858
; %bb.4857:                             ;   in Loop: Header=BB6_4406 Depth=4
	v_and_b32_e32 v0, 7, v9
	v_ffbh_u32_e32 v0, v0
	v_min_u32_e32 v0, 32, v0
	v_lshrrev_b32_e32 v2, 3, v1
	v_cmp_gt_u32_e32 vcc, 8, v1
	v_subrev_u32_e32 v1, 28, v0
	v_sub_u32_e32 v0, 29, v0
	v_cndmask_b32_e32 v2, v2, v0, vcc
	v_cndmask_b32_e32 v0, 0, v1, vcc
	v_lshlrev_b64 v[0:1], v0, v[50:51]
	v_lshlrev_b32_e32 v1, 24, v50
	v_lshlrev_b32_e32 v0, 20, v0
	v_bfrev_b32_e32 v4, 60
	v_and_b32_e32 v0, 0x700000, v0
	v_and_b32_e32 v1, 0x80000000, v1
	v_lshl_add_u32 v2, v2, 23, v4
	v_or3_b32 v0, v1, v2, v0
.LBB6_4858:                             ;   in Loop: Header=BB6_4406 Depth=4
	s_or_b64 exec, exec, s[34:35]
.LBB6_4859:                             ;   in Loop: Header=BB6_4406 Depth=4
	s_or_b64 exec, exec, s[30:31]
.LBB6_4860:                             ;   in Loop: Header=BB6_4406 Depth=4
	s_or_b64 exec, exec, s[28:29]
	v_mul_f32_e32 v1, v14, v0
	v_and_b32_e32 v4, 0x7f800000, v1
	v_mov_b32_e32 v5, v51
	v_cmp_ne_u64_e32 vcc, s[76:77], v[4:5]
                                        ; implicit-def: $vgpr31
	s_and_saveexec_b64 s[28:29], vcc
	s_xor_b64 s[30:31], exec, s[28:29]
	s_cbranch_execz .LBB6_4874
; %bb.4861:                             ;   in Loop: Header=BB6_4406 Depth=4
	v_and_b32_e32 v4, 0x7fffffff, v1
	v_mov_b32_e32 v5, v51
	v_cmp_gt_u64_e32 vcc, s[78:79], v[4:5]
	v_and_b32_sdwa v0, v1, s96 dst_sel:DWORD dst_unused:UNUSED_PAD src0_sel:BYTE_3 src1_sel:DWORD
                                        ; implicit-def: $vgpr31
	s_and_saveexec_b64 s[28:29], vcc
	s_xor_b64 s[34:35], exec, s[28:29]
	s_cbranch_execz .LBB6_4871
; %bb.4862:                             ;   in Loop: Header=BB6_4406 Depth=4
	v_mov_b32_e32 v31, 0
	v_cmp_ne_u32_e32 vcc, 0, v1
	s_and_saveexec_b64 s[36:37], vcc
	s_cbranch_execz .LBB6_4870
; %bb.4863:                             ;   in Loop: Header=BB6_4406 Depth=4
	v_and_b32_e32 v4, 0x7fffff, v1
	v_bfe_u32 v1, v1, 23, 8
	v_cmp_gt_u32_e64 s[28:29], s97, v1
	v_sub_u32_e32 v2, 0x79, v1
	v_cmp_eq_u32_e32 vcc, 0, v1
	v_cndmask_b32_e64 v2, 0, v2, s[28:29]
	v_mov_b32_e32 v6, 0x78
	v_cndmask_b32_e32 v2, v2, v6, vcc
	v_add_u32_e32 v6, 20, v2
	v_or_b32_e32 v5, 0x800000, v4
	v_lshlrev_b64 v[12:13], v6, -1
	v_add_u32_e32 v6, 19, v2
	v_cndmask_b32_e32 v4, v5, v4, vcc
	v_lshlrev_b64 v[15:16], v6, 1
	v_mov_b32_e32 v5, v51
	v_bfi_b32 v13, v13, 0, 0
	v_bfi_b32 v12, v12, 0, v4
	v_cmp_eq_u64_e64 s[28:29], v[12:13], v[15:16]
	v_lshrrev_b64 v[12:13], v2, v[4:5]
	v_mov_b32_e32 v4, v12
	v_mov_b32_e32 v5, v13
	s_and_saveexec_b64 s[38:39], s[28:29]
; %bb.4864:                             ;   in Loop: Header=BB6_4406 Depth=4
	v_bfe_u32 v4, v12, 20, 1
	v_add_co_u32_e64 v4, s[28:29], v12, v4
	v_add_co_u32_e64 v4, s[28:29], -1, v4
; %bb.4865:                             ;   in Loop: Header=BB6_4406 Depth=4
	s_or_b64 exec, exec, s[38:39]
	v_add_u32_e32 v1, 0xffffff81, v1
	v_mov_b32_e32 v5, 0xffffff82
	v_cndmask_b32_e32 v1, v1, v5, vcc
	v_lshrrev_b32_e32 v5, 23, v12
	v_add3_u32 v5, v2, v1, v5
	v_add_u32_e32 v2, 6, v5
	v_and_b32_e32 v1, 0xfffff, v4
	v_add_u32_e32 v12, v1, v12
	v_mov_b32_e32 v13, v51
	v_cmp_ne_u32_e32 vcc, 0, v2
                                        ; implicit-def: $vgpr1
	s_and_saveexec_b64 s[28:29], vcc
	s_xor_b64 s[28:29], exec, s[28:29]
; %bb.4866:                             ;   in Loop: Header=BB6_4406 Depth=4
	v_cmp_lt_u64_e32 vcc, s[88:89], v[12:13]
	v_add_u32_e32 v1, 7, v5
	v_cndmask_b32_e32 v1, v2, v1, vcc
	v_cndmask_b32_e64 v2, 0, 1, vcc
	v_lshrrev_b64 v[12:13], v2, v[12:13]
; %bb.4867:                             ;   in Loop: Header=BB6_4406 Depth=4
	s_andn2_saveexec_b64 s[28:29], s[28:29]
; %bb.4868:                             ;   in Loop: Header=BB6_4406 Depth=4
	v_bfe_u32 v1, v12, 23, 1
; %bb.4869:                             ;   in Loop: Header=BB6_4406 Depth=4
	s_or_b64 exec, exec, s[28:29]
	v_lshrrev_b64 v[4:5], 20, v[12:13]
	v_cmp_gt_i32_e32 vcc, 16, v1
	v_cndmask_b32_e32 v5, 0, v5, vcc
	v_cndmask_b32_e32 v4, 7, v4, vcc
	v_cmp_eq_u32_e32 vcc, 0, v1
	v_min_i32_e32 v1, 15, v1
	v_cmp_eq_u64_e64 s[28:29], 0, v[4:5]
	v_lshlrev_b32_e32 v1, 3, v1
	v_and_b32_e32 v1, 0xf8, v1
	v_and_or_b32 v1, v4, 7, v1
	s_and_b64 s[28:29], vcc, s[28:29]
	v_cndmask_b32_e64 v1, v1, 0, s[28:29]
	v_or_b32_e32 v31, v1, v0
.LBB6_4870:                             ;   in Loop: Header=BB6_4406 Depth=4
	s_or_b64 exec, exec, s[36:37]
                                        ; implicit-def: $vgpr0
.LBB6_4871:                             ;   in Loop: Header=BB6_4406 Depth=4
	s_andn2_saveexec_b64 s[28:29], s[34:35]
; %bb.4872:                             ;   in Loop: Header=BB6_4406 Depth=4
	v_or_b32_e32 v31, 0x7e, v0
; %bb.4873:                             ;   in Loop: Header=BB6_4406 Depth=4
	s_or_b64 exec, exec, s[28:29]
                                        ; implicit-def: $vgpr1
.LBB6_4874:                             ;   in Loop: Header=BB6_4406 Depth=4
	s_andn2_saveexec_b64 s[28:29], s[30:31]
; %bb.4875:                             ;   in Loop: Header=BB6_4406 Depth=4
	v_or_b32_sdwa v31, v1, s86 dst_sel:DWORD dst_unused:UNUSED_PAD src0_sel:BYTE_3 src1_sel:DWORD
; %bb.4876:                             ;   in Loop: Header=BB6_4406 Depth=4
	s_or_b64 exec, exec, s[28:29]
	v_lshrrev_b16_e32 v12, 8, v50
	v_cmp_ne_u16_e32 vcc, 0, v12
	v_mov_b32_e32 v0, 0
	s_and_saveexec_b64 s[28:29], vcc
	s_cbranch_execz .LBB6_4882
; %bb.4877:                             ;   in Loop: Header=BB6_4406 Depth=4
	v_cmp_ne_u16_e32 vcc, s96, v12
	v_bfrev_b32_e32 v0, 1
	s_and_saveexec_b64 s[30:31], vcc
	s_cbranch_execz .LBB6_4881
; %bb.4878:                             ;   in Loop: Header=BB6_4406 Depth=4
	v_and_b32_e32 v1, 0x7f, v12
	v_cmp_ne_u32_e32 vcc, s86, v1
	v_mov_b32_e32 v0, 0x7f800001
	s_and_saveexec_b64 s[34:35], vcc
	s_cbranch_execz .LBB6_4880
; %bb.4879:                             ;   in Loop: Header=BB6_4406 Depth=4
	v_and_b32_e32 v2, 7, v12
	v_ffbh_u32_e32 v0, v2
	v_min_u32_e32 v5, 32, v0
	v_subrev_u32_e32 v0, 28, v5
	v_lshrrev_b32_e32 v4, 3, v1
	v_cmp_gt_u32_e32 vcc, 8, v1
	v_lshlrev_b64 v[0:1], v0, v[12:13]
	v_sub_u32_e32 v1, 29, v5
	v_and_b32_e32 v0, 7, v0
	v_cndmask_b32_e32 v1, v4, v1, vcc
	v_cndmask_b32_e32 v0, v2, v0, vcc
	v_lshlrev_b32_e32 v2, 16, v50
	v_bfrev_b32_e32 v4, 60
	v_lshlrev_b32_e32 v0, 20, v0
	v_and_b32_e32 v2, 0x80000000, v2
	v_lshl_add_u32 v1, v1, 23, v4
	v_or3_b32 v0, v2, v1, v0
.LBB6_4880:                             ;   in Loop: Header=BB6_4406 Depth=4
	s_or_b64 exec, exec, s[34:35]
.LBB6_4881:                             ;   in Loop: Header=BB6_4406 Depth=4
	s_or_b64 exec, exec, s[30:31]
.LBB6_4882:                             ;   in Loop: Header=BB6_4406 Depth=4
	s_or_b64 exec, exec, s[28:29]
	v_mul_f32_e32 v1, v14, v0
	v_and_b32_e32 v50, 0x7f800000, v1
	v_cmp_ne_u64_e32 vcc, s[76:77], v[50:51]
                                        ; implicit-def: $vgpr0
                                        ; kill: killed $vgpr0
	s_and_saveexec_b64 s[28:29], vcc
	s_xor_b64 s[30:31], exec, s[28:29]
	s_cbranch_execz .LBB6_4896
; %bb.4883:                             ;   in Loop: Header=BB6_4406 Depth=4
	v_and_b32_e32 v50, 0x7fffffff, v1
	v_cmp_gt_u64_e32 vcc, s[78:79], v[50:51]
	v_and_b32_sdwa v0, v1, s96 dst_sel:DWORD dst_unused:UNUSED_PAD src0_sel:BYTE_3 src1_sel:DWORD
                                        ; implicit-def: $vgpr2
                                        ; kill: killed $vgpr2
	s_and_saveexec_b64 s[28:29], vcc
	s_xor_b64 s[34:35], exec, s[28:29]
	s_cbranch_execz .LBB6_4893
; %bb.4884:                             ;   in Loop: Header=BB6_4406 Depth=4
	v_mov_b32_e32 v2, 0
	v_cmp_ne_u32_e32 vcc, 0, v1
	buffer_store_dword v2, off, s[0:3], s33 offset:228 ; 4-byte Folded Spill
	s_and_saveexec_b64 s[36:37], vcc
	s_cbranch_execz .LBB6_4892
; %bb.4885:                             ;   in Loop: Header=BB6_4406 Depth=4
	v_and_b32_e32 v4, 0x7fffff, v1
	v_bfe_u32 v1, v1, 23, 8
	v_cmp_gt_u32_e64 s[28:29], s97, v1
	v_sub_u32_e32 v2, 0x79, v1
	v_cmp_eq_u32_e32 vcc, 0, v1
	v_cndmask_b32_e64 v2, 0, v2, s[28:29]
	v_mov_b32_e32 v6, 0x78
	v_or_b32_e32 v5, 0x800000, v4
	v_cndmask_b32_e32 v2, v2, v6, vcc
	v_cndmask_b32_e32 v50, v5, v4, vcc
	v_add_u32_e32 v4, 20, v2
	v_lshlrev_b64 v[4:5], v4, -1
	v_add_u32_e32 v6, 19, v2
	v_lshlrev_b64 v[12:13], v6, 1
	v_bfi_b32 v5, v5, 0, 0
	v_bfi_b32 v4, v4, 0, v50
	v_cmp_eq_u64_e64 s[28:29], v[4:5], v[12:13]
	v_lshrrev_b64 v[12:13], v2, v[50:51]
	v_mov_b32_e32 v4, v12
	v_mov_b32_e32 v5, v13
	s_and_saveexec_b64 s[38:39], s[28:29]
; %bb.4886:                             ;   in Loop: Header=BB6_4406 Depth=4
	v_bfe_u32 v4, v12, 20, 1
	v_add_co_u32_e64 v4, s[28:29], v12, v4
	v_add_co_u32_e64 v4, s[28:29], -1, v4
; %bb.4887:                             ;   in Loop: Header=BB6_4406 Depth=4
	s_or_b64 exec, exec, s[38:39]
	v_add_u32_e32 v1, 0xffffff81, v1
	v_mov_b32_e32 v5, 0xffffff82
	v_cndmask_b32_e32 v1, v1, v5, vcc
	v_lshrrev_b32_e32 v5, 23, v12
	v_add3_u32 v5, v2, v1, v5
	v_add_u32_e32 v2, 6, v5
	v_and_b32_e32 v1, 0xfffff, v4
	v_add_u32_e32 v50, v1, v12
	v_cmp_ne_u32_e32 vcc, 0, v2
                                        ; implicit-def: $vgpr12_vgpr13
                                        ; implicit-def: $vgpr1
	s_and_saveexec_b64 s[28:29], vcc
	s_xor_b64 s[28:29], exec, s[28:29]
; %bb.4888:                             ;   in Loop: Header=BB6_4406 Depth=4
	v_cmp_lt_u64_e32 vcc, s[88:89], v[50:51]
	v_add_u32_e32 v1, 7, v5
	v_cndmask_b32_e32 v1, v2, v1, vcc
	v_cndmask_b32_e64 v2, 0, 1, vcc
	v_lshrrev_b64 v[12:13], v2, v[50:51]
; %bb.4889:                             ;   in Loop: Header=BB6_4406 Depth=4
	s_andn2_saveexec_b64 s[28:29], s[28:29]
; %bb.4890:                             ;   in Loop: Header=BB6_4406 Depth=4
	v_mov_b32_e32 v12, v50
	v_bfe_u32 v1, v50, 23, 1
	v_mov_b32_e32 v13, v51
; %bb.4891:                             ;   in Loop: Header=BB6_4406 Depth=4
	s_or_b64 exec, exec, s[28:29]
	v_lshrrev_b64 v[4:5], 20, v[12:13]
	v_cmp_gt_i32_e32 vcc, 16, v1
	v_cndmask_b32_e32 v5, 0, v5, vcc
	v_cndmask_b32_e32 v4, 7, v4, vcc
	v_cmp_eq_u32_e32 vcc, 0, v1
	v_min_i32_e32 v1, 15, v1
	v_cmp_eq_u64_e64 s[28:29], 0, v[4:5]
	v_lshlrev_b32_e32 v1, 3, v1
	v_and_b32_e32 v1, 0xf8, v1
	v_and_or_b32 v1, v4, 7, v1
	s_and_b64 s[28:29], vcc, s[28:29]
	v_cndmask_b32_e64 v1, v1, 0, s[28:29]
	v_or_b32_e32 v0, v1, v0
	buffer_store_dword v0, off, s[0:3], s33 offset:228 ; 4-byte Folded Spill
.LBB6_4892:                             ;   in Loop: Header=BB6_4406 Depth=4
	s_or_b64 exec, exec, s[36:37]
                                        ; implicit-def: $vgpr0
.LBB6_4893:                             ;   in Loop: Header=BB6_4406 Depth=4
	s_andn2_saveexec_b64 s[28:29], s[34:35]
	s_cbranch_execz .LBB6_4895
; %bb.4894:                             ;   in Loop: Header=BB6_4406 Depth=4
	v_or_b32_e32 v0, 0x7e, v0
	buffer_store_dword v0, off, s[0:3], s33 offset:228 ; 4-byte Folded Spill
.LBB6_4895:                             ;   in Loop: Header=BB6_4406 Depth=4
	s_or_b64 exec, exec, s[28:29]
                                        ; implicit-def: $vgpr1
.LBB6_4896:                             ;   in Loop: Header=BB6_4406 Depth=4
	s_andn2_saveexec_b64 s[28:29], s[30:31]
	s_cbranch_execz .LBB6_4898
; %bb.4897:                             ;   in Loop: Header=BB6_4406 Depth=4
	v_or_b32_sdwa v0, v1, s86 dst_sel:DWORD dst_unused:UNUSED_PAD src0_sel:BYTE_3 src1_sel:DWORD
	buffer_store_dword v0, off, s[0:3], s33 offset:228 ; 4-byte Folded Spill
.LBB6_4898:                             ;   in Loop: Header=BB6_4406 Depth=4
	s_or_b64 exec, exec, s[28:29]
	v_lshrrev_b32_e32 v12, 16, v9
	v_cmp_ne_u16_sdwa vcc, v12, v51 src0_sel:BYTE_0 src1_sel:DWORD
	v_mov_b32_e32 v0, 0
	s_and_saveexec_b64 s[28:29], vcc
	s_cbranch_execz .LBB6_4904
; %bb.4899:                             ;   in Loop: Header=BB6_4406 Depth=4
	v_cmp_ne_u16_sdwa vcc, v12, s96 src0_sel:BYTE_0 src1_sel:DWORD
	v_bfrev_b32_e32 v0, 1
	s_and_saveexec_b64 s[30:31], vcc
	s_cbranch_execz .LBB6_4903
; %bb.4900:                             ;   in Loop: Header=BB6_4406 Depth=4
	v_bfe_u32 v1, v9, 16, 7
	v_cmp_ne_u32_e32 vcc, s86, v1
	v_mov_b32_e32 v0, 0x7f800001
	s_and_saveexec_b64 s[34:35], vcc
	s_cbranch_execz .LBB6_4902
; %bb.4901:                             ;   in Loop: Header=BB6_4406 Depth=4
	v_and_b32_e32 v2, 7, v12
	v_ffbh_u32_e32 v0, v2
	v_min_u32_e32 v5, 32, v0
	v_subrev_u32_e32 v0, 28, v5
	v_lshrrev_b32_e32 v4, 3, v1
	v_cmp_gt_u32_e32 vcc, 8, v1
	v_lshlrev_b64 v[0:1], v0, v[12:13]
	v_sub_u32_e32 v1, 29, v5
	v_and_b32_e32 v0, 7, v0
	v_cndmask_b32_e32 v1, v4, v1, vcc
	v_cndmask_b32_e32 v0, v2, v0, vcc
	v_lshlrev_b32_e32 v2, 24, v12
	v_bfrev_b32_e32 v4, 60
	v_lshlrev_b32_e32 v0, 20, v0
	v_and_b32_e32 v2, 0x80000000, v2
	v_lshl_add_u32 v1, v1, 23, v4
	v_or3_b32 v0, v2, v1, v0
.LBB6_4902:                             ;   in Loop: Header=BB6_4406 Depth=4
	s_or_b64 exec, exec, s[34:35]
.LBB6_4903:                             ;   in Loop: Header=BB6_4406 Depth=4
	s_or_b64 exec, exec, s[30:31]
.LBB6_4904:                             ;   in Loop: Header=BB6_4406 Depth=4
	s_or_b64 exec, exec, s[28:29]
	v_mul_f32_e32 v1, v14, v0
	v_and_b32_e32 v50, 0x7f800000, v1
	v_cmp_ne_u64_e32 vcc, s[76:77], v[50:51]
                                        ; implicit-def: $vgpr0
                                        ; kill: killed $vgpr0
	s_and_saveexec_b64 s[28:29], vcc
	s_xor_b64 s[30:31], exec, s[28:29]
	s_cbranch_execz .LBB6_4918
; %bb.4905:                             ;   in Loop: Header=BB6_4406 Depth=4
	v_and_b32_e32 v50, 0x7fffffff, v1
	v_cmp_gt_u64_e32 vcc, s[78:79], v[50:51]
	v_and_b32_sdwa v0, v1, s96 dst_sel:DWORD dst_unused:UNUSED_PAD src0_sel:BYTE_3 src1_sel:DWORD
                                        ; implicit-def: $vgpr2
                                        ; kill: killed $vgpr2
	s_and_saveexec_b64 s[28:29], vcc
	s_xor_b64 s[34:35], exec, s[28:29]
	s_cbranch_execz .LBB6_4915
; %bb.4906:                             ;   in Loop: Header=BB6_4406 Depth=4
	v_mov_b32_e32 v2, 0
	v_cmp_ne_u32_e32 vcc, 0, v1
	buffer_store_dword v2, off, s[0:3], s33 offset:248 ; 4-byte Folded Spill
	s_and_saveexec_b64 s[36:37], vcc
	s_cbranch_execz .LBB6_4914
; %bb.4907:                             ;   in Loop: Header=BB6_4406 Depth=4
	v_and_b32_e32 v4, 0x7fffff, v1
	v_bfe_u32 v1, v1, 23, 8
	v_cmp_gt_u32_e64 s[28:29], s97, v1
	v_sub_u32_e32 v2, 0x79, v1
	v_cmp_eq_u32_e32 vcc, 0, v1
	v_cndmask_b32_e64 v2, 0, v2, s[28:29]
	v_mov_b32_e32 v6, 0x78
	v_or_b32_e32 v5, 0x800000, v4
	v_cndmask_b32_e32 v2, v2, v6, vcc
	v_cndmask_b32_e32 v50, v5, v4, vcc
	v_add_u32_e32 v4, 20, v2
	v_lshlrev_b64 v[4:5], v4, -1
	v_add_u32_e32 v6, 19, v2
	v_lshlrev_b64 v[12:13], v6, 1
	v_bfi_b32 v5, v5, 0, 0
	v_bfi_b32 v4, v4, 0, v50
	v_cmp_eq_u64_e64 s[28:29], v[4:5], v[12:13]
	v_lshrrev_b64 v[12:13], v2, v[50:51]
	v_mov_b32_e32 v4, v12
	v_mov_b32_e32 v5, v13
	s_and_saveexec_b64 s[38:39], s[28:29]
; %bb.4908:                             ;   in Loop: Header=BB6_4406 Depth=4
	v_bfe_u32 v4, v12, 20, 1
	v_add_co_u32_e64 v4, s[28:29], v12, v4
	v_add_co_u32_e64 v4, s[28:29], -1, v4
; %bb.4909:                             ;   in Loop: Header=BB6_4406 Depth=4
	s_or_b64 exec, exec, s[38:39]
	v_add_u32_e32 v1, 0xffffff81, v1
	v_mov_b32_e32 v5, 0xffffff82
	v_cndmask_b32_e32 v1, v1, v5, vcc
	v_lshrrev_b32_e32 v5, 23, v12
	v_add3_u32 v5, v2, v1, v5
	v_add_u32_e32 v2, 6, v5
	v_and_b32_e32 v1, 0xfffff, v4
	v_add_u32_e32 v50, v1, v12
	v_cmp_ne_u32_e32 vcc, 0, v2
                                        ; implicit-def: $vgpr12_vgpr13
                                        ; implicit-def: $vgpr1
	s_and_saveexec_b64 s[28:29], vcc
	s_xor_b64 s[28:29], exec, s[28:29]
; %bb.4910:                             ;   in Loop: Header=BB6_4406 Depth=4
	v_cmp_lt_u64_e32 vcc, s[88:89], v[50:51]
	v_add_u32_e32 v1, 7, v5
	v_cndmask_b32_e32 v1, v2, v1, vcc
	v_cndmask_b32_e64 v2, 0, 1, vcc
	v_lshrrev_b64 v[12:13], v2, v[50:51]
; %bb.4911:                             ;   in Loop: Header=BB6_4406 Depth=4
	s_andn2_saveexec_b64 s[28:29], s[28:29]
; %bb.4912:                             ;   in Loop: Header=BB6_4406 Depth=4
	v_mov_b32_e32 v12, v50
	v_bfe_u32 v1, v50, 23, 1
	v_mov_b32_e32 v13, v51
; %bb.4913:                             ;   in Loop: Header=BB6_4406 Depth=4
	s_or_b64 exec, exec, s[28:29]
	v_lshrrev_b64 v[4:5], 20, v[12:13]
	v_cmp_gt_i32_e32 vcc, 16, v1
	v_cndmask_b32_e32 v5, 0, v5, vcc
	v_cndmask_b32_e32 v4, 7, v4, vcc
	v_cmp_eq_u32_e32 vcc, 0, v1
	v_min_i32_e32 v1, 15, v1
	v_cmp_eq_u64_e64 s[28:29], 0, v[4:5]
	v_lshlrev_b32_e32 v1, 3, v1
	v_and_b32_e32 v1, 0xf8, v1
	v_and_or_b32 v1, v4, 7, v1
	s_and_b64 s[28:29], vcc, s[28:29]
	v_cndmask_b32_e64 v1, v1, 0, s[28:29]
	v_or_b32_e32 v0, v1, v0
	buffer_store_dword v0, off, s[0:3], s33 offset:248 ; 4-byte Folded Spill
.LBB6_4914:                             ;   in Loop: Header=BB6_4406 Depth=4
	s_or_b64 exec, exec, s[36:37]
                                        ; implicit-def: $vgpr0
.LBB6_4915:                             ;   in Loop: Header=BB6_4406 Depth=4
	s_andn2_saveexec_b64 s[28:29], s[34:35]
	s_cbranch_execz .LBB6_4917
; %bb.4916:                             ;   in Loop: Header=BB6_4406 Depth=4
	v_or_b32_e32 v0, 0x7e, v0
	buffer_store_dword v0, off, s[0:3], s33 offset:248 ; 4-byte Folded Spill
.LBB6_4917:                             ;   in Loop: Header=BB6_4406 Depth=4
	s_or_b64 exec, exec, s[28:29]
                                        ; implicit-def: $vgpr1
.LBB6_4918:                             ;   in Loop: Header=BB6_4406 Depth=4
	s_andn2_saveexec_b64 s[28:29], s[30:31]
	s_cbranch_execz .LBB6_4920
; %bb.4919:                             ;   in Loop: Header=BB6_4406 Depth=4
	v_or_b32_sdwa v0, v1, s86 dst_sel:DWORD dst_unused:UNUSED_PAD src0_sel:BYTE_3 src1_sel:DWORD
	buffer_store_dword v0, off, s[0:3], s33 offset:248 ; 4-byte Folded Spill
.LBB6_4920:                             ;   in Loop: Header=BB6_4406 Depth=4
	s_or_b64 exec, exec, s[28:29]
	v_cmp_lt_u64_e32 vcc, s[56:57], v[8:9]
	v_mov_b32_e32 v0, 0
	s_and_saveexec_b64 s[28:29], vcc
	s_cbranch_execz .LBB6_4926
; %bb.4921:                             ;   in Loop: Header=BB6_4406 Depth=4
	v_lshrrev_b32_e32 v8, 24, v9
	v_cmp_ne_u32_e32 vcc, s96, v8
	v_bfrev_b32_e32 v0, 1
	s_and_saveexec_b64 s[30:31], vcc
	s_cbranch_execz .LBB6_4925
; %bb.4922:                             ;   in Loop: Header=BB6_4406 Depth=4
	v_bfe_u32 v1, v9, 24, 7
	v_cmp_ne_u32_e32 vcc, s86, v1
	v_mov_b32_e32 v0, 0x7f800001
	s_and_saveexec_b64 s[34:35], vcc
	s_cbranch_execz .LBB6_4924
; %bb.4923:                             ;   in Loop: Header=BB6_4406 Depth=4
	v_and_b32_e32 v2, 7, v8
	v_ffbh_u32_e32 v0, v2
	v_min_u32_e32 v5, 32, v0
	v_subrev_u32_e32 v0, 28, v5
	v_lshrrev_b32_e32 v4, 3, v1
	v_cmp_gt_u32_e32 vcc, 8, v1
	v_lshlrev_b64 v[0:1], v0, v[8:9]
	v_sub_u32_e32 v1, 29, v5
	v_and_b32_e32 v0, 7, v0
	v_cndmask_b32_e32 v1, v4, v1, vcc
	v_cndmask_b32_e32 v0, v2, v0, vcc
	v_lshlrev_b32_e32 v2, 24, v8
	v_bfrev_b32_e32 v4, 60
	v_lshlrev_b32_e32 v0, 20, v0
	v_and_b32_e32 v2, 0x80000000, v2
	v_lshl_add_u32 v1, v1, 23, v4
	v_or3_b32 v0, v2, v1, v0
.LBB6_4924:                             ;   in Loop: Header=BB6_4406 Depth=4
	s_or_b64 exec, exec, s[34:35]
.LBB6_4925:                             ;   in Loop: Header=BB6_4406 Depth=4
	s_or_b64 exec, exec, s[30:31]
.LBB6_4926:                             ;   in Loop: Header=BB6_4406 Depth=4
	s_or_b64 exec, exec, s[28:29]
	v_mul_f32_e32 v2, v14, v0
	v_and_b32_e32 v50, 0x7f800000, v2
	v_cmp_ne_u64_e32 vcc, s[76:77], v[50:51]
                                        ; implicit-def: $vgpr0
                                        ; kill: killed $vgpr0
	s_and_saveexec_b64 s[28:29], vcc
	s_xor_b64 s[30:31], exec, s[28:29]
	s_cbranch_execz .LBB6_4940
; %bb.4927:                             ;   in Loop: Header=BB6_4406 Depth=4
	v_and_b32_e32 v50, 0x7fffffff, v2
	v_cmp_gt_u64_e32 vcc, s[78:79], v[50:51]
	v_and_b32_sdwa v1, v2, s96 dst_sel:DWORD dst_unused:UNUSED_PAD src0_sel:BYTE_3 src1_sel:DWORD
                                        ; implicit-def: $vgpr0
                                        ; kill: killed $vgpr0
	s_and_saveexec_b64 s[28:29], vcc
	s_xor_b64 s[34:35], exec, s[28:29]
	s_cbranch_execz .LBB6_4937
; %bb.4928:                             ;   in Loop: Header=BB6_4406 Depth=4
	v_mov_b32_e32 v0, 0
	v_cmp_ne_u32_e32 vcc, 0, v2
	buffer_store_dword v0, off, s[0:3], s33 offset:268 ; 4-byte Folded Spill
	s_and_saveexec_b64 s[36:37], vcc
	s_cbranch_execz .LBB6_4936
; %bb.4929:                             ;   in Loop: Header=BB6_4406 Depth=4
	v_bfe_u32 v0, v2, 23, 8
	v_and_b32_e32 v4, 0x7fffff, v2
	v_cmp_gt_u32_e64 s[28:29], s97, v0
	v_sub_u32_e32 v2, 0x79, v0
	v_cmp_eq_u32_e32 vcc, 0, v0
	v_cndmask_b32_e64 v2, 0, v2, s[28:29]
	v_mov_b32_e32 v6, 0x78
	v_or_b32_e32 v5, 0x800000, v4
	v_cndmask_b32_e32 v2, v2, v6, vcc
	v_cndmask_b32_e32 v50, v5, v4, vcc
	v_add_u32_e32 v4, 20, v2
	v_lshlrev_b64 v[4:5], v4, -1
	v_add_u32_e32 v6, 19, v2
	v_lshlrev_b64 v[8:9], v6, 1
	v_bfi_b32 v5, v5, 0, 0
	v_bfi_b32 v4, v4, 0, v50
	v_cmp_eq_u64_e64 s[28:29], v[4:5], v[8:9]
	v_lshrrev_b64 v[8:9], v2, v[50:51]
	v_mov_b32_e32 v4, v8
	v_mov_b32_e32 v5, v9
	s_and_saveexec_b64 s[38:39], s[28:29]
; %bb.4930:                             ;   in Loop: Header=BB6_4406 Depth=4
	v_bfe_u32 v4, v8, 20, 1
	v_add_co_u32_e64 v4, s[28:29], v8, v4
	v_add_co_u32_e64 v4, s[28:29], -1, v4
; %bb.4931:                             ;   in Loop: Header=BB6_4406 Depth=4
	s_or_b64 exec, exec, s[38:39]
	v_add_u32_e32 v0, 0xffffff81, v0
	v_mov_b32_e32 v5, 0xffffff82
	v_cndmask_b32_e32 v0, v0, v5, vcc
	v_lshrrev_b32_e32 v5, 23, v8
	v_add3_u32 v5, v2, v0, v5
	v_add_u32_e32 v2, 6, v5
	v_and_b32_e32 v0, 0xfffff, v4
	v_add_u32_e32 v50, v0, v8
	v_cmp_ne_u32_e32 vcc, 0, v2
                                        ; implicit-def: $vgpr8_vgpr9
                                        ; implicit-def: $vgpr0
	s_and_saveexec_b64 s[28:29], vcc
	s_xor_b64 s[28:29], exec, s[28:29]
; %bb.4932:                             ;   in Loop: Header=BB6_4406 Depth=4
	v_cmp_lt_u64_e32 vcc, s[88:89], v[50:51]
	v_add_u32_e32 v0, 7, v5
	v_cndmask_b32_e32 v0, v2, v0, vcc
	v_cndmask_b32_e64 v2, 0, 1, vcc
	v_lshrrev_b64 v[8:9], v2, v[50:51]
; %bb.4933:                             ;   in Loop: Header=BB6_4406 Depth=4
	s_andn2_saveexec_b64 s[28:29], s[28:29]
; %bb.4934:                             ;   in Loop: Header=BB6_4406 Depth=4
	v_mov_b32_e32 v8, v50
	v_bfe_u32 v0, v50, 23, 1
	v_mov_b32_e32 v9, v51
; %bb.4935:                             ;   in Loop: Header=BB6_4406 Depth=4
	s_or_b64 exec, exec, s[28:29]
	v_lshrrev_b64 v[4:5], 20, v[8:9]
	v_cmp_gt_i32_e32 vcc, 16, v0
	v_cndmask_b32_e32 v5, 0, v5, vcc
	v_cndmask_b32_e32 v4, 7, v4, vcc
	v_cmp_eq_u32_e32 vcc, 0, v0
	v_min_i32_e32 v0, 15, v0
	v_cmp_eq_u64_e64 s[28:29], 0, v[4:5]
	v_lshlrev_b32_e32 v0, 3, v0
	v_and_b32_e32 v0, 0xf8, v0
	v_and_or_b32 v0, v4, 7, v0
	s_and_b64 s[28:29], vcc, s[28:29]
	v_cndmask_b32_e64 v0, v0, 0, s[28:29]
	v_or_b32_e32 v0, v0, v1
	buffer_store_dword v0, off, s[0:3], s33 offset:268 ; 4-byte Folded Spill
.LBB6_4936:                             ;   in Loop: Header=BB6_4406 Depth=4
	s_or_b64 exec, exec, s[36:37]
                                        ; implicit-def: $vgpr1
.LBB6_4937:                             ;   in Loop: Header=BB6_4406 Depth=4
	s_andn2_saveexec_b64 s[28:29], s[34:35]
	s_cbranch_execz .LBB6_4939
; %bb.4938:                             ;   in Loop: Header=BB6_4406 Depth=4
	v_or_b32_e32 v0, 0x7e, v1
	buffer_store_dword v0, off, s[0:3], s33 offset:268 ; 4-byte Folded Spill
.LBB6_4939:                             ;   in Loop: Header=BB6_4406 Depth=4
	s_or_b64 exec, exec, s[28:29]
                                        ; implicit-def: $vgpr2
.LBB6_4940:                             ;   in Loop: Header=BB6_4406 Depth=4
	s_andn2_saveexec_b64 s[28:29], s[30:31]
	s_cbranch_execz .LBB6_4942
; %bb.4941:                             ;   in Loop: Header=BB6_4406 Depth=4
	v_or_b32_sdwa v0, v2, s86 dst_sel:DWORD dst_unused:UNUSED_PAD src0_sel:BYTE_3 src1_sel:DWORD
	buffer_store_dword v0, off, s[0:3], s33 offset:268 ; 4-byte Folded Spill
.LBB6_4942:                             ;   in Loop: Header=BB6_4406 Depth=4
	s_or_b64 exec, exec, s[28:29]
	v_cmp_ne_u16_sdwa vcc, v10, v51 src0_sel:BYTE_0 src1_sel:DWORD
	v_mov_b32_e32 v1, 0
	s_and_saveexec_b64 s[28:29], vcc
	s_cbranch_execz .LBB6_4948
; %bb.4943:                             ;   in Loop: Header=BB6_4406 Depth=4
	v_cmp_ne_u16_sdwa vcc, v10, s96 src0_sel:BYTE_0 src1_sel:DWORD
	v_bfrev_b32_e32 v1, 1
	s_and_saveexec_b64 s[30:31], vcc
	s_cbranch_execz .LBB6_4947
; %bb.4944:                             ;   in Loop: Header=BB6_4406 Depth=4
	v_and_b32_e32 v2, 0x7f, v10
	v_cmp_ne_u32_e32 vcc, s86, v2
	v_mov_b32_e32 v1, 0x7f800001
	s_and_saveexec_b64 s[34:35], vcc
	s_cbranch_execz .LBB6_4946
; %bb.4945:                             ;   in Loop: Header=BB6_4406 Depth=4
	v_and_b32_e32 v1, 7, v10
	v_ffbh_u32_e32 v1, v1
	v_min_u32_e32 v1, 32, v1
	v_lshrrev_b32_e32 v4, 3, v2
	v_cmp_gt_u32_e32 vcc, 8, v2
	v_subrev_u32_e32 v2, 28, v1
	v_sub_u32_e32 v1, 29, v1
	v_cndmask_b32_e32 v4, v4, v1, vcc
	v_cndmask_b32_e32 v1, 0, v2, vcc
	v_lshlrev_b64 v[1:2], v1, v[10:11]
	v_lshlrev_b32_e32 v2, 24, v10
	v_lshlrev_b32_e32 v1, 20, v1
	v_bfrev_b32_e32 v5, 60
	v_and_b32_e32 v1, 0x700000, v1
	v_and_b32_e32 v2, 0x80000000, v2
	v_lshl_add_u32 v4, v4, 23, v5
	v_or3_b32 v1, v2, v4, v1
.LBB6_4946:                             ;   in Loop: Header=BB6_4406 Depth=4
	s_or_b64 exec, exec, s[34:35]
.LBB6_4947:                             ;   in Loop: Header=BB6_4406 Depth=4
	s_or_b64 exec, exec, s[30:31]
.LBB6_4948:                             ;   in Loop: Header=BB6_4406 Depth=4
	s_or_b64 exec, exec, s[28:29]
	v_mul_f32_e32 v4, v14, v1
	v_and_b32_e32 v50, 0x7f800000, v4
	v_cmp_ne_u64_e32 vcc, s[76:77], v[50:51]
                                        ; implicit-def: $vgpr2
	s_and_saveexec_b64 s[28:29], vcc
	s_xor_b64 s[30:31], exec, s[28:29]
	s_cbranch_execz .LBB6_4962
; %bb.4949:                             ;   in Loop: Header=BB6_4406 Depth=4
	v_and_b32_e32 v50, 0x7fffffff, v4
	v_cmp_gt_u64_e32 vcc, s[78:79], v[50:51]
	v_and_b32_sdwa v1, v4, s96 dst_sel:DWORD dst_unused:UNUSED_PAD src0_sel:BYTE_3 src1_sel:DWORD
                                        ; implicit-def: $vgpr2
	s_and_saveexec_b64 s[28:29], vcc
	s_xor_b64 s[34:35], exec, s[28:29]
	s_cbranch_execz .LBB6_4959
; %bb.4950:                             ;   in Loop: Header=BB6_4406 Depth=4
	v_mov_b32_e32 v2, 0
	v_cmp_ne_u32_e32 vcc, 0, v4
	s_and_saveexec_b64 s[36:37], vcc
	s_cbranch_execz .LBB6_4958
; %bb.4951:                             ;   in Loop: Header=BB6_4406 Depth=4
	v_bfe_u32 v2, v4, 23, 8
	v_and_b32_e32 v5, 0x7fffff, v4
	v_cmp_gt_u32_e64 s[28:29], s97, v2
	v_sub_u32_e32 v4, 0x79, v2
	v_cmp_eq_u32_e32 vcc, 0, v2
	v_cndmask_b32_e64 v4, 0, v4, s[28:29]
	v_mov_b32_e32 v6, 0x78
	v_cndmask_b32_e32 v6, v4, v6, vcc
	v_or_b32_e32 v8, 0x800000, v5
	v_add_u32_e32 v4, 20, v6
	v_cndmask_b32_e32 v50, v8, v5, vcc
	v_lshlrev_b64 v[4:5], v4, -1
	v_add_u32_e32 v8, 19, v6
	v_lshlrev_b64 v[8:9], v8, 1
	v_bfi_b32 v5, v5, 0, 0
	v_bfi_b32 v4, v4, 0, v50
	v_cmp_eq_u64_e64 s[28:29], v[4:5], v[8:9]
	v_lshrrev_b64 v[8:9], v6, v[50:51]
	v_mov_b32_e32 v4, v8
	v_mov_b32_e32 v5, v9
	s_and_saveexec_b64 s[38:39], s[28:29]
; %bb.4952:                             ;   in Loop: Header=BB6_4406 Depth=4
	v_bfe_u32 v4, v8, 20, 1
	v_add_co_u32_e64 v4, s[28:29], v8, v4
	v_add_co_u32_e64 v4, s[28:29], -1, v4
; %bb.4953:                             ;   in Loop: Header=BB6_4406 Depth=4
	s_or_b64 exec, exec, s[38:39]
	v_add_u32_e32 v2, 0xffffff81, v2
	v_mov_b32_e32 v5, 0xffffff82
	v_cndmask_b32_e32 v2, v2, v5, vcc
	v_lshrrev_b32_e32 v5, 23, v8
	v_add3_u32 v6, v6, v2, v5
	v_add_u32_e32 v5, 6, v6
	v_and_b32_e32 v2, 0xfffff, v4
	v_add_u32_e32 v50, v2, v8
	v_cmp_ne_u32_e32 vcc, 0, v5
                                        ; implicit-def: $vgpr8_vgpr9
                                        ; implicit-def: $vgpr2
	s_and_saveexec_b64 s[28:29], vcc
	s_xor_b64 s[28:29], exec, s[28:29]
; %bb.4954:                             ;   in Loop: Header=BB6_4406 Depth=4
	v_cmp_lt_u64_e32 vcc, s[88:89], v[50:51]
	v_add_u32_e32 v2, 7, v6
	v_cndmask_b32_e64 v4, 0, 1, vcc
	v_lshrrev_b64 v[8:9], v4, v[50:51]
	v_cndmask_b32_e32 v2, v5, v2, vcc
; %bb.4955:                             ;   in Loop: Header=BB6_4406 Depth=4
	s_andn2_saveexec_b64 s[28:29], s[28:29]
; %bb.4956:                             ;   in Loop: Header=BB6_4406 Depth=4
	v_mov_b32_e32 v8, v50
	v_bfe_u32 v2, v50, 23, 1
	v_mov_b32_e32 v9, v51
; %bb.4957:                             ;   in Loop: Header=BB6_4406 Depth=4
	s_or_b64 exec, exec, s[28:29]
	v_lshrrev_b64 v[4:5], 20, v[8:9]
	v_cmp_gt_i32_e32 vcc, 16, v2
	v_cndmask_b32_e32 v5, 0, v5, vcc
	v_cndmask_b32_e32 v4, 7, v4, vcc
	v_cmp_eq_u32_e32 vcc, 0, v2
	v_min_i32_e32 v2, 15, v2
	v_cmp_eq_u64_e64 s[28:29], 0, v[4:5]
	v_lshlrev_b32_e32 v2, 3, v2
	v_and_b32_e32 v2, 0xf8, v2
	v_and_or_b32 v2, v4, 7, v2
	s_and_b64 s[28:29], vcc, s[28:29]
	v_cndmask_b32_e64 v2, v2, 0, s[28:29]
	v_or_b32_e32 v2, v2, v1
.LBB6_4958:                             ;   in Loop: Header=BB6_4406 Depth=4
	s_or_b64 exec, exec, s[36:37]
                                        ; implicit-def: $vgpr1
.LBB6_4959:                             ;   in Loop: Header=BB6_4406 Depth=4
	s_andn2_saveexec_b64 s[28:29], s[34:35]
; %bb.4960:                             ;   in Loop: Header=BB6_4406 Depth=4
	v_or_b32_e32 v2, 0x7e, v1
; %bb.4961:                             ;   in Loop: Header=BB6_4406 Depth=4
	s_or_b64 exec, exec, s[28:29]
                                        ; implicit-def: $vgpr4
.LBB6_4962:                             ;   in Loop: Header=BB6_4406 Depth=4
	s_andn2_saveexec_b64 s[28:29], s[30:31]
; %bb.4963:                             ;   in Loop: Header=BB6_4406 Depth=4
	v_or_b32_sdwa v2, v4, s86 dst_sel:DWORD dst_unused:UNUSED_PAD src0_sel:BYTE_3 src1_sel:DWORD
; %bb.4964:                             ;   in Loop: Header=BB6_4406 Depth=4
	s_or_b64 exec, exec, s[28:29]
	v_lshrrev_b16_e32 v8, 8, v10
	v_cmp_ne_u16_e32 vcc, 0, v8
	v_mov_b32_e32 v1, 0
	s_and_saveexec_b64 s[28:29], vcc
	s_cbranch_execz .LBB6_4970
; %bb.4965:                             ;   in Loop: Header=BB6_4406 Depth=4
	v_cmp_ne_u16_e32 vcc, s96, v8
	v_bfrev_b32_e32 v1, 1
	s_and_saveexec_b64 s[30:31], vcc
	s_cbranch_execz .LBB6_4969
; %bb.4966:                             ;   in Loop: Header=BB6_4406 Depth=4
	v_and_b32_e32 v4, 0x7f, v8
	v_cmp_ne_u32_e32 vcc, s86, v4
	v_mov_b32_e32 v1, 0x7f800001
	s_and_saveexec_b64 s[34:35], vcc
	s_cbranch_execz .LBB6_4968
; %bb.4967:                             ;   in Loop: Header=BB6_4406 Depth=4
	v_and_b32_e32 v1, 7, v8
	v_lshrrev_b32_e32 v6, 3, v4
	v_cmp_gt_u32_e32 vcc, 8, v4
	v_ffbh_u32_e32 v4, v1
	v_min_u32_e32 v9, 32, v4
	v_subrev_u32_e32 v4, 28, v9
	v_lshlrev_b64 v[4:5], v4, v[8:9]
	v_sub_u32_e32 v5, 29, v9
	v_and_b32_e32 v4, 7, v4
	v_cndmask_b32_e32 v5, v6, v5, vcc
	v_cndmask_b32_e32 v1, v1, v4, vcc
	v_lshlrev_b32_e32 v4, 16, v10
	v_bfrev_b32_e32 v6, 60
	v_lshlrev_b32_e32 v1, 20, v1
	v_and_b32_e32 v4, 0x80000000, v4
	v_lshl_add_u32 v5, v5, 23, v6
	v_or3_b32 v1, v4, v5, v1
.LBB6_4968:                             ;   in Loop: Header=BB6_4406 Depth=4
	s_or_b64 exec, exec, s[34:35]
.LBB6_4969:                             ;   in Loop: Header=BB6_4406 Depth=4
	s_or_b64 exec, exec, s[30:31]
.LBB6_4970:                             ;   in Loop: Header=BB6_4406 Depth=4
	s_or_b64 exec, exec, s[28:29]
	v_mul_f32_e32 v4, v14, v1
	v_and_b32_e32 v50, 0x7f800000, v4
	v_cmp_ne_u64_e32 vcc, s[76:77], v[50:51]
                                        ; implicit-def: $vgpr0
                                        ; kill: killed $vgpr0
	s_and_saveexec_b64 s[28:29], vcc
	s_xor_b64 s[30:31], exec, s[28:29]
	s_cbranch_execz .LBB6_4984
; %bb.4971:                             ;   in Loop: Header=BB6_4406 Depth=4
	v_and_b32_e32 v50, 0x7fffffff, v4
	v_cmp_gt_u64_e32 vcc, s[78:79], v[50:51]
	v_and_b32_sdwa v1, v4, s96 dst_sel:DWORD dst_unused:UNUSED_PAD src0_sel:BYTE_3 src1_sel:DWORD
                                        ; implicit-def: $vgpr0
                                        ; kill: killed $vgpr0
	s_and_saveexec_b64 s[28:29], vcc
	s_xor_b64 s[34:35], exec, s[28:29]
	s_cbranch_execz .LBB6_4981
; %bb.4972:                             ;   in Loop: Header=BB6_4406 Depth=4
	v_mov_b32_e32 v0, 0
	v_cmp_ne_u32_e32 vcc, 0, v4
	buffer_store_dword v0, off, s[0:3], s33 offset:216 ; 4-byte Folded Spill
	s_and_saveexec_b64 s[36:37], vcc
	s_cbranch_execz .LBB6_4980
; %bb.4973:                             ;   in Loop: Header=BB6_4406 Depth=4
	v_bfe_u32 v6, v4, 23, 8
	v_and_b32_e32 v5, 0x7fffff, v4
	v_cmp_gt_u32_e64 s[28:29], s97, v6
	v_sub_u32_e32 v4, 0x79, v6
	v_cmp_eq_u32_e32 vcc, 0, v6
	v_cndmask_b32_e64 v4, 0, v4, s[28:29]
	v_mov_b32_e32 v9, 0x78
	v_cndmask_b32_e32 v12, v4, v9, vcc
	v_or_b32_e32 v8, 0x800000, v5
	v_add_u32_e32 v4, 20, v12
	v_cndmask_b32_e32 v50, v8, v5, vcc
	v_lshlrev_b64 v[4:5], v4, -1
	v_add_u32_e32 v8, 19, v12
	v_lshlrev_b64 v[8:9], v8, 1
	v_bfi_b32 v5, v5, 0, 0
	v_bfi_b32 v4, v4, 0, v50
	v_cmp_eq_u64_e64 s[28:29], v[4:5], v[8:9]
	v_lshrrev_b64 v[8:9], v12, v[50:51]
	v_mov_b32_e32 v4, v8
	v_mov_b32_e32 v5, v9
	s_and_saveexec_b64 s[38:39], s[28:29]
; %bb.4974:                             ;   in Loop: Header=BB6_4406 Depth=4
	v_bfe_u32 v4, v8, 20, 1
	v_add_co_u32_e64 v4, s[28:29], v8, v4
	v_add_co_u32_e64 v4, s[28:29], -1, v4
; %bb.4975:                             ;   in Loop: Header=BB6_4406 Depth=4
	s_or_b64 exec, exec, s[38:39]
	v_add_u32_e32 v5, 0xffffff81, v6
	v_mov_b32_e32 v6, 0xffffff82
	v_cndmask_b32_e32 v5, v5, v6, vcc
	v_lshrrev_b32_e32 v6, 23, v8
	v_add3_u32 v6, v12, v5, v6
	v_add_u32_e32 v5, 6, v6
	v_and_b32_e32 v4, 0xfffff, v4
	v_add_u32_e32 v50, v4, v8
	v_cmp_ne_u32_e32 vcc, 0, v5
                                        ; implicit-def: $vgpr8_vgpr9
                                        ; implicit-def: $vgpr4
	s_and_saveexec_b64 s[28:29], vcc
	s_xor_b64 s[28:29], exec, s[28:29]
; %bb.4976:                             ;   in Loop: Header=BB6_4406 Depth=4
	v_cmp_lt_u64_e32 vcc, s[88:89], v[50:51]
	v_add_u32_e32 v4, 7, v6
	v_cndmask_b32_e32 v4, v5, v4, vcc
	v_cndmask_b32_e64 v5, 0, 1, vcc
	v_lshrrev_b64 v[8:9], v5, v[50:51]
; %bb.4977:                             ;   in Loop: Header=BB6_4406 Depth=4
	s_andn2_saveexec_b64 s[28:29], s[28:29]
; %bb.4978:                             ;   in Loop: Header=BB6_4406 Depth=4
	v_mov_b32_e32 v8, v50
	v_bfe_u32 v4, v50, 23, 1
	v_mov_b32_e32 v9, v51
; %bb.4979:                             ;   in Loop: Header=BB6_4406 Depth=4
	s_or_b64 exec, exec, s[28:29]
	v_lshrrev_b64 v[5:6], 20, v[8:9]
	v_cmp_gt_i32_e32 vcc, 16, v4
	v_cndmask_b32_e32 v6, 0, v6, vcc
	v_cndmask_b32_e32 v5, 7, v5, vcc
	v_cmp_eq_u32_e32 vcc, 0, v4
	v_min_i32_e32 v4, 15, v4
	v_cmp_eq_u64_e64 s[28:29], 0, v[5:6]
	v_lshlrev_b32_e32 v4, 3, v4
	v_and_b32_e32 v4, 0xf8, v4
	v_and_or_b32 v4, v5, 7, v4
	s_and_b64 s[28:29], vcc, s[28:29]
	v_cndmask_b32_e64 v4, v4, 0, s[28:29]
	v_or_b32_e32 v0, v4, v1
	buffer_store_dword v0, off, s[0:3], s33 offset:216 ; 4-byte Folded Spill
.LBB6_4980:                             ;   in Loop: Header=BB6_4406 Depth=4
	s_or_b64 exec, exec, s[36:37]
                                        ; implicit-def: $vgpr1
.LBB6_4981:                             ;   in Loop: Header=BB6_4406 Depth=4
	s_andn2_saveexec_b64 s[28:29], s[34:35]
	s_cbranch_execz .LBB6_4983
; %bb.4982:                             ;   in Loop: Header=BB6_4406 Depth=4
	v_or_b32_e32 v0, 0x7e, v1
	buffer_store_dword v0, off, s[0:3], s33 offset:216 ; 4-byte Folded Spill
.LBB6_4983:                             ;   in Loop: Header=BB6_4406 Depth=4
	s_or_b64 exec, exec, s[28:29]
                                        ; implicit-def: $vgpr4
.LBB6_4984:                             ;   in Loop: Header=BB6_4406 Depth=4
	s_andn2_saveexec_b64 s[28:29], s[30:31]
	s_cbranch_execz .LBB6_4986
; %bb.4985:                             ;   in Loop: Header=BB6_4406 Depth=4
	v_or_b32_sdwa v0, v4, s86 dst_sel:DWORD dst_unused:UNUSED_PAD src0_sel:BYTE_3 src1_sel:DWORD
	buffer_store_dword v0, off, s[0:3], s33 offset:216 ; 4-byte Folded Spill
.LBB6_4986:                             ;   in Loop: Header=BB6_4406 Depth=4
	s_or_b64 exec, exec, s[28:29]
	v_lshrrev_b32_e32 v8, 16, v10
	v_cmp_ne_u16_sdwa vcc, v8, v51 src0_sel:BYTE_0 src1_sel:DWORD
	v_mov_b32_e32 v1, 0
	s_and_saveexec_b64 s[28:29], vcc
	s_cbranch_execz .LBB6_4992
; %bb.4987:                             ;   in Loop: Header=BB6_4406 Depth=4
	v_cmp_ne_u16_sdwa vcc, v8, s96 src0_sel:BYTE_0 src1_sel:DWORD
	v_bfrev_b32_e32 v1, 1
	s_and_saveexec_b64 s[30:31], vcc
	s_cbranch_execz .LBB6_4991
; %bb.4988:                             ;   in Loop: Header=BB6_4406 Depth=4
	v_bfe_u32 v4, v10, 16, 7
	v_cmp_ne_u32_e32 vcc, s86, v4
	v_mov_b32_e32 v1, 0x7f800001
	s_and_saveexec_b64 s[34:35], vcc
	s_cbranch_execz .LBB6_4990
; %bb.4989:                             ;   in Loop: Header=BB6_4406 Depth=4
	v_and_b32_e32 v1, 7, v8
	v_lshrrev_b32_e32 v6, 3, v4
	v_cmp_gt_u32_e32 vcc, 8, v4
	v_ffbh_u32_e32 v4, v1
	v_min_u32_e32 v9, 32, v4
	v_subrev_u32_e32 v4, 28, v9
	v_lshlrev_b64 v[4:5], v4, v[8:9]
	v_sub_u32_e32 v5, 29, v9
	v_and_b32_e32 v4, 7, v4
	v_cndmask_b32_e32 v5, v6, v5, vcc
	v_cndmask_b32_e32 v1, v1, v4, vcc
	v_lshlrev_b32_e32 v4, 24, v8
	v_bfrev_b32_e32 v6, 60
	v_lshlrev_b32_e32 v1, 20, v1
	v_and_b32_e32 v4, 0x80000000, v4
	v_lshl_add_u32 v5, v5, 23, v6
	v_or3_b32 v1, v4, v5, v1
.LBB6_4990:                             ;   in Loop: Header=BB6_4406 Depth=4
	s_or_b64 exec, exec, s[34:35]
.LBB6_4991:                             ;   in Loop: Header=BB6_4406 Depth=4
	s_or_b64 exec, exec, s[30:31]
.LBB6_4992:                             ;   in Loop: Header=BB6_4406 Depth=4
	s_or_b64 exec, exec, s[28:29]
	v_mul_f32_e32 v4, v14, v1
	v_and_b32_e32 v50, 0x7f800000, v4
	v_cmp_ne_u64_e32 vcc, s[76:77], v[50:51]
                                        ; implicit-def: $vgpr0
                                        ; kill: killed $vgpr0
	s_and_saveexec_b64 s[28:29], vcc
	s_xor_b64 s[30:31], exec, s[28:29]
	s_cbranch_execz .LBB6_5006
; %bb.4993:                             ;   in Loop: Header=BB6_4406 Depth=4
	v_and_b32_e32 v50, 0x7fffffff, v4
	v_cmp_gt_u64_e32 vcc, s[78:79], v[50:51]
	v_and_b32_sdwa v1, v4, s96 dst_sel:DWORD dst_unused:UNUSED_PAD src0_sel:BYTE_3 src1_sel:DWORD
                                        ; implicit-def: $vgpr0
                                        ; kill: killed $vgpr0
	s_and_saveexec_b64 s[28:29], vcc
	s_xor_b64 s[34:35], exec, s[28:29]
	s_cbranch_execz .LBB6_5003
; %bb.4994:                             ;   in Loop: Header=BB6_4406 Depth=4
	v_mov_b32_e32 v0, 0
	v_cmp_ne_u32_e32 vcc, 0, v4
	buffer_store_dword v0, off, s[0:3], s33 offset:236 ; 4-byte Folded Spill
	s_and_saveexec_b64 s[36:37], vcc
	s_cbranch_execz .LBB6_5002
; %bb.4995:                             ;   in Loop: Header=BB6_4406 Depth=4
	v_bfe_u32 v6, v4, 23, 8
	v_and_b32_e32 v5, 0x7fffff, v4
	v_cmp_gt_u32_e64 s[28:29], s97, v6
	v_sub_u32_e32 v4, 0x79, v6
	v_cmp_eq_u32_e32 vcc, 0, v6
	v_cndmask_b32_e64 v4, 0, v4, s[28:29]
	v_mov_b32_e32 v9, 0x78
	v_cndmask_b32_e32 v12, v4, v9, vcc
	v_or_b32_e32 v8, 0x800000, v5
	v_add_u32_e32 v4, 20, v12
	v_cndmask_b32_e32 v50, v8, v5, vcc
	v_lshlrev_b64 v[4:5], v4, -1
	v_add_u32_e32 v8, 19, v12
	v_lshlrev_b64 v[8:9], v8, 1
	v_bfi_b32 v5, v5, 0, 0
	v_bfi_b32 v4, v4, 0, v50
	v_cmp_eq_u64_e64 s[28:29], v[4:5], v[8:9]
	v_lshrrev_b64 v[8:9], v12, v[50:51]
	v_mov_b32_e32 v4, v8
	v_mov_b32_e32 v5, v9
	s_and_saveexec_b64 s[38:39], s[28:29]
; %bb.4996:                             ;   in Loop: Header=BB6_4406 Depth=4
	v_bfe_u32 v4, v8, 20, 1
	v_add_co_u32_e64 v4, s[28:29], v8, v4
	v_add_co_u32_e64 v4, s[28:29], -1, v4
; %bb.4997:                             ;   in Loop: Header=BB6_4406 Depth=4
	s_or_b64 exec, exec, s[38:39]
	v_add_u32_e32 v5, 0xffffff81, v6
	v_mov_b32_e32 v6, 0xffffff82
	v_cndmask_b32_e32 v5, v5, v6, vcc
	v_lshrrev_b32_e32 v6, 23, v8
	v_add3_u32 v6, v12, v5, v6
	v_add_u32_e32 v5, 6, v6
	v_and_b32_e32 v4, 0xfffff, v4
	v_add_u32_e32 v50, v4, v8
	v_cmp_ne_u32_e32 vcc, 0, v5
                                        ; implicit-def: $vgpr8_vgpr9
                                        ; implicit-def: $vgpr4
	s_and_saveexec_b64 s[28:29], vcc
	s_xor_b64 s[28:29], exec, s[28:29]
; %bb.4998:                             ;   in Loop: Header=BB6_4406 Depth=4
	v_cmp_lt_u64_e32 vcc, s[88:89], v[50:51]
	v_add_u32_e32 v4, 7, v6
	v_cndmask_b32_e32 v4, v5, v4, vcc
	v_cndmask_b32_e64 v5, 0, 1, vcc
	v_lshrrev_b64 v[8:9], v5, v[50:51]
; %bb.4999:                             ;   in Loop: Header=BB6_4406 Depth=4
	s_andn2_saveexec_b64 s[28:29], s[28:29]
; %bb.5000:                             ;   in Loop: Header=BB6_4406 Depth=4
	v_mov_b32_e32 v8, v50
	v_bfe_u32 v4, v50, 23, 1
	v_mov_b32_e32 v9, v51
; %bb.5001:                             ;   in Loop: Header=BB6_4406 Depth=4
	s_or_b64 exec, exec, s[28:29]
	v_lshrrev_b64 v[5:6], 20, v[8:9]
	v_cmp_gt_i32_e32 vcc, 16, v4
	v_cndmask_b32_e32 v6, 0, v6, vcc
	v_cndmask_b32_e32 v5, 7, v5, vcc
	v_cmp_eq_u32_e32 vcc, 0, v4
	v_min_i32_e32 v4, 15, v4
	v_cmp_eq_u64_e64 s[28:29], 0, v[5:6]
	v_lshlrev_b32_e32 v4, 3, v4
	v_and_b32_e32 v4, 0xf8, v4
	v_and_or_b32 v4, v5, 7, v4
	s_and_b64 s[28:29], vcc, s[28:29]
	v_cndmask_b32_e64 v4, v4, 0, s[28:29]
	v_or_b32_e32 v0, v4, v1
	buffer_store_dword v0, off, s[0:3], s33 offset:236 ; 4-byte Folded Spill
.LBB6_5002:                             ;   in Loop: Header=BB6_4406 Depth=4
	s_or_b64 exec, exec, s[36:37]
                                        ; implicit-def: $vgpr1
.LBB6_5003:                             ;   in Loop: Header=BB6_4406 Depth=4
	s_andn2_saveexec_b64 s[28:29], s[34:35]
	s_cbranch_execz .LBB6_5005
; %bb.5004:                             ;   in Loop: Header=BB6_4406 Depth=4
	v_or_b32_e32 v0, 0x7e, v1
	buffer_store_dword v0, off, s[0:3], s33 offset:236 ; 4-byte Folded Spill
.LBB6_5005:                             ;   in Loop: Header=BB6_4406 Depth=4
	s_or_b64 exec, exec, s[28:29]
                                        ; implicit-def: $vgpr4
.LBB6_5006:                             ;   in Loop: Header=BB6_4406 Depth=4
	s_andn2_saveexec_b64 s[28:29], s[30:31]
	s_cbranch_execz .LBB6_5008
; %bb.5007:                             ;   in Loop: Header=BB6_4406 Depth=4
	v_or_b32_sdwa v0, v4, s86 dst_sel:DWORD dst_unused:UNUSED_PAD src0_sel:BYTE_3 src1_sel:DWORD
	buffer_store_dword v0, off, s[0:3], s33 offset:236 ; 4-byte Folded Spill
.LBB6_5008:                             ;   in Loop: Header=BB6_4406 Depth=4
	s_or_b64 exec, exec, s[28:29]
	v_cmp_lt_u32_e32 vcc, s57, v10
	v_mov_b32_e32 v1, 0
	s_and_saveexec_b64 s[28:29], vcc
	s_cbranch_execz .LBB6_5014
; %bb.5009:                             ;   in Loop: Header=BB6_4406 Depth=4
	v_lshrrev_b32_e32 v8, 24, v10
	v_cmp_ne_u32_e32 vcc, s96, v8
	v_bfrev_b32_e32 v1, 1
	s_and_saveexec_b64 s[30:31], vcc
	s_cbranch_execz .LBB6_5013
; %bb.5010:                             ;   in Loop: Header=BB6_4406 Depth=4
	v_bfe_u32 v4, v10, 24, 7
	v_cmp_ne_u32_e32 vcc, s86, v4
	v_mov_b32_e32 v1, 0x7f800001
	s_and_saveexec_b64 s[34:35], vcc
	s_cbranch_execz .LBB6_5012
; %bb.5011:                             ;   in Loop: Header=BB6_4406 Depth=4
	v_and_b32_e32 v1, 7, v8
	v_lshrrev_b32_e32 v6, 3, v4
	v_cmp_gt_u32_e32 vcc, 8, v4
	v_ffbh_u32_e32 v4, v1
	v_min_u32_e32 v9, 32, v4
	v_subrev_u32_e32 v4, 28, v9
	v_lshlrev_b64 v[4:5], v4, v[8:9]
	v_sub_u32_e32 v5, 29, v9
	v_and_b32_e32 v4, 7, v4
	v_cndmask_b32_e32 v5, v6, v5, vcc
	v_cndmask_b32_e32 v1, v1, v4, vcc
	v_lshlrev_b32_e32 v4, 24, v8
	v_bfrev_b32_e32 v6, 60
	v_lshlrev_b32_e32 v1, 20, v1
	v_and_b32_e32 v4, 0x80000000, v4
	v_lshl_add_u32 v5, v5, 23, v6
	v_or3_b32 v1, v4, v5, v1
.LBB6_5012:                             ;   in Loop: Header=BB6_4406 Depth=4
	s_or_b64 exec, exec, s[34:35]
.LBB6_5013:                             ;   in Loop: Header=BB6_4406 Depth=4
	s_or_b64 exec, exec, s[30:31]
.LBB6_5014:                             ;   in Loop: Header=BB6_4406 Depth=4
	s_or_b64 exec, exec, s[28:29]
	v_mul_f32_e32 v4, v14, v1
	v_and_b32_e32 v50, 0x7f800000, v4
	v_cmp_ne_u64_e32 vcc, s[76:77], v[50:51]
                                        ; implicit-def: $vgpr0
                                        ; kill: killed $vgpr0
	s_and_saveexec_b64 s[28:29], vcc
	s_xor_b64 s[30:31], exec, s[28:29]
	s_cbranch_execz .LBB6_5028
; %bb.5015:                             ;   in Loop: Header=BB6_4406 Depth=4
	v_and_b32_e32 v50, 0x7fffffff, v4
	v_cmp_gt_u64_e32 vcc, s[78:79], v[50:51]
	v_and_b32_sdwa v1, v4, s96 dst_sel:DWORD dst_unused:UNUSED_PAD src0_sel:BYTE_3 src1_sel:DWORD
                                        ; implicit-def: $vgpr0
                                        ; kill: killed $vgpr0
	s_and_saveexec_b64 s[28:29], vcc
	s_xor_b64 s[34:35], exec, s[28:29]
	s_cbranch_execz .LBB6_5025
; %bb.5016:                             ;   in Loop: Header=BB6_4406 Depth=4
	v_mov_b32_e32 v0, 0
	v_cmp_ne_u32_e32 vcc, 0, v4
	buffer_store_dword v0, off, s[0:3], s33 offset:252 ; 4-byte Folded Spill
	s_and_saveexec_b64 s[36:37], vcc
	s_cbranch_execz .LBB6_5024
; %bb.5017:                             ;   in Loop: Header=BB6_4406 Depth=4
	v_bfe_u32 v6, v4, 23, 8
	v_and_b32_e32 v5, 0x7fffff, v4
	v_cmp_gt_u32_e64 s[28:29], s97, v6
	v_sub_u32_e32 v4, 0x79, v6
	v_cmp_eq_u32_e32 vcc, 0, v6
	v_cndmask_b32_e64 v4, 0, v4, s[28:29]
	v_mov_b32_e32 v9, 0x78
	v_cndmask_b32_e32 v12, v4, v9, vcc
	v_or_b32_e32 v8, 0x800000, v5
	v_add_u32_e32 v4, 20, v12
	v_cndmask_b32_e32 v50, v8, v5, vcc
	v_lshlrev_b64 v[4:5], v4, -1
	v_add_u32_e32 v8, 19, v12
	v_lshlrev_b64 v[8:9], v8, 1
	v_bfi_b32 v5, v5, 0, 0
	v_bfi_b32 v4, v4, 0, v50
	v_cmp_eq_u64_e64 s[28:29], v[4:5], v[8:9]
	v_lshrrev_b64 v[8:9], v12, v[50:51]
	v_mov_b32_e32 v4, v8
	v_mov_b32_e32 v5, v9
	s_and_saveexec_b64 s[38:39], s[28:29]
; %bb.5018:                             ;   in Loop: Header=BB6_4406 Depth=4
	v_bfe_u32 v4, v8, 20, 1
	v_add_co_u32_e64 v4, s[28:29], v8, v4
	v_add_co_u32_e64 v4, s[28:29], -1, v4
; %bb.5019:                             ;   in Loop: Header=BB6_4406 Depth=4
	s_or_b64 exec, exec, s[38:39]
	v_add_u32_e32 v5, 0xffffff81, v6
	v_mov_b32_e32 v6, 0xffffff82
	v_cndmask_b32_e32 v5, v5, v6, vcc
	v_lshrrev_b32_e32 v6, 23, v8
	v_add3_u32 v6, v12, v5, v6
	v_add_u32_e32 v5, 6, v6
	v_and_b32_e32 v4, 0xfffff, v4
	v_add_u32_e32 v50, v4, v8
	v_cmp_ne_u32_e32 vcc, 0, v5
                                        ; implicit-def: $vgpr8_vgpr9
                                        ; implicit-def: $vgpr4
	s_and_saveexec_b64 s[28:29], vcc
	s_xor_b64 s[28:29], exec, s[28:29]
; %bb.5020:                             ;   in Loop: Header=BB6_4406 Depth=4
	v_cmp_lt_u64_e32 vcc, s[88:89], v[50:51]
	v_add_u32_e32 v4, 7, v6
	v_cndmask_b32_e32 v4, v5, v4, vcc
	v_cndmask_b32_e64 v5, 0, 1, vcc
	v_lshrrev_b64 v[8:9], v5, v[50:51]
; %bb.5021:                             ;   in Loop: Header=BB6_4406 Depth=4
	s_andn2_saveexec_b64 s[28:29], s[28:29]
; %bb.5022:                             ;   in Loop: Header=BB6_4406 Depth=4
	v_mov_b32_e32 v8, v50
	v_bfe_u32 v4, v50, 23, 1
	v_mov_b32_e32 v9, v51
; %bb.5023:                             ;   in Loop: Header=BB6_4406 Depth=4
	s_or_b64 exec, exec, s[28:29]
	v_lshrrev_b64 v[5:6], 20, v[8:9]
	v_cmp_gt_i32_e32 vcc, 16, v4
	v_cndmask_b32_e32 v6, 0, v6, vcc
	v_cndmask_b32_e32 v5, 7, v5, vcc
	v_cmp_eq_u32_e32 vcc, 0, v4
	v_min_i32_e32 v4, 15, v4
	v_cmp_eq_u64_e64 s[28:29], 0, v[5:6]
	v_lshlrev_b32_e32 v4, 3, v4
	v_and_b32_e32 v4, 0xf8, v4
	v_and_or_b32 v4, v5, 7, v4
	s_and_b64 s[28:29], vcc, s[28:29]
	v_cndmask_b32_e64 v4, v4, 0, s[28:29]
	v_or_b32_e32 v0, v4, v1
	buffer_store_dword v0, off, s[0:3], s33 offset:252 ; 4-byte Folded Spill
.LBB6_5024:                             ;   in Loop: Header=BB6_4406 Depth=4
	s_or_b64 exec, exec, s[36:37]
                                        ; implicit-def: $vgpr1
.LBB6_5025:                             ;   in Loop: Header=BB6_4406 Depth=4
	s_andn2_saveexec_b64 s[28:29], s[34:35]
	s_cbranch_execz .LBB6_5027
; %bb.5026:                             ;   in Loop: Header=BB6_4406 Depth=4
	v_or_b32_e32 v0, 0x7e, v1
	buffer_store_dword v0, off, s[0:3], s33 offset:252 ; 4-byte Folded Spill
.LBB6_5027:                             ;   in Loop: Header=BB6_4406 Depth=4
	s_or_b64 exec, exec, s[28:29]
                                        ; implicit-def: $vgpr4
.LBB6_5028:                             ;   in Loop: Header=BB6_4406 Depth=4
	s_andn2_saveexec_b64 s[28:29], s[30:31]
	s_cbranch_execz .LBB6_5030
; %bb.5029:                             ;   in Loop: Header=BB6_4406 Depth=4
	v_or_b32_sdwa v0, v4, s86 dst_sel:DWORD dst_unused:UNUSED_PAD src0_sel:BYTE_3 src1_sel:DWORD
	buffer_store_dword v0, off, s[0:3], s33 offset:252 ; 4-byte Folded Spill
.LBB6_5030:                             ;   in Loop: Header=BB6_4406 Depth=4
	s_or_b64 exec, exec, s[28:29]
	v_mov_b32_e32 v50, v11
	v_cmp_ne_u16_sdwa vcc, v11, v51 src0_sel:BYTE_0 src1_sel:DWORD
	v_mov_b32_e32 v1, 0
	s_and_saveexec_b64 s[28:29], vcc
	s_cbranch_execz .LBB6_5036
; %bb.5031:                             ;   in Loop: Header=BB6_4406 Depth=4
	v_cmp_ne_u16_sdwa vcc, v11, s96 src0_sel:BYTE_0 src1_sel:DWORD
	v_bfrev_b32_e32 v1, 1
	s_and_saveexec_b64 s[30:31], vcc
	s_cbranch_execz .LBB6_5035
; %bb.5032:                             ;   in Loop: Header=BB6_4406 Depth=4
	v_and_b32_e32 v4, 0x7f, v11
	v_cmp_ne_u32_e32 vcc, s86, v4
	v_mov_b32_e32 v1, 0x7f800001
	s_and_saveexec_b64 s[34:35], vcc
	s_cbranch_execz .LBB6_5034
; %bb.5033:                             ;   in Loop: Header=BB6_4406 Depth=4
	v_and_b32_e32 v1, 7, v11
	v_ffbh_u32_e32 v1, v1
	v_min_u32_e32 v1, 32, v1
	v_lshrrev_b32_e32 v5, 3, v4
	v_cmp_gt_u32_e32 vcc, 8, v4
	v_subrev_u32_e32 v4, 28, v1
	v_sub_u32_e32 v1, 29, v1
	v_cndmask_b32_e32 v4, 0, v4, vcc
	v_cndmask_b32_e32 v1, v5, v1, vcc
	v_lshlrev_b64 v[4:5], v4, v[50:51]
	v_lshlrev_b32_e32 v5, 24, v50
	v_lshlrev_b32_e32 v4, 20, v4
	v_bfrev_b32_e32 v6, 60
	v_and_b32_e32 v4, 0x700000, v4
	v_and_b32_e32 v5, 0x80000000, v5
	v_lshl_add_u32 v1, v1, 23, v6
	v_or3_b32 v1, v5, v1, v4
.LBB6_5034:                             ;   in Loop: Header=BB6_4406 Depth=4
	s_or_b64 exec, exec, s[34:35]
.LBB6_5035:                             ;   in Loop: Header=BB6_4406 Depth=4
	s_or_b64 exec, exec, s[30:31]
.LBB6_5036:                             ;   in Loop: Header=BB6_4406 Depth=4
	s_or_b64 exec, exec, s[28:29]
	v_mul_f32_e32 v4, v14, v1
	v_and_b32_e32 v5, 0x7f800000, v4
	v_mov_b32_e32 v6, v51
	v_cmp_ne_u64_e32 vcc, s[76:77], v[5:6]
                                        ; implicit-def: $vgpr1
	s_and_saveexec_b64 s[28:29], vcc
	s_xor_b64 s[30:31], exec, s[28:29]
	s_cbranch_execz .LBB6_5050
; %bb.5037:                             ;   in Loop: Header=BB6_4406 Depth=4
	v_and_b32_e32 v5, 0x7fffffff, v4
	v_mov_b32_e32 v6, v51
	v_cmp_gt_u64_e32 vcc, s[78:79], v[5:6]
	v_and_b32_sdwa v6, v4, s96 dst_sel:DWORD dst_unused:UNUSED_PAD src0_sel:BYTE_3 src1_sel:DWORD
                                        ; implicit-def: $vgpr1
	s_and_saveexec_b64 s[28:29], vcc
	s_xor_b64 s[34:35], exec, s[28:29]
	s_cbranch_execz .LBB6_5047
; %bb.5038:                             ;   in Loop: Header=BB6_4406 Depth=4
	v_mov_b32_e32 v1, 0
	v_cmp_ne_u32_e32 vcc, 0, v4
	s_and_saveexec_b64 s[36:37], vcc
	s_cbranch_execz .LBB6_5046
; %bb.5039:                             ;   in Loop: Header=BB6_4406 Depth=4
	v_bfe_u32 v1, v4, 23, 8
	v_and_b32_e32 v5, 0x7fffff, v4
	v_cmp_gt_u32_e64 s[28:29], s97, v1
	v_sub_u32_e32 v4, 0x79, v1
	v_cmp_eq_u32_e32 vcc, 0, v1
	v_cndmask_b32_e64 v4, 0, v4, s[28:29]
	v_mov_b32_e32 v9, 0x78
	v_or_b32_e32 v8, 0x800000, v5
	v_cndmask_b32_e32 v12, v4, v9, vcc
	v_cndmask_b32_e32 v4, v8, v5, vcc
	v_add_u32_e32 v8, 20, v12
	v_lshlrev_b64 v[8:9], v8, -1
	v_add_u32_e32 v13, 19, v12
	v_lshlrev_b64 v[15:16], v13, 1
	v_mov_b32_e32 v5, v51
	v_bfi_b32 v9, v9, 0, 0
	v_bfi_b32 v8, v8, 0, v4
	v_cmp_eq_u64_e64 s[28:29], v[8:9], v[15:16]
	v_lshrrev_b64 v[8:9], v12, v[4:5]
	v_mov_b32_e32 v4, v8
	v_mov_b32_e32 v5, v9
	s_and_saveexec_b64 s[38:39], s[28:29]
; %bb.5040:                             ;   in Loop: Header=BB6_4406 Depth=4
	v_bfe_u32 v4, v8, 20, 1
	v_add_co_u32_e64 v4, s[28:29], v8, v4
	v_add_co_u32_e64 v4, s[28:29], -1, v4
; %bb.5041:                             ;   in Loop: Header=BB6_4406 Depth=4
	s_or_b64 exec, exec, s[38:39]
	v_add_u32_e32 v1, 0xffffff81, v1
	v_mov_b32_e32 v5, 0xffffff82
	v_cndmask_b32_e32 v1, v1, v5, vcc
	v_lshrrev_b32_e32 v5, 23, v8
	v_add3_u32 v12, v12, v1, v5
	v_add_u32_e32 v5, 6, v12
	v_and_b32_e32 v1, 0xfffff, v4
	v_add_u32_e32 v8, v1, v8
	v_mov_b32_e32 v9, v51
	v_cmp_ne_u32_e32 vcc, 0, v5
                                        ; implicit-def: $vgpr1
	s_and_saveexec_b64 s[28:29], vcc
	s_xor_b64 s[28:29], exec, s[28:29]
; %bb.5042:                             ;   in Loop: Header=BB6_4406 Depth=4
	v_cmp_lt_u64_e32 vcc, s[88:89], v[8:9]
	v_add_u32_e32 v1, 7, v12
	v_cndmask_b32_e64 v4, 0, 1, vcc
	v_lshrrev_b64 v[8:9], v4, v[8:9]
	v_cndmask_b32_e32 v1, v5, v1, vcc
; %bb.5043:                             ;   in Loop: Header=BB6_4406 Depth=4
	s_andn2_saveexec_b64 s[28:29], s[28:29]
; %bb.5044:                             ;   in Loop: Header=BB6_4406 Depth=4
	v_bfe_u32 v1, v8, 23, 1
; %bb.5045:                             ;   in Loop: Header=BB6_4406 Depth=4
	s_or_b64 exec, exec, s[28:29]
	v_lshrrev_b64 v[4:5], 20, v[8:9]
	v_cmp_gt_i32_e32 vcc, 16, v1
	v_cndmask_b32_e32 v5, 0, v5, vcc
	v_cndmask_b32_e32 v4, 7, v4, vcc
	v_cmp_eq_u32_e32 vcc, 0, v1
	v_min_i32_e32 v1, 15, v1
	v_cmp_eq_u64_e64 s[28:29], 0, v[4:5]
	v_lshlrev_b32_e32 v1, 3, v1
	v_and_b32_e32 v1, 0xf8, v1
	v_and_or_b32 v1, v4, 7, v1
	s_and_b64 s[28:29], vcc, s[28:29]
	v_cndmask_b32_e64 v1, v1, 0, s[28:29]
	v_or_b32_e32 v1, v1, v6
.LBB6_5046:                             ;   in Loop: Header=BB6_4406 Depth=4
	s_or_b64 exec, exec, s[36:37]
                                        ; implicit-def: $vgpr6
.LBB6_5047:                             ;   in Loop: Header=BB6_4406 Depth=4
	s_andn2_saveexec_b64 s[28:29], s[34:35]
; %bb.5048:                             ;   in Loop: Header=BB6_4406 Depth=4
	v_or_b32_e32 v1, 0x7e, v6
; %bb.5049:                             ;   in Loop: Header=BB6_4406 Depth=4
	s_or_b64 exec, exec, s[28:29]
                                        ; implicit-def: $vgpr4
.LBB6_5050:                             ;   in Loop: Header=BB6_4406 Depth=4
	s_andn2_saveexec_b64 s[28:29], s[30:31]
; %bb.5051:                             ;   in Loop: Header=BB6_4406 Depth=4
	v_or_b32_sdwa v1, v4, s86 dst_sel:DWORD dst_unused:UNUSED_PAD src0_sel:BYTE_3 src1_sel:DWORD
; %bb.5052:                             ;   in Loop: Header=BB6_4406 Depth=4
	s_or_b64 exec, exec, s[28:29]
	v_lshrrev_b16_e32 v8, 8, v50
	v_cmp_ne_u16_e32 vcc, 0, v8
	v_mov_b32_e32 v4, 0
	s_and_saveexec_b64 s[28:29], vcc
	s_cbranch_execz .LBB6_5058
; %bb.5053:                             ;   in Loop: Header=BB6_4406 Depth=4
	v_cmp_ne_u16_e32 vcc, s96, v8
	v_bfrev_b32_e32 v4, 1
	s_and_saveexec_b64 s[30:31], vcc
	s_cbranch_execz .LBB6_5057
; %bb.5054:                             ;   in Loop: Header=BB6_4406 Depth=4
	v_and_b32_e32 v5, 0x7f, v8
	v_cmp_ne_u32_e32 vcc, s86, v5
	v_mov_b32_e32 v4, 0x7f800001
	s_and_saveexec_b64 s[34:35], vcc
	s_cbranch_execz .LBB6_5056
; %bb.5055:                             ;   in Loop: Header=BB6_4406 Depth=4
	v_and_b32_e32 v6, 7, v8
	v_ffbh_u32_e32 v4, v6
	v_min_u32_e32 v12, 32, v4
	v_lshrrev_b32_e32 v9, 3, v5
	v_subrev_u32_e32 v4, 28, v12
	v_cmp_gt_u32_e32 vcc, 8, v5
	v_lshlrev_b64 v[4:5], v4, v[8:9]
	v_sub_u32_e32 v5, 29, v12
	v_and_b32_e32 v4, 7, v4
	v_cndmask_b32_e32 v5, v9, v5, vcc
	v_cndmask_b32_e32 v4, v6, v4, vcc
	v_lshlrev_b32_e32 v6, 16, v50
	v_bfrev_b32_e32 v8, 60
	v_lshlrev_b32_e32 v4, 20, v4
	v_and_b32_e32 v6, 0x80000000, v6
	v_lshl_add_u32 v5, v5, 23, v8
	v_or3_b32 v4, v6, v5, v4
.LBB6_5056:                             ;   in Loop: Header=BB6_4406 Depth=4
	s_or_b64 exec, exec, s[34:35]
.LBB6_5057:                             ;   in Loop: Header=BB6_4406 Depth=4
	s_or_b64 exec, exec, s[30:31]
.LBB6_5058:                             ;   in Loop: Header=BB6_4406 Depth=4
	s_or_b64 exec, exec, s[28:29]
	v_mul_f32_e32 v4, v14, v4
	v_and_b32_e32 v50, 0x7f800000, v4
	v_cmp_ne_u64_e32 vcc, s[76:77], v[50:51]
                                        ; implicit-def: $vgpr42
	s_and_saveexec_b64 s[28:29], vcc
	s_xor_b64 s[30:31], exec, s[28:29]
	s_cbranch_execz .LBB6_5072
; %bb.5059:                             ;   in Loop: Header=BB6_4406 Depth=4
	v_and_b32_e32 v50, 0x7fffffff, v4
	v_cmp_gt_u64_e32 vcc, s[78:79], v[50:51]
	v_and_b32_sdwa v6, v4, s96 dst_sel:DWORD dst_unused:UNUSED_PAD src0_sel:BYTE_3 src1_sel:DWORD
                                        ; implicit-def: $vgpr42
	s_and_saveexec_b64 s[28:29], vcc
	s_xor_b64 s[34:35], exec, s[28:29]
	s_cbranch_execz .LBB6_5069
; %bb.5060:                             ;   in Loop: Header=BB6_4406 Depth=4
	v_mov_b32_e32 v42, 0
	v_cmp_ne_u32_e32 vcc, 0, v4
	s_and_saveexec_b64 s[36:37], vcc
	s_cbranch_execz .LBB6_5068
; %bb.5061:                             ;   in Loop: Header=BB6_4406 Depth=4
	v_bfe_u32 v12, v4, 23, 8
	v_and_b32_e32 v5, 0x7fffff, v4
	v_cmp_gt_u32_e64 s[28:29], s97, v12
	v_sub_u32_e32 v4, 0x79, v12
	v_cmp_eq_u32_e32 vcc, 0, v12
	v_cndmask_b32_e64 v4, 0, v4, s[28:29]
	v_mov_b32_e32 v9, 0x78
	v_cndmask_b32_e32 v13, v4, v9, vcc
	v_or_b32_e32 v8, 0x800000, v5
	v_add_u32_e32 v4, 20, v13
	v_cndmask_b32_e32 v50, v8, v5, vcc
	v_lshlrev_b64 v[4:5], v4, -1
	v_add_u32_e32 v8, 19, v13
	v_lshlrev_b64 v[8:9], v8, 1
	v_bfi_b32 v5, v5, 0, 0
	v_bfi_b32 v4, v4, 0, v50
	v_cmp_eq_u64_e64 s[28:29], v[4:5], v[8:9]
	v_lshrrev_b64 v[8:9], v13, v[50:51]
	v_mov_b32_e32 v4, v8
	v_mov_b32_e32 v5, v9
	s_and_saveexec_b64 s[38:39], s[28:29]
; %bb.5062:                             ;   in Loop: Header=BB6_4406 Depth=4
	v_bfe_u32 v4, v8, 20, 1
	v_add_co_u32_e64 v4, s[28:29], v8, v4
	v_add_co_u32_e64 v4, s[28:29], -1, v4
; %bb.5063:                             ;   in Loop: Header=BB6_4406 Depth=4
	s_or_b64 exec, exec, s[38:39]
	v_add_u32_e32 v5, 0xffffff81, v12
	v_mov_b32_e32 v9, 0xffffff82
	v_cndmask_b32_e32 v5, v5, v9, vcc
	v_lshrrev_b32_e32 v9, 23, v8
	v_add3_u32 v12, v13, v5, v9
	v_add_u32_e32 v5, 6, v12
	v_and_b32_e32 v4, 0xfffff, v4
	v_add_u32_e32 v50, v4, v8
	v_cmp_ne_u32_e32 vcc, 0, v5
                                        ; implicit-def: $vgpr8_vgpr9
                                        ; implicit-def: $vgpr4
	s_and_saveexec_b64 s[28:29], vcc
	s_xor_b64 s[28:29], exec, s[28:29]
; %bb.5064:                             ;   in Loop: Header=BB6_4406 Depth=4
	v_cmp_lt_u64_e32 vcc, s[88:89], v[50:51]
	v_add_u32_e32 v4, 7, v12
	v_cndmask_b32_e32 v4, v5, v4, vcc
	v_cndmask_b32_e64 v5, 0, 1, vcc
	v_lshrrev_b64 v[8:9], v5, v[50:51]
; %bb.5065:                             ;   in Loop: Header=BB6_4406 Depth=4
	s_andn2_saveexec_b64 s[28:29], s[28:29]
; %bb.5066:                             ;   in Loop: Header=BB6_4406 Depth=4
	v_mov_b32_e32 v8, v50
	v_bfe_u32 v4, v50, 23, 1
	v_mov_b32_e32 v9, v51
; %bb.5067:                             ;   in Loop: Header=BB6_4406 Depth=4
	s_or_b64 exec, exec, s[28:29]
	v_lshrrev_b64 v[8:9], 20, v[8:9]
	v_cmp_gt_i32_e32 vcc, 16, v4
	v_cndmask_b32_e32 v9, 0, v9, vcc
	v_cndmask_b32_e32 v8, 7, v8, vcc
	v_cmp_eq_u32_e32 vcc, 0, v4
	v_min_i32_e32 v4, 15, v4
	v_cmp_eq_u64_e64 s[28:29], 0, v[8:9]
	v_lshlrev_b32_e32 v4, 3, v4
	v_and_b32_e32 v4, 0xf8, v4
	v_and_or_b32 v4, v8, 7, v4
	s_and_b64 s[28:29], vcc, s[28:29]
	v_cndmask_b32_e64 v4, v4, 0, s[28:29]
	v_or_b32_e32 v42, v4, v6
.LBB6_5068:                             ;   in Loop: Header=BB6_4406 Depth=4
	s_or_b64 exec, exec, s[36:37]
                                        ; implicit-def: $vgpr6
.LBB6_5069:                             ;   in Loop: Header=BB6_4406 Depth=4
	s_andn2_saveexec_b64 s[28:29], s[34:35]
; %bb.5070:                             ;   in Loop: Header=BB6_4406 Depth=4
	v_or_b32_e32 v42, 0x7e, v6
; %bb.5071:                             ;   in Loop: Header=BB6_4406 Depth=4
	s_or_b64 exec, exec, s[28:29]
                                        ; implicit-def: $vgpr4
.LBB6_5072:                             ;   in Loop: Header=BB6_4406 Depth=4
	s_andn2_saveexec_b64 s[28:29], s[30:31]
; %bb.5073:                             ;   in Loop: Header=BB6_4406 Depth=4
	v_or_b32_sdwa v42, v4, s86 dst_sel:DWORD dst_unused:UNUSED_PAD src0_sel:BYTE_3 src1_sel:DWORD
; %bb.5074:                             ;   in Loop: Header=BB6_4406 Depth=4
	s_or_b64 exec, exec, s[28:29]
	v_lshrrev_b32_e32 v8, 16, v11
	v_cmp_ne_u16_sdwa vcc, v8, v51 src0_sel:BYTE_0 src1_sel:DWORD
	v_mov_b32_e32 v4, 0
	s_and_saveexec_b64 s[28:29], vcc
	s_cbranch_execz .LBB6_5080
; %bb.5075:                             ;   in Loop: Header=BB6_4406 Depth=4
	v_cmp_ne_u16_sdwa vcc, v8, s96 src0_sel:BYTE_0 src1_sel:DWORD
	v_bfrev_b32_e32 v4, 1
	s_and_saveexec_b64 s[30:31], vcc
	s_cbranch_execz .LBB6_5079
; %bb.5076:                             ;   in Loop: Header=BB6_4406 Depth=4
	v_bfe_u32 v5, v11, 16, 7
	v_cmp_ne_u32_e32 vcc, s86, v5
	v_mov_b32_e32 v4, 0x7f800001
	s_and_saveexec_b64 s[34:35], vcc
	s_cbranch_execz .LBB6_5078
; %bb.5077:                             ;   in Loop: Header=BB6_4406 Depth=4
	v_and_b32_e32 v6, 7, v8
	v_ffbh_u32_e32 v4, v6
	v_min_u32_e32 v12, 32, v4
	v_lshrrev_b32_e32 v9, 3, v5
	v_subrev_u32_e32 v4, 28, v12
	v_cmp_gt_u32_e32 vcc, 8, v5
	v_lshlrev_b64 v[4:5], v4, v[8:9]
	v_sub_u32_e32 v5, 29, v12
	v_and_b32_e32 v4, 7, v4
	v_cndmask_b32_e32 v5, v9, v5, vcc
	v_cndmask_b32_e32 v4, v6, v4, vcc
	v_lshlrev_b32_e32 v6, 24, v8
	v_bfrev_b32_e32 v8, 60
	v_lshlrev_b32_e32 v4, 20, v4
	v_and_b32_e32 v6, 0x80000000, v6
	v_lshl_add_u32 v5, v5, 23, v8
	v_or3_b32 v4, v6, v5, v4
.LBB6_5078:                             ;   in Loop: Header=BB6_4406 Depth=4
	s_or_b64 exec, exec, s[34:35]
.LBB6_5079:                             ;   in Loop: Header=BB6_4406 Depth=4
	s_or_b64 exec, exec, s[30:31]
.LBB6_5080:                             ;   in Loop: Header=BB6_4406 Depth=4
	s_or_b64 exec, exec, s[28:29]
	v_mul_f32_e32 v4, v14, v4
	v_and_b32_e32 v50, 0x7f800000, v4
	v_cmp_ne_u64_e32 vcc, s[76:77], v[50:51]
                                        ; implicit-def: $vgpr0
                                        ; kill: killed $vgpr0
	s_and_saveexec_b64 s[28:29], vcc
	s_xor_b64 s[30:31], exec, s[28:29]
	s_cbranch_execz .LBB6_5094
; %bb.5081:                             ;   in Loop: Header=BB6_4406 Depth=4
	v_and_b32_e32 v50, 0x7fffffff, v4
	v_cmp_gt_u64_e32 vcc, s[78:79], v[50:51]
	v_and_b32_sdwa v6, v4, s96 dst_sel:DWORD dst_unused:UNUSED_PAD src0_sel:BYTE_3 src1_sel:DWORD
                                        ; implicit-def: $vgpr0
                                        ; kill: killed $vgpr0
	s_and_saveexec_b64 s[28:29], vcc
	s_xor_b64 s[34:35], exec, s[28:29]
	s_cbranch_execz .LBB6_5091
; %bb.5082:                             ;   in Loop: Header=BB6_4406 Depth=4
	v_mov_b32_e32 v0, 0
	v_cmp_ne_u32_e32 vcc, 0, v4
	buffer_store_dword v0, off, s[0:3], s33 offset:220 ; 4-byte Folded Spill
	s_and_saveexec_b64 s[36:37], vcc
	s_cbranch_execz .LBB6_5090
; %bb.5083:                             ;   in Loop: Header=BB6_4406 Depth=4
	v_bfe_u32 v12, v4, 23, 8
	v_and_b32_e32 v5, 0x7fffff, v4
	v_cmp_gt_u32_e64 s[28:29], s97, v12
	v_sub_u32_e32 v4, 0x79, v12
	v_cmp_eq_u32_e32 vcc, 0, v12
	v_cndmask_b32_e64 v4, 0, v4, s[28:29]
	v_mov_b32_e32 v9, 0x78
	v_cndmask_b32_e32 v13, v4, v9, vcc
	v_or_b32_e32 v8, 0x800000, v5
	v_add_u32_e32 v4, 20, v13
	v_cndmask_b32_e32 v50, v8, v5, vcc
	v_lshlrev_b64 v[4:5], v4, -1
	v_add_u32_e32 v8, 19, v13
	v_lshlrev_b64 v[8:9], v8, 1
	v_bfi_b32 v5, v5, 0, 0
	v_bfi_b32 v4, v4, 0, v50
	v_cmp_eq_u64_e64 s[28:29], v[4:5], v[8:9]
	v_lshrrev_b64 v[8:9], v13, v[50:51]
	v_mov_b32_e32 v4, v8
	v_mov_b32_e32 v5, v9
	s_and_saveexec_b64 s[38:39], s[28:29]
; %bb.5084:                             ;   in Loop: Header=BB6_4406 Depth=4
	v_bfe_u32 v4, v8, 20, 1
	v_add_co_u32_e64 v4, s[28:29], v8, v4
	v_add_co_u32_e64 v4, s[28:29], -1, v4
; %bb.5085:                             ;   in Loop: Header=BB6_4406 Depth=4
	s_or_b64 exec, exec, s[38:39]
	v_add_u32_e32 v5, 0xffffff81, v12
	v_mov_b32_e32 v9, 0xffffff82
	v_cndmask_b32_e32 v5, v5, v9, vcc
	v_lshrrev_b32_e32 v9, 23, v8
	v_add3_u32 v12, v13, v5, v9
	v_add_u32_e32 v5, 6, v12
	v_and_b32_e32 v4, 0xfffff, v4
	v_add_u32_e32 v50, v4, v8
	v_cmp_ne_u32_e32 vcc, 0, v5
                                        ; implicit-def: $vgpr8_vgpr9
                                        ; implicit-def: $vgpr4
	s_and_saveexec_b64 s[28:29], vcc
	s_xor_b64 s[28:29], exec, s[28:29]
; %bb.5086:                             ;   in Loop: Header=BB6_4406 Depth=4
	v_cmp_lt_u64_e32 vcc, s[88:89], v[50:51]
	v_add_u32_e32 v4, 7, v12
	v_cndmask_b32_e32 v4, v5, v4, vcc
	v_cndmask_b32_e64 v5, 0, 1, vcc
	v_lshrrev_b64 v[8:9], v5, v[50:51]
; %bb.5087:                             ;   in Loop: Header=BB6_4406 Depth=4
	s_andn2_saveexec_b64 s[28:29], s[28:29]
; %bb.5088:                             ;   in Loop: Header=BB6_4406 Depth=4
	v_mov_b32_e32 v8, v50
	v_bfe_u32 v4, v50, 23, 1
	v_mov_b32_e32 v9, v51
; %bb.5089:                             ;   in Loop: Header=BB6_4406 Depth=4
	s_or_b64 exec, exec, s[28:29]
	v_lshrrev_b64 v[8:9], 20, v[8:9]
	v_cmp_gt_i32_e32 vcc, 16, v4
	v_cndmask_b32_e32 v9, 0, v9, vcc
	v_cndmask_b32_e32 v8, 7, v8, vcc
	v_cmp_eq_u32_e32 vcc, 0, v4
	v_min_i32_e32 v4, 15, v4
	v_cmp_eq_u64_e64 s[28:29], 0, v[8:9]
	v_lshlrev_b32_e32 v4, 3, v4
	v_and_b32_e32 v4, 0xf8, v4
	v_and_or_b32 v4, v8, 7, v4
	s_and_b64 s[28:29], vcc, s[28:29]
	v_cndmask_b32_e64 v4, v4, 0, s[28:29]
	v_or_b32_e32 v0, v4, v6
	buffer_store_dword v0, off, s[0:3], s33 offset:220 ; 4-byte Folded Spill
.LBB6_5090:                             ;   in Loop: Header=BB6_4406 Depth=4
	s_or_b64 exec, exec, s[36:37]
                                        ; implicit-def: $vgpr6
.LBB6_5091:                             ;   in Loop: Header=BB6_4406 Depth=4
	s_andn2_saveexec_b64 s[28:29], s[34:35]
	s_cbranch_execz .LBB6_5093
; %bb.5092:                             ;   in Loop: Header=BB6_4406 Depth=4
	v_or_b32_e32 v0, 0x7e, v6
	buffer_store_dword v0, off, s[0:3], s33 offset:220 ; 4-byte Folded Spill
.LBB6_5093:                             ;   in Loop: Header=BB6_4406 Depth=4
	s_or_b64 exec, exec, s[28:29]
                                        ; implicit-def: $vgpr4
.LBB6_5094:                             ;   in Loop: Header=BB6_4406 Depth=4
	s_andn2_saveexec_b64 s[28:29], s[30:31]
	s_cbranch_execz .LBB6_5096
; %bb.5095:                             ;   in Loop: Header=BB6_4406 Depth=4
	v_or_b32_sdwa v0, v4, s86 dst_sel:DWORD dst_unused:UNUSED_PAD src0_sel:BYTE_3 src1_sel:DWORD
	buffer_store_dword v0, off, s[0:3], s33 offset:220 ; 4-byte Folded Spill
.LBB6_5096:                             ;   in Loop: Header=BB6_4406 Depth=4
	s_or_b64 exec, exec, s[28:29]
	v_cmp_lt_u64_e32 vcc, s[56:57], v[10:11]
	v_mov_b32_e32 v4, 0
	s_and_saveexec_b64 s[28:29], vcc
	s_cbranch_execz .LBB6_5102
; %bb.5097:                             ;   in Loop: Header=BB6_4406 Depth=4
	v_lshrrev_b32_e32 v8, 24, v11
	v_cmp_ne_u32_e32 vcc, s96, v8
	v_bfrev_b32_e32 v4, 1
	s_and_saveexec_b64 s[30:31], vcc
	s_cbranch_execz .LBB6_5101
; %bb.5098:                             ;   in Loop: Header=BB6_4406 Depth=4
	v_bfe_u32 v5, v11, 24, 7
	v_cmp_ne_u32_e32 vcc, s86, v5
	v_mov_b32_e32 v4, 0x7f800001
	s_and_saveexec_b64 s[34:35], vcc
	s_cbranch_execz .LBB6_5100
; %bb.5099:                             ;   in Loop: Header=BB6_4406 Depth=4
	v_and_b32_e32 v6, 7, v8
	v_ffbh_u32_e32 v4, v6
	v_min_u32_e32 v10, 32, v4
	v_lshrrev_b32_e32 v9, 3, v5
	v_subrev_u32_e32 v4, 28, v10
	v_cmp_gt_u32_e32 vcc, 8, v5
	v_lshlrev_b64 v[4:5], v4, v[8:9]
	v_sub_u32_e32 v5, 29, v10
	v_and_b32_e32 v4, 7, v4
	v_cndmask_b32_e32 v5, v9, v5, vcc
	v_cndmask_b32_e32 v4, v6, v4, vcc
	v_lshlrev_b32_e32 v6, 24, v8
	v_bfrev_b32_e32 v8, 60
	v_lshlrev_b32_e32 v4, 20, v4
	v_and_b32_e32 v6, 0x80000000, v6
	v_lshl_add_u32 v5, v5, 23, v8
	v_or3_b32 v4, v6, v5, v4
.LBB6_5100:                             ;   in Loop: Header=BB6_4406 Depth=4
	s_or_b64 exec, exec, s[34:35]
.LBB6_5101:                             ;   in Loop: Header=BB6_4406 Depth=4
	s_or_b64 exec, exec, s[30:31]
.LBB6_5102:                             ;   in Loop: Header=BB6_4406 Depth=4
	s_or_b64 exec, exec, s[28:29]
	v_mul_f32_e32 v4, v14, v4
	v_and_b32_e32 v50, 0x7f800000, v4
	v_cmp_ne_u64_e32 vcc, s[76:77], v[50:51]
                                        ; implicit-def: $vgpr0
                                        ; kill: killed $vgpr0
	s_and_saveexec_b64 s[28:29], vcc
	s_xor_b64 s[30:31], exec, s[28:29]
	s_cbranch_execz .LBB6_5116
; %bb.5103:                             ;   in Loop: Header=BB6_4406 Depth=4
	v_and_b32_e32 v50, 0x7fffffff, v4
	v_cmp_gt_u64_e32 vcc, s[78:79], v[50:51]
	v_and_b32_sdwa v6, v4, s96 dst_sel:DWORD dst_unused:UNUSED_PAD src0_sel:BYTE_3 src1_sel:DWORD
                                        ; implicit-def: $vgpr0
                                        ; kill: killed $vgpr0
	s_and_saveexec_b64 s[28:29], vcc
	s_xor_b64 s[34:35], exec, s[28:29]
	s_cbranch_execz .LBB6_5113
; %bb.5104:                             ;   in Loop: Header=BB6_4406 Depth=4
	v_mov_b32_e32 v0, 0
	v_cmp_ne_u32_e32 vcc, 0, v4
	buffer_store_dword v0, off, s[0:3], s33 offset:240 ; 4-byte Folded Spill
	s_and_saveexec_b64 s[36:37], vcc
	s_cbranch_execz .LBB6_5112
; %bb.5105:                             ;   in Loop: Header=BB6_4406 Depth=4
	v_bfe_u32 v10, v4, 23, 8
	v_and_b32_e32 v5, 0x7fffff, v4
	v_cmp_gt_u32_e64 s[28:29], s97, v10
	v_sub_u32_e32 v4, 0x79, v10
	v_cmp_eq_u32_e32 vcc, 0, v10
	v_cndmask_b32_e64 v4, 0, v4, s[28:29]
	v_mov_b32_e32 v9, 0x78
	v_cndmask_b32_e32 v11, v4, v9, vcc
	v_or_b32_e32 v8, 0x800000, v5
	v_add_u32_e32 v4, 20, v11
	v_cndmask_b32_e32 v50, v8, v5, vcc
	v_lshlrev_b64 v[4:5], v4, -1
	v_add_u32_e32 v8, 19, v11
	v_lshlrev_b64 v[8:9], v8, 1
	v_bfi_b32 v5, v5, 0, 0
	v_bfi_b32 v4, v4, 0, v50
	v_cmp_eq_u64_e64 s[28:29], v[4:5], v[8:9]
	v_lshrrev_b64 v[8:9], v11, v[50:51]
	v_mov_b32_e32 v4, v8
	v_mov_b32_e32 v5, v9
	s_and_saveexec_b64 s[38:39], s[28:29]
; %bb.5106:                             ;   in Loop: Header=BB6_4406 Depth=4
	v_bfe_u32 v4, v8, 20, 1
	v_add_co_u32_e64 v4, s[28:29], v8, v4
	v_add_co_u32_e64 v4, s[28:29], -1, v4
; %bb.5107:                             ;   in Loop: Header=BB6_4406 Depth=4
	s_or_b64 exec, exec, s[38:39]
	v_add_u32_e32 v5, 0xffffff81, v10
	v_mov_b32_e32 v9, 0xffffff82
	v_cndmask_b32_e32 v5, v5, v9, vcc
	v_lshrrev_b32_e32 v9, 23, v8
	v_add3_u32 v10, v11, v5, v9
	v_add_u32_e32 v5, 6, v10
	v_and_b32_e32 v4, 0xfffff, v4
	v_add_u32_e32 v50, v4, v8
	v_cmp_ne_u32_e32 vcc, 0, v5
                                        ; implicit-def: $vgpr8_vgpr9
                                        ; implicit-def: $vgpr4
	s_and_saveexec_b64 s[28:29], vcc
	s_xor_b64 s[28:29], exec, s[28:29]
; %bb.5108:                             ;   in Loop: Header=BB6_4406 Depth=4
	v_cmp_lt_u64_e32 vcc, s[88:89], v[50:51]
	v_add_u32_e32 v4, 7, v10
	v_cndmask_b32_e32 v4, v5, v4, vcc
	v_cndmask_b32_e64 v5, 0, 1, vcc
	v_lshrrev_b64 v[8:9], v5, v[50:51]
; %bb.5109:                             ;   in Loop: Header=BB6_4406 Depth=4
	s_andn2_saveexec_b64 s[28:29], s[28:29]
; %bb.5110:                             ;   in Loop: Header=BB6_4406 Depth=4
	v_mov_b32_e32 v8, v50
	v_bfe_u32 v4, v50, 23, 1
	v_mov_b32_e32 v9, v51
; %bb.5111:                             ;   in Loop: Header=BB6_4406 Depth=4
	s_or_b64 exec, exec, s[28:29]
	v_lshrrev_b64 v[8:9], 20, v[8:9]
	v_cmp_gt_i32_e32 vcc, 16, v4
	v_cndmask_b32_e32 v9, 0, v9, vcc
	v_cndmask_b32_e32 v8, 7, v8, vcc
	v_cmp_eq_u32_e32 vcc, 0, v4
	v_min_i32_e32 v4, 15, v4
	v_cmp_eq_u64_e64 s[28:29], 0, v[8:9]
	v_lshlrev_b32_e32 v4, 3, v4
	v_and_b32_e32 v4, 0xf8, v4
	v_and_or_b32 v4, v8, 7, v4
	s_and_b64 s[28:29], vcc, s[28:29]
	v_cndmask_b32_e64 v4, v4, 0, s[28:29]
	v_or_b32_e32 v0, v4, v6
	buffer_store_dword v0, off, s[0:3], s33 offset:240 ; 4-byte Folded Spill
.LBB6_5112:                             ;   in Loop: Header=BB6_4406 Depth=4
	s_or_b64 exec, exec, s[36:37]
                                        ; implicit-def: $vgpr6
.LBB6_5113:                             ;   in Loop: Header=BB6_4406 Depth=4
	s_andn2_saveexec_b64 s[28:29], s[34:35]
	s_cbranch_execz .LBB6_5115
; %bb.5114:                             ;   in Loop: Header=BB6_4406 Depth=4
	v_or_b32_e32 v0, 0x7e, v6
	buffer_store_dword v0, off, s[0:3], s33 offset:240 ; 4-byte Folded Spill
.LBB6_5115:                             ;   in Loop: Header=BB6_4406 Depth=4
	s_or_b64 exec, exec, s[28:29]
                                        ; implicit-def: $vgpr4
.LBB6_5116:                             ;   in Loop: Header=BB6_4406 Depth=4
	s_andn2_saveexec_b64 s[28:29], s[30:31]
	s_cbranch_execz .LBB6_5118
; %bb.5117:                             ;   in Loop: Header=BB6_4406 Depth=4
	v_or_b32_sdwa v0, v4, s86 dst_sel:DWORD dst_unused:UNUSED_PAD src0_sel:BYTE_3 src1_sel:DWORD
	buffer_store_dword v0, off, s[0:3], s33 offset:240 ; 4-byte Folded Spill
.LBB6_5118:                             ;   in Loop: Header=BB6_4406 Depth=4
	s_or_b64 exec, exec, s[28:29]
	global_load_dwordx4 v[8:11], v[26:27], off offset:2048 glc slc
	v_mov_b32_e32 v4, 0
	s_waitcnt vmcnt(0)
	v_cmp_ne_u16_sdwa vcc, v8, v51 src0_sel:BYTE_0 src1_sel:DWORD
	s_and_saveexec_b64 s[28:29], vcc
	s_cbranch_execz .LBB6_5124
; %bb.5119:                             ;   in Loop: Header=BB6_4406 Depth=4
	v_cmp_ne_u16_sdwa vcc, v8, s96 src0_sel:BYTE_0 src1_sel:DWORD
	v_bfrev_b32_e32 v4, 1
	s_and_saveexec_b64 s[30:31], vcc
	s_cbranch_execz .LBB6_5123
; %bb.5120:                             ;   in Loop: Header=BB6_4406 Depth=4
	v_and_b32_e32 v5, 0x7f, v8
	v_cmp_ne_u32_e32 vcc, s86, v5
	v_mov_b32_e32 v4, 0x7f800001
	s_and_saveexec_b64 s[34:35], vcc
	s_cbranch_execz .LBB6_5122
; %bb.5121:                             ;   in Loop: Header=BB6_4406 Depth=4
	v_and_b32_e32 v4, 7, v8
	v_ffbh_u32_e32 v4, v4
	v_min_u32_e32 v4, 32, v4
	v_lshrrev_b32_e32 v6, 3, v5
	v_cmp_gt_u32_e32 vcc, 8, v5
	v_subrev_u32_e32 v5, 28, v4
	v_sub_u32_e32 v4, 29, v4
	v_cndmask_b32_e32 v6, v6, v4, vcc
	v_cndmask_b32_e32 v4, 0, v5, vcc
	v_lshlrev_b64 v[4:5], v4, v[8:9]
	v_lshlrev_b32_e32 v5, 24, v8
	v_lshlrev_b32_e32 v4, 20, v4
	v_bfrev_b32_e32 v12, 60
	v_and_b32_e32 v4, 0x700000, v4
	v_and_b32_e32 v5, 0x80000000, v5
	v_lshl_add_u32 v6, v6, 23, v12
	v_or3_b32 v4, v5, v6, v4
.LBB6_5122:                             ;   in Loop: Header=BB6_4406 Depth=4
	s_or_b64 exec, exec, s[34:35]
.LBB6_5123:                             ;   in Loop: Header=BB6_4406 Depth=4
	s_or_b64 exec, exec, s[30:31]
.LBB6_5124:                             ;   in Loop: Header=BB6_4406 Depth=4
	s_or_b64 exec, exec, s[28:29]
	v_mul_f32_e32 v4, v14, v4
	v_and_b32_e32 v50, 0x7f800000, v4
	v_cmp_ne_u64_e32 vcc, s[76:77], v[50:51]
                                        ; implicit-def: $vgpr37
	s_and_saveexec_b64 s[28:29], vcc
	s_xor_b64 s[30:31], exec, s[28:29]
	s_cbranch_execz .LBB6_5138
; %bb.5125:                             ;   in Loop: Header=BB6_4406 Depth=4
	v_and_b32_e32 v50, 0x7fffffff, v4
	v_cmp_gt_u64_e32 vcc, s[78:79], v[50:51]
	v_and_b32_sdwa v6, v4, s96 dst_sel:DWORD dst_unused:UNUSED_PAD src0_sel:BYTE_3 src1_sel:DWORD
                                        ; implicit-def: $vgpr37
	s_and_saveexec_b64 s[28:29], vcc
	s_xor_b64 s[34:35], exec, s[28:29]
	s_cbranch_execz .LBB6_5135
; %bb.5126:                             ;   in Loop: Header=BB6_4406 Depth=4
	v_mov_b32_e32 v37, 0
	v_cmp_ne_u32_e32 vcc, 0, v4
	s_and_saveexec_b64 s[36:37], vcc
	s_cbranch_execz .LBB6_5134
; %bb.5127:                             ;   in Loop: Header=BB6_4406 Depth=4
	v_bfe_u32 v15, v4, 23, 8
	v_and_b32_e32 v5, 0x7fffff, v4
	v_cmp_gt_u32_e64 s[28:29], s97, v15
	v_sub_u32_e32 v4, 0x79, v15
	v_cmp_eq_u32_e32 vcc, 0, v15
	v_cndmask_b32_e64 v4, 0, v4, s[28:29]
	v_mov_b32_e32 v13, 0x78
	v_cndmask_b32_e32 v16, v4, v13, vcc
	v_or_b32_e32 v12, 0x800000, v5
	v_add_u32_e32 v4, 20, v16
	v_cndmask_b32_e32 v50, v12, v5, vcc
	v_lshlrev_b64 v[4:5], v4, -1
	v_add_u32_e32 v12, 19, v16
	v_lshlrev_b64 v[12:13], v12, 1
	v_bfi_b32 v5, v5, 0, 0
	v_bfi_b32 v4, v4, 0, v50
	v_cmp_eq_u64_e64 s[28:29], v[4:5], v[12:13]
	v_lshrrev_b64 v[12:13], v16, v[50:51]
	v_mov_b32_e32 v4, v12
	v_mov_b32_e32 v5, v13
	s_and_saveexec_b64 s[38:39], s[28:29]
; %bb.5128:                             ;   in Loop: Header=BB6_4406 Depth=4
	v_bfe_u32 v4, v12, 20, 1
	v_add_co_u32_e64 v4, s[28:29], v12, v4
	v_add_co_u32_e64 v4, s[28:29], -1, v4
; %bb.5129:                             ;   in Loop: Header=BB6_4406 Depth=4
	s_or_b64 exec, exec, s[38:39]
	v_add_u32_e32 v5, 0xffffff81, v15
	v_mov_b32_e32 v13, 0xffffff82
	v_cndmask_b32_e32 v5, v5, v13, vcc
	v_lshrrev_b32_e32 v13, 23, v12
	v_add3_u32 v15, v16, v5, v13
	v_add_u32_e32 v5, 6, v15
	v_and_b32_e32 v4, 0xfffff, v4
	v_add_u32_e32 v50, v4, v12
	v_cmp_ne_u32_e32 vcc, 0, v5
                                        ; implicit-def: $vgpr12_vgpr13
                                        ; implicit-def: $vgpr4
	s_and_saveexec_b64 s[28:29], vcc
	s_xor_b64 s[28:29], exec, s[28:29]
; %bb.5130:                             ;   in Loop: Header=BB6_4406 Depth=4
	v_cmp_lt_u64_e32 vcc, s[88:89], v[50:51]
	v_add_u32_e32 v4, 7, v15
	v_cndmask_b32_e32 v4, v5, v4, vcc
	v_cndmask_b32_e64 v5, 0, 1, vcc
	v_lshrrev_b64 v[12:13], v5, v[50:51]
; %bb.5131:                             ;   in Loop: Header=BB6_4406 Depth=4
	s_andn2_saveexec_b64 s[28:29], s[28:29]
; %bb.5132:                             ;   in Loop: Header=BB6_4406 Depth=4
	v_mov_b32_e32 v12, v50
	v_bfe_u32 v4, v50, 23, 1
	v_mov_b32_e32 v13, v51
; %bb.5133:                             ;   in Loop: Header=BB6_4406 Depth=4
	s_or_b64 exec, exec, s[28:29]
	v_lshrrev_b64 v[12:13], 20, v[12:13]
	v_cmp_gt_i32_e32 vcc, 16, v4
	v_cndmask_b32_e32 v13, 0, v13, vcc
	v_cndmask_b32_e32 v12, 7, v12, vcc
	v_cmp_eq_u32_e32 vcc, 0, v4
	v_min_i32_e32 v4, 15, v4
	v_cmp_eq_u64_e64 s[28:29], 0, v[12:13]
	v_lshlrev_b32_e32 v4, 3, v4
	v_and_b32_e32 v4, 0xf8, v4
	v_and_or_b32 v4, v12, 7, v4
	s_and_b64 s[28:29], vcc, s[28:29]
	v_cndmask_b32_e64 v4, v4, 0, s[28:29]
	v_or_b32_e32 v37, v4, v6
.LBB6_5134:                             ;   in Loop: Header=BB6_4406 Depth=4
	s_or_b64 exec, exec, s[36:37]
                                        ; implicit-def: $vgpr6
.LBB6_5135:                             ;   in Loop: Header=BB6_4406 Depth=4
	s_andn2_saveexec_b64 s[28:29], s[34:35]
; %bb.5136:                             ;   in Loop: Header=BB6_4406 Depth=4
	v_or_b32_e32 v37, 0x7e, v6
; %bb.5137:                             ;   in Loop: Header=BB6_4406 Depth=4
	s_or_b64 exec, exec, s[28:29]
                                        ; implicit-def: $vgpr4
.LBB6_5138:                             ;   in Loop: Header=BB6_4406 Depth=4
	s_andn2_saveexec_b64 s[28:29], s[30:31]
; %bb.5139:                             ;   in Loop: Header=BB6_4406 Depth=4
	v_or_b32_sdwa v37, v4, s86 dst_sel:DWORD dst_unused:UNUSED_PAD src0_sel:BYTE_3 src1_sel:DWORD
; %bb.5140:                             ;   in Loop: Header=BB6_4406 Depth=4
	s_or_b64 exec, exec, s[28:29]
	v_lshrrev_b16_e32 v12, 8, v8
	v_cmp_ne_u16_e32 vcc, 0, v12
	v_mov_b32_e32 v4, 0
	s_and_saveexec_b64 s[28:29], vcc
	s_cbranch_execz .LBB6_5146
; %bb.5141:                             ;   in Loop: Header=BB6_4406 Depth=4
	v_cmp_ne_u16_e32 vcc, s96, v12
	v_bfrev_b32_e32 v4, 1
	s_and_saveexec_b64 s[30:31], vcc
	s_cbranch_execz .LBB6_5145
; %bb.5142:                             ;   in Loop: Header=BB6_4406 Depth=4
	v_and_b32_e32 v5, 0x7f, v12
	v_cmp_ne_u32_e32 vcc, s86, v5
	v_mov_b32_e32 v4, 0x7f800001
	s_and_saveexec_b64 s[34:35], vcc
	s_cbranch_execz .LBB6_5144
; %bb.5143:                             ;   in Loop: Header=BB6_4406 Depth=4
	v_and_b32_e32 v6, 7, v12
	v_ffbh_u32_e32 v4, v6
	v_min_u32_e32 v15, 32, v4
	v_lshrrev_b32_e32 v13, 3, v5
	v_subrev_u32_e32 v4, 28, v15
	v_cmp_gt_u32_e32 vcc, 8, v5
	v_lshlrev_b64 v[4:5], v4, v[12:13]
	v_sub_u32_e32 v5, 29, v15
	v_and_b32_e32 v4, 7, v4
	v_cndmask_b32_e32 v5, v13, v5, vcc
	v_cndmask_b32_e32 v4, v6, v4, vcc
	v_lshlrev_b32_e32 v6, 16, v8
	v_bfrev_b32_e32 v12, 60
	v_lshlrev_b32_e32 v4, 20, v4
	v_and_b32_e32 v6, 0x80000000, v6
	v_lshl_add_u32 v5, v5, 23, v12
	v_or3_b32 v4, v6, v5, v4
.LBB6_5144:                             ;   in Loop: Header=BB6_4406 Depth=4
	s_or_b64 exec, exec, s[34:35]
.LBB6_5145:                             ;   in Loop: Header=BB6_4406 Depth=4
	s_or_b64 exec, exec, s[30:31]
.LBB6_5146:                             ;   in Loop: Header=BB6_4406 Depth=4
	s_or_b64 exec, exec, s[28:29]
	v_mul_f32_e32 v4, v14, v4
	v_and_b32_e32 v50, 0x7f800000, v4
	v_cmp_ne_u64_e32 vcc, s[76:77], v[50:51]
                                        ; implicit-def: $vgpr39
	s_and_saveexec_b64 s[28:29], vcc
	s_xor_b64 s[30:31], exec, s[28:29]
	s_cbranch_execz .LBB6_5160
; %bb.5147:                             ;   in Loop: Header=BB6_4406 Depth=4
	v_and_b32_e32 v50, 0x7fffffff, v4
	v_cmp_gt_u64_e32 vcc, s[78:79], v[50:51]
	v_and_b32_sdwa v6, v4, s96 dst_sel:DWORD dst_unused:UNUSED_PAD src0_sel:BYTE_3 src1_sel:DWORD
                                        ; implicit-def: $vgpr39
	s_and_saveexec_b64 s[28:29], vcc
	s_xor_b64 s[34:35], exec, s[28:29]
	s_cbranch_execz .LBB6_5157
; %bb.5148:                             ;   in Loop: Header=BB6_4406 Depth=4
	v_mov_b32_e32 v39, 0
	v_cmp_ne_u32_e32 vcc, 0, v4
	s_and_saveexec_b64 s[36:37], vcc
	s_cbranch_execz .LBB6_5156
; %bb.5149:                             ;   in Loop: Header=BB6_4406 Depth=4
	v_bfe_u32 v15, v4, 23, 8
	v_and_b32_e32 v5, 0x7fffff, v4
	v_cmp_gt_u32_e64 s[28:29], s97, v15
	v_sub_u32_e32 v4, 0x79, v15
	v_cmp_eq_u32_e32 vcc, 0, v15
	v_cndmask_b32_e64 v4, 0, v4, s[28:29]
	v_mov_b32_e32 v13, 0x78
	v_cndmask_b32_e32 v16, v4, v13, vcc
	v_or_b32_e32 v12, 0x800000, v5
	v_add_u32_e32 v4, 20, v16
	v_cndmask_b32_e32 v50, v12, v5, vcc
	v_lshlrev_b64 v[4:5], v4, -1
	v_add_u32_e32 v12, 19, v16
	v_lshlrev_b64 v[12:13], v12, 1
	v_bfi_b32 v5, v5, 0, 0
	v_bfi_b32 v4, v4, 0, v50
	v_cmp_eq_u64_e64 s[28:29], v[4:5], v[12:13]
	v_lshrrev_b64 v[12:13], v16, v[50:51]
	v_mov_b32_e32 v4, v12
	v_mov_b32_e32 v5, v13
	s_and_saveexec_b64 s[38:39], s[28:29]
; %bb.5150:                             ;   in Loop: Header=BB6_4406 Depth=4
	v_bfe_u32 v4, v12, 20, 1
	v_add_co_u32_e64 v4, s[28:29], v12, v4
	v_add_co_u32_e64 v4, s[28:29], -1, v4
; %bb.5151:                             ;   in Loop: Header=BB6_4406 Depth=4
	s_or_b64 exec, exec, s[38:39]
	v_add_u32_e32 v5, 0xffffff81, v15
	v_mov_b32_e32 v13, 0xffffff82
	v_cndmask_b32_e32 v5, v5, v13, vcc
	v_lshrrev_b32_e32 v13, 23, v12
	v_add3_u32 v15, v16, v5, v13
	v_add_u32_e32 v5, 6, v15
	v_and_b32_e32 v4, 0xfffff, v4
	v_add_u32_e32 v50, v4, v12
	v_cmp_ne_u32_e32 vcc, 0, v5
                                        ; implicit-def: $vgpr12_vgpr13
                                        ; implicit-def: $vgpr4
	s_and_saveexec_b64 s[28:29], vcc
	s_xor_b64 s[28:29], exec, s[28:29]
; %bb.5152:                             ;   in Loop: Header=BB6_4406 Depth=4
	v_cmp_lt_u64_e32 vcc, s[88:89], v[50:51]
	v_add_u32_e32 v4, 7, v15
	v_cndmask_b32_e32 v4, v5, v4, vcc
	v_cndmask_b32_e64 v5, 0, 1, vcc
	v_lshrrev_b64 v[12:13], v5, v[50:51]
; %bb.5153:                             ;   in Loop: Header=BB6_4406 Depth=4
	s_andn2_saveexec_b64 s[28:29], s[28:29]
; %bb.5154:                             ;   in Loop: Header=BB6_4406 Depth=4
	v_mov_b32_e32 v12, v50
	v_bfe_u32 v4, v50, 23, 1
	v_mov_b32_e32 v13, v51
; %bb.5155:                             ;   in Loop: Header=BB6_4406 Depth=4
	s_or_b64 exec, exec, s[28:29]
	v_lshrrev_b64 v[12:13], 20, v[12:13]
	v_cmp_gt_i32_e32 vcc, 16, v4
	v_cndmask_b32_e32 v13, 0, v13, vcc
	v_cndmask_b32_e32 v12, 7, v12, vcc
	v_cmp_eq_u32_e32 vcc, 0, v4
	v_min_i32_e32 v4, 15, v4
	v_cmp_eq_u64_e64 s[28:29], 0, v[12:13]
	v_lshlrev_b32_e32 v4, 3, v4
	v_and_b32_e32 v4, 0xf8, v4
	v_and_or_b32 v4, v12, 7, v4
	s_and_b64 s[28:29], vcc, s[28:29]
	v_cndmask_b32_e64 v4, v4, 0, s[28:29]
	v_or_b32_e32 v39, v4, v6
.LBB6_5156:                             ;   in Loop: Header=BB6_4406 Depth=4
	s_or_b64 exec, exec, s[36:37]
                                        ; implicit-def: $vgpr6
.LBB6_5157:                             ;   in Loop: Header=BB6_4406 Depth=4
	s_andn2_saveexec_b64 s[28:29], s[34:35]
; %bb.5158:                             ;   in Loop: Header=BB6_4406 Depth=4
	v_or_b32_e32 v39, 0x7e, v6
; %bb.5159:                             ;   in Loop: Header=BB6_4406 Depth=4
	s_or_b64 exec, exec, s[28:29]
                                        ; implicit-def: $vgpr4
.LBB6_5160:                             ;   in Loop: Header=BB6_4406 Depth=4
	s_andn2_saveexec_b64 s[28:29], s[30:31]
; %bb.5161:                             ;   in Loop: Header=BB6_4406 Depth=4
	v_or_b32_sdwa v39, v4, s86 dst_sel:DWORD dst_unused:UNUSED_PAD src0_sel:BYTE_3 src1_sel:DWORD
; %bb.5162:                             ;   in Loop: Header=BB6_4406 Depth=4
	s_or_b64 exec, exec, s[28:29]
	v_lshrrev_b32_e32 v12, 16, v8
	v_cmp_ne_u16_sdwa vcc, v12, v51 src0_sel:BYTE_0 src1_sel:DWORD
	v_mov_b32_e32 v4, 0
	s_and_saveexec_b64 s[28:29], vcc
	s_cbranch_execz .LBB6_5168
; %bb.5163:                             ;   in Loop: Header=BB6_4406 Depth=4
	v_cmp_ne_u16_sdwa vcc, v12, s96 src0_sel:BYTE_0 src1_sel:DWORD
	v_bfrev_b32_e32 v4, 1
	s_and_saveexec_b64 s[30:31], vcc
	s_cbranch_execz .LBB6_5167
; %bb.5164:                             ;   in Loop: Header=BB6_4406 Depth=4
	v_bfe_u32 v5, v8, 16, 7
	v_cmp_ne_u32_e32 vcc, s86, v5
	v_mov_b32_e32 v4, 0x7f800001
	s_and_saveexec_b64 s[34:35], vcc
	s_cbranch_execz .LBB6_5166
; %bb.5165:                             ;   in Loop: Header=BB6_4406 Depth=4
	v_and_b32_e32 v6, 7, v12
	v_ffbh_u32_e32 v4, v6
	v_min_u32_e32 v15, 32, v4
	v_lshrrev_b32_e32 v13, 3, v5
	v_subrev_u32_e32 v4, 28, v15
	v_cmp_gt_u32_e32 vcc, 8, v5
	v_lshlrev_b64 v[4:5], v4, v[12:13]
	v_sub_u32_e32 v5, 29, v15
	v_and_b32_e32 v4, 7, v4
	v_cndmask_b32_e32 v5, v13, v5, vcc
	v_cndmask_b32_e32 v4, v6, v4, vcc
	v_lshlrev_b32_e32 v6, 24, v12
	v_bfrev_b32_e32 v12, 60
	v_lshlrev_b32_e32 v4, 20, v4
	v_and_b32_e32 v6, 0x80000000, v6
	v_lshl_add_u32 v5, v5, 23, v12
	v_or3_b32 v4, v6, v5, v4
.LBB6_5166:                             ;   in Loop: Header=BB6_4406 Depth=4
	s_or_b64 exec, exec, s[34:35]
.LBB6_5167:                             ;   in Loop: Header=BB6_4406 Depth=4
	s_or_b64 exec, exec, s[30:31]
.LBB6_5168:                             ;   in Loop: Header=BB6_4406 Depth=4
	s_or_b64 exec, exec, s[28:29]
	v_mul_f32_e32 v4, v14, v4
	v_and_b32_e32 v50, 0x7f800000, v4
	v_cmp_ne_u64_e32 vcc, s[76:77], v[50:51]
                                        ; implicit-def: $vgpr0
                                        ; kill: killed $vgpr0
	s_and_saveexec_b64 s[28:29], vcc
	s_xor_b64 s[30:31], exec, s[28:29]
	s_cbranch_execz .LBB6_5182
; %bb.5169:                             ;   in Loop: Header=BB6_4406 Depth=4
	v_and_b32_e32 v50, 0x7fffffff, v4
	v_cmp_gt_u64_e32 vcc, s[78:79], v[50:51]
	v_and_b32_sdwa v6, v4, s96 dst_sel:DWORD dst_unused:UNUSED_PAD src0_sel:BYTE_3 src1_sel:DWORD
                                        ; implicit-def: $vgpr0
                                        ; kill: killed $vgpr0
	s_and_saveexec_b64 s[28:29], vcc
	s_xor_b64 s[34:35], exec, s[28:29]
	s_cbranch_execz .LBB6_5179
; %bb.5170:                             ;   in Loop: Header=BB6_4406 Depth=4
	v_mov_b32_e32 v0, 0
	v_cmp_ne_u32_e32 vcc, 0, v4
	buffer_store_dword v0, off, s[0:3], s33 offset:204 ; 4-byte Folded Spill
	s_and_saveexec_b64 s[36:37], vcc
	s_cbranch_execz .LBB6_5178
; %bb.5171:                             ;   in Loop: Header=BB6_4406 Depth=4
	v_bfe_u32 v15, v4, 23, 8
	v_and_b32_e32 v5, 0x7fffff, v4
	v_cmp_gt_u32_e64 s[28:29], s97, v15
	v_sub_u32_e32 v4, 0x79, v15
	v_cmp_eq_u32_e32 vcc, 0, v15
	v_cndmask_b32_e64 v4, 0, v4, s[28:29]
	v_mov_b32_e32 v13, 0x78
	v_cndmask_b32_e32 v16, v4, v13, vcc
	v_or_b32_e32 v12, 0x800000, v5
	v_add_u32_e32 v4, 20, v16
	v_cndmask_b32_e32 v50, v12, v5, vcc
	v_lshlrev_b64 v[4:5], v4, -1
	v_add_u32_e32 v12, 19, v16
	v_lshlrev_b64 v[12:13], v12, 1
	v_bfi_b32 v5, v5, 0, 0
	v_bfi_b32 v4, v4, 0, v50
	v_cmp_eq_u64_e64 s[28:29], v[4:5], v[12:13]
	v_lshrrev_b64 v[12:13], v16, v[50:51]
	v_mov_b32_e32 v4, v12
	v_mov_b32_e32 v5, v13
	s_and_saveexec_b64 s[38:39], s[28:29]
; %bb.5172:                             ;   in Loop: Header=BB6_4406 Depth=4
	v_bfe_u32 v4, v12, 20, 1
	v_add_co_u32_e64 v4, s[28:29], v12, v4
	v_add_co_u32_e64 v4, s[28:29], -1, v4
; %bb.5173:                             ;   in Loop: Header=BB6_4406 Depth=4
	s_or_b64 exec, exec, s[38:39]
	v_add_u32_e32 v5, 0xffffff81, v15
	v_mov_b32_e32 v13, 0xffffff82
	v_cndmask_b32_e32 v5, v5, v13, vcc
	v_lshrrev_b32_e32 v13, 23, v12
	v_add3_u32 v15, v16, v5, v13
	v_add_u32_e32 v5, 6, v15
	v_and_b32_e32 v4, 0xfffff, v4
	v_add_u32_e32 v50, v4, v12
	v_cmp_ne_u32_e32 vcc, 0, v5
                                        ; implicit-def: $vgpr12_vgpr13
                                        ; implicit-def: $vgpr4
	s_and_saveexec_b64 s[28:29], vcc
	s_xor_b64 s[28:29], exec, s[28:29]
; %bb.5174:                             ;   in Loop: Header=BB6_4406 Depth=4
	v_cmp_lt_u64_e32 vcc, s[88:89], v[50:51]
	v_add_u32_e32 v4, 7, v15
	v_cndmask_b32_e32 v4, v5, v4, vcc
	v_cndmask_b32_e64 v5, 0, 1, vcc
	v_lshrrev_b64 v[12:13], v5, v[50:51]
; %bb.5175:                             ;   in Loop: Header=BB6_4406 Depth=4
	s_andn2_saveexec_b64 s[28:29], s[28:29]
; %bb.5176:                             ;   in Loop: Header=BB6_4406 Depth=4
	v_mov_b32_e32 v12, v50
	v_bfe_u32 v4, v50, 23, 1
	v_mov_b32_e32 v13, v51
; %bb.5177:                             ;   in Loop: Header=BB6_4406 Depth=4
	s_or_b64 exec, exec, s[28:29]
	v_lshrrev_b64 v[12:13], 20, v[12:13]
	v_cmp_gt_i32_e32 vcc, 16, v4
	v_cndmask_b32_e32 v13, 0, v13, vcc
	v_cndmask_b32_e32 v12, 7, v12, vcc
	v_cmp_eq_u32_e32 vcc, 0, v4
	v_min_i32_e32 v4, 15, v4
	v_cmp_eq_u64_e64 s[28:29], 0, v[12:13]
	v_lshlrev_b32_e32 v4, 3, v4
	v_and_b32_e32 v4, 0xf8, v4
	v_and_or_b32 v4, v12, 7, v4
	s_and_b64 s[28:29], vcc, s[28:29]
	v_cndmask_b32_e64 v4, v4, 0, s[28:29]
	v_or_b32_e32 v0, v4, v6
	buffer_store_dword v0, off, s[0:3], s33 offset:204 ; 4-byte Folded Spill
.LBB6_5178:                             ;   in Loop: Header=BB6_4406 Depth=4
	s_or_b64 exec, exec, s[36:37]
                                        ; implicit-def: $vgpr6
.LBB6_5179:                             ;   in Loop: Header=BB6_4406 Depth=4
	s_andn2_saveexec_b64 s[28:29], s[34:35]
	s_cbranch_execz .LBB6_5181
; %bb.5180:                             ;   in Loop: Header=BB6_4406 Depth=4
	v_or_b32_e32 v0, 0x7e, v6
	buffer_store_dword v0, off, s[0:3], s33 offset:204 ; 4-byte Folded Spill
.LBB6_5181:                             ;   in Loop: Header=BB6_4406 Depth=4
	s_or_b64 exec, exec, s[28:29]
                                        ; implicit-def: $vgpr4
.LBB6_5182:                             ;   in Loop: Header=BB6_4406 Depth=4
	s_andn2_saveexec_b64 s[28:29], s[30:31]
	s_cbranch_execz .LBB6_5184
; %bb.5183:                             ;   in Loop: Header=BB6_4406 Depth=4
	v_or_b32_sdwa v0, v4, s86 dst_sel:DWORD dst_unused:UNUSED_PAD src0_sel:BYTE_3 src1_sel:DWORD
	buffer_store_dword v0, off, s[0:3], s33 offset:204 ; 4-byte Folded Spill
.LBB6_5184:                             ;   in Loop: Header=BB6_4406 Depth=4
	s_or_b64 exec, exec, s[28:29]
	v_cmp_lt_u32_e32 vcc, s57, v8
	v_mov_b32_e32 v4, 0
	s_and_saveexec_b64 s[28:29], vcc
	s_cbranch_execz .LBB6_5190
; %bb.5185:                             ;   in Loop: Header=BB6_4406 Depth=4
	v_lshrrev_b32_e32 v12, 24, v8
	v_cmp_ne_u32_e32 vcc, s96, v12
	v_bfrev_b32_e32 v4, 1
	s_and_saveexec_b64 s[30:31], vcc
	s_cbranch_execz .LBB6_5189
; %bb.5186:                             ;   in Loop: Header=BB6_4406 Depth=4
	v_bfe_u32 v5, v8, 24, 7
	v_cmp_ne_u32_e32 vcc, s86, v5
	v_mov_b32_e32 v4, 0x7f800001
	s_and_saveexec_b64 s[34:35], vcc
	s_cbranch_execz .LBB6_5188
; %bb.5187:                             ;   in Loop: Header=BB6_4406 Depth=4
	v_and_b32_e32 v6, 7, v12
	v_ffbh_u32_e32 v4, v6
	v_min_u32_e32 v15, 32, v4
	v_lshrrev_b32_e32 v13, 3, v5
	v_subrev_u32_e32 v4, 28, v15
	v_cmp_gt_u32_e32 vcc, 8, v5
	v_lshlrev_b64 v[4:5], v4, v[12:13]
	v_sub_u32_e32 v5, 29, v15
	v_and_b32_e32 v4, 7, v4
	v_cndmask_b32_e32 v5, v13, v5, vcc
	v_cndmask_b32_e32 v4, v6, v4, vcc
	v_lshlrev_b32_e32 v6, 24, v12
	v_bfrev_b32_e32 v12, 60
	v_lshlrev_b32_e32 v4, 20, v4
	v_and_b32_e32 v6, 0x80000000, v6
	v_lshl_add_u32 v5, v5, 23, v12
	v_or3_b32 v4, v6, v5, v4
.LBB6_5188:                             ;   in Loop: Header=BB6_4406 Depth=4
	s_or_b64 exec, exec, s[34:35]
.LBB6_5189:                             ;   in Loop: Header=BB6_4406 Depth=4
	s_or_b64 exec, exec, s[30:31]
.LBB6_5190:                             ;   in Loop: Header=BB6_4406 Depth=4
	s_or_b64 exec, exec, s[28:29]
	v_mul_f32_e32 v4, v14, v4
	v_and_b32_e32 v50, 0x7f800000, v4
	v_cmp_ne_u64_e32 vcc, s[76:77], v[50:51]
                                        ; implicit-def: $vgpr0
                                        ; kill: killed $vgpr0
	s_and_saveexec_b64 s[28:29], vcc
	s_xor_b64 s[30:31], exec, s[28:29]
	s_cbranch_execz .LBB6_5204
; %bb.5191:                             ;   in Loop: Header=BB6_4406 Depth=4
	v_and_b32_e32 v50, 0x7fffffff, v4
	v_cmp_gt_u64_e32 vcc, s[78:79], v[50:51]
	v_and_b32_sdwa v6, v4, s96 dst_sel:DWORD dst_unused:UNUSED_PAD src0_sel:BYTE_3 src1_sel:DWORD
                                        ; implicit-def: $vgpr0
                                        ; kill: killed $vgpr0
	s_and_saveexec_b64 s[28:29], vcc
	s_xor_b64 s[34:35], exec, s[28:29]
	s_cbranch_execz .LBB6_5201
; %bb.5192:                             ;   in Loop: Header=BB6_4406 Depth=4
	v_mov_b32_e32 v0, 0
	v_cmp_ne_u32_e32 vcc, 0, v4
	buffer_store_dword v0, off, s[0:3], s33 offset:224 ; 4-byte Folded Spill
	s_and_saveexec_b64 s[36:37], vcc
	s_cbranch_execz .LBB6_5200
; %bb.5193:                             ;   in Loop: Header=BB6_4406 Depth=4
	v_bfe_u32 v15, v4, 23, 8
	v_and_b32_e32 v5, 0x7fffff, v4
	v_cmp_gt_u32_e64 s[28:29], s97, v15
	v_sub_u32_e32 v4, 0x79, v15
	v_cmp_eq_u32_e32 vcc, 0, v15
	v_cndmask_b32_e64 v4, 0, v4, s[28:29]
	v_mov_b32_e32 v13, 0x78
	v_cndmask_b32_e32 v16, v4, v13, vcc
	v_or_b32_e32 v12, 0x800000, v5
	v_add_u32_e32 v4, 20, v16
	v_cndmask_b32_e32 v50, v12, v5, vcc
	v_lshlrev_b64 v[4:5], v4, -1
	v_add_u32_e32 v12, 19, v16
	v_lshlrev_b64 v[12:13], v12, 1
	v_bfi_b32 v5, v5, 0, 0
	v_bfi_b32 v4, v4, 0, v50
	v_cmp_eq_u64_e64 s[28:29], v[4:5], v[12:13]
	v_lshrrev_b64 v[12:13], v16, v[50:51]
	v_mov_b32_e32 v4, v12
	v_mov_b32_e32 v5, v13
	s_and_saveexec_b64 s[38:39], s[28:29]
; %bb.5194:                             ;   in Loop: Header=BB6_4406 Depth=4
	v_bfe_u32 v4, v12, 20, 1
	v_add_co_u32_e64 v4, s[28:29], v12, v4
	v_add_co_u32_e64 v4, s[28:29], -1, v4
; %bb.5195:                             ;   in Loop: Header=BB6_4406 Depth=4
	s_or_b64 exec, exec, s[38:39]
	v_add_u32_e32 v5, 0xffffff81, v15
	v_mov_b32_e32 v13, 0xffffff82
	v_cndmask_b32_e32 v5, v5, v13, vcc
	v_lshrrev_b32_e32 v13, 23, v12
	v_add3_u32 v15, v16, v5, v13
	v_add_u32_e32 v5, 6, v15
	v_and_b32_e32 v4, 0xfffff, v4
	v_add_u32_e32 v50, v4, v12
	v_cmp_ne_u32_e32 vcc, 0, v5
                                        ; implicit-def: $vgpr12_vgpr13
                                        ; implicit-def: $vgpr4
	s_and_saveexec_b64 s[28:29], vcc
	s_xor_b64 s[28:29], exec, s[28:29]
; %bb.5196:                             ;   in Loop: Header=BB6_4406 Depth=4
	v_cmp_lt_u64_e32 vcc, s[88:89], v[50:51]
	v_add_u32_e32 v4, 7, v15
	v_cndmask_b32_e32 v4, v5, v4, vcc
	v_cndmask_b32_e64 v5, 0, 1, vcc
	v_lshrrev_b64 v[12:13], v5, v[50:51]
; %bb.5197:                             ;   in Loop: Header=BB6_4406 Depth=4
	s_andn2_saveexec_b64 s[28:29], s[28:29]
; %bb.5198:                             ;   in Loop: Header=BB6_4406 Depth=4
	v_mov_b32_e32 v12, v50
	v_bfe_u32 v4, v50, 23, 1
	v_mov_b32_e32 v13, v51
; %bb.5199:                             ;   in Loop: Header=BB6_4406 Depth=4
	s_or_b64 exec, exec, s[28:29]
	v_lshrrev_b64 v[12:13], 20, v[12:13]
	v_cmp_gt_i32_e32 vcc, 16, v4
	v_cndmask_b32_e32 v13, 0, v13, vcc
	v_cndmask_b32_e32 v12, 7, v12, vcc
	v_cmp_eq_u32_e32 vcc, 0, v4
	v_min_i32_e32 v4, 15, v4
	v_cmp_eq_u64_e64 s[28:29], 0, v[12:13]
	v_lshlrev_b32_e32 v4, 3, v4
	v_and_b32_e32 v4, 0xf8, v4
	v_and_or_b32 v4, v12, 7, v4
	s_and_b64 s[28:29], vcc, s[28:29]
	v_cndmask_b32_e64 v4, v4, 0, s[28:29]
	v_or_b32_e32 v0, v4, v6
	buffer_store_dword v0, off, s[0:3], s33 offset:224 ; 4-byte Folded Spill
.LBB6_5200:                             ;   in Loop: Header=BB6_4406 Depth=4
	s_or_b64 exec, exec, s[36:37]
                                        ; implicit-def: $vgpr6
.LBB6_5201:                             ;   in Loop: Header=BB6_4406 Depth=4
	s_andn2_saveexec_b64 s[28:29], s[34:35]
	s_cbranch_execz .LBB6_5203
; %bb.5202:                             ;   in Loop: Header=BB6_4406 Depth=4
	v_or_b32_e32 v0, 0x7e, v6
	buffer_store_dword v0, off, s[0:3], s33 offset:224 ; 4-byte Folded Spill
.LBB6_5203:                             ;   in Loop: Header=BB6_4406 Depth=4
	s_or_b64 exec, exec, s[28:29]
                                        ; implicit-def: $vgpr4
.LBB6_5204:                             ;   in Loop: Header=BB6_4406 Depth=4
	s_andn2_saveexec_b64 s[28:29], s[30:31]
	s_cbranch_execz .LBB6_5206
; %bb.5205:                             ;   in Loop: Header=BB6_4406 Depth=4
	v_or_b32_sdwa v0, v4, s86 dst_sel:DWORD dst_unused:UNUSED_PAD src0_sel:BYTE_3 src1_sel:DWORD
	buffer_store_dword v0, off, s[0:3], s33 offset:224 ; 4-byte Folded Spill
.LBB6_5206:                             ;   in Loop: Header=BB6_4406 Depth=4
	s_or_b64 exec, exec, s[28:29]
	v_mov_b32_e32 v50, v9
	v_cmp_ne_u16_sdwa vcc, v9, v51 src0_sel:BYTE_0 src1_sel:DWORD
	v_mov_b32_e32 v4, 0
	s_and_saveexec_b64 s[28:29], vcc
	s_cbranch_execz .LBB6_5212
; %bb.5207:                             ;   in Loop: Header=BB6_4406 Depth=4
	v_cmp_ne_u16_sdwa vcc, v9, s96 src0_sel:BYTE_0 src1_sel:DWORD
	v_bfrev_b32_e32 v4, 1
	s_and_saveexec_b64 s[30:31], vcc
	s_cbranch_execz .LBB6_5211
; %bb.5208:                             ;   in Loop: Header=BB6_4406 Depth=4
	v_and_b32_e32 v5, 0x7f, v9
	v_cmp_ne_u32_e32 vcc, s86, v5
	v_mov_b32_e32 v4, 0x7f800001
	s_and_saveexec_b64 s[34:35], vcc
	s_cbranch_execz .LBB6_5210
; %bb.5209:                             ;   in Loop: Header=BB6_4406 Depth=4
	v_and_b32_e32 v4, 7, v9
	v_ffbh_u32_e32 v4, v4
	v_min_u32_e32 v4, 32, v4
	v_lshrrev_b32_e32 v6, 3, v5
	v_cmp_gt_u32_e32 vcc, 8, v5
	v_subrev_u32_e32 v5, 28, v4
	v_sub_u32_e32 v4, 29, v4
	v_cndmask_b32_e32 v6, v6, v4, vcc
	v_cndmask_b32_e32 v4, 0, v5, vcc
	v_lshlrev_b64 v[4:5], v4, v[50:51]
	v_lshlrev_b32_e32 v5, 24, v50
	v_lshlrev_b32_e32 v4, 20, v4
	v_bfrev_b32_e32 v12, 60
	v_and_b32_e32 v4, 0x700000, v4
	v_and_b32_e32 v5, 0x80000000, v5
	v_lshl_add_u32 v6, v6, 23, v12
	v_or3_b32 v4, v5, v6, v4
.LBB6_5210:                             ;   in Loop: Header=BB6_4406 Depth=4
	s_or_b64 exec, exec, s[34:35]
.LBB6_5211:                             ;   in Loop: Header=BB6_4406 Depth=4
	s_or_b64 exec, exec, s[30:31]
.LBB6_5212:                             ;   in Loop: Header=BB6_4406 Depth=4
	s_or_b64 exec, exec, s[28:29]
	v_mul_f32_e32 v4, v14, v4
	v_and_b32_e32 v5, 0x7f800000, v4
	v_mov_b32_e32 v6, v51
	v_cmp_ne_u64_e32 vcc, s[76:77], v[5:6]
                                        ; implicit-def: $vgpr44
	s_and_saveexec_b64 s[28:29], vcc
	s_xor_b64 s[30:31], exec, s[28:29]
	s_cbranch_execz .LBB6_5226
; %bb.5213:                             ;   in Loop: Header=BB6_4406 Depth=4
	v_and_b32_e32 v5, 0x7fffffff, v4
	v_mov_b32_e32 v6, v51
	v_cmp_gt_u64_e32 vcc, s[78:79], v[5:6]
	v_and_b32_sdwa v6, v4, s96 dst_sel:DWORD dst_unused:UNUSED_PAD src0_sel:BYTE_3 src1_sel:DWORD
                                        ; implicit-def: $vgpr44
	s_and_saveexec_b64 s[28:29], vcc
	s_xor_b64 s[34:35], exec, s[28:29]
	s_cbranch_execz .LBB6_5223
; %bb.5214:                             ;   in Loop: Header=BB6_4406 Depth=4
	v_mov_b32_e32 v44, 0
	v_cmp_ne_u32_e32 vcc, 0, v4
	s_and_saveexec_b64 s[36:37], vcc
	s_cbranch_execz .LBB6_5222
; %bb.5215:                             ;   in Loop: Header=BB6_4406 Depth=4
	v_bfe_u32 v15, v4, 23, 8
	v_and_b32_e32 v5, 0x7fffff, v4
	v_cmp_gt_u32_e64 s[28:29], s97, v15
	v_sub_u32_e32 v4, 0x79, v15
	v_cmp_eq_u32_e32 vcc, 0, v15
	v_cndmask_b32_e64 v4, 0, v4, s[28:29]
	v_mov_b32_e32 v13, 0x78
	v_or_b32_e32 v12, 0x800000, v5
	v_cndmask_b32_e32 v16, v4, v13, vcc
	v_cndmask_b32_e32 v4, v12, v5, vcc
	v_add_u32_e32 v12, 20, v16
	v_lshlrev_b64 v[12:13], v12, -1
	v_add_u32_e32 v17, 19, v16
	v_lshlrev_b64 v[17:18], v17, 1
	v_mov_b32_e32 v5, v51
	v_bfi_b32 v13, v13, 0, 0
	v_bfi_b32 v12, v12, 0, v4
	v_cmp_eq_u64_e64 s[28:29], v[12:13], v[17:18]
	v_lshrrev_b64 v[12:13], v16, v[4:5]
	v_mov_b32_e32 v4, v12
	v_mov_b32_e32 v5, v13
	s_and_saveexec_b64 s[38:39], s[28:29]
; %bb.5216:                             ;   in Loop: Header=BB6_4406 Depth=4
	v_bfe_u32 v4, v12, 20, 1
	v_add_co_u32_e64 v4, s[28:29], v12, v4
	v_add_co_u32_e64 v4, s[28:29], -1, v4
; %bb.5217:                             ;   in Loop: Header=BB6_4406 Depth=4
	s_or_b64 exec, exec, s[38:39]
	v_add_u32_e32 v5, 0xffffff81, v15
	v_mov_b32_e32 v13, 0xffffff82
	v_cndmask_b32_e32 v5, v5, v13, vcc
	v_lshrrev_b32_e32 v13, 23, v12
	v_add3_u32 v15, v16, v5, v13
	v_add_u32_e32 v5, 6, v15
	v_and_b32_e32 v4, 0xfffff, v4
	v_add_u32_e32 v12, v4, v12
	v_mov_b32_e32 v13, v51
	v_cmp_ne_u32_e32 vcc, 0, v5
                                        ; implicit-def: $vgpr4
	s_and_saveexec_b64 s[28:29], vcc
	s_xor_b64 s[28:29], exec, s[28:29]
; %bb.5218:                             ;   in Loop: Header=BB6_4406 Depth=4
	v_cmp_lt_u64_e32 vcc, s[88:89], v[12:13]
	v_add_u32_e32 v4, 7, v15
	v_cndmask_b32_e32 v4, v5, v4, vcc
	v_cndmask_b32_e64 v5, 0, 1, vcc
	v_lshrrev_b64 v[12:13], v5, v[12:13]
; %bb.5219:                             ;   in Loop: Header=BB6_4406 Depth=4
	s_andn2_saveexec_b64 s[28:29], s[28:29]
; %bb.5220:                             ;   in Loop: Header=BB6_4406 Depth=4
	v_bfe_u32 v4, v12, 23, 1
; %bb.5221:                             ;   in Loop: Header=BB6_4406 Depth=4
	s_or_b64 exec, exec, s[28:29]
	v_lshrrev_b64 v[12:13], 20, v[12:13]
	v_cmp_gt_i32_e32 vcc, 16, v4
	v_cndmask_b32_e32 v13, 0, v13, vcc
	v_cndmask_b32_e32 v12, 7, v12, vcc
	v_cmp_eq_u32_e32 vcc, 0, v4
	v_min_i32_e32 v4, 15, v4
	v_cmp_eq_u64_e64 s[28:29], 0, v[12:13]
	v_lshlrev_b32_e32 v4, 3, v4
	v_and_b32_e32 v4, 0xf8, v4
	v_and_or_b32 v4, v12, 7, v4
	s_and_b64 s[28:29], vcc, s[28:29]
	v_cndmask_b32_e64 v4, v4, 0, s[28:29]
	v_or_b32_e32 v44, v4, v6
.LBB6_5222:                             ;   in Loop: Header=BB6_4406 Depth=4
	s_or_b64 exec, exec, s[36:37]
                                        ; implicit-def: $vgpr6
.LBB6_5223:                             ;   in Loop: Header=BB6_4406 Depth=4
	s_andn2_saveexec_b64 s[28:29], s[34:35]
; %bb.5224:                             ;   in Loop: Header=BB6_4406 Depth=4
	v_or_b32_e32 v44, 0x7e, v6
; %bb.5225:                             ;   in Loop: Header=BB6_4406 Depth=4
	s_or_b64 exec, exec, s[28:29]
                                        ; implicit-def: $vgpr4
.LBB6_5226:                             ;   in Loop: Header=BB6_4406 Depth=4
	s_andn2_saveexec_b64 s[28:29], s[30:31]
; %bb.5227:                             ;   in Loop: Header=BB6_4406 Depth=4
	v_or_b32_sdwa v44, v4, s86 dst_sel:DWORD dst_unused:UNUSED_PAD src0_sel:BYTE_3 src1_sel:DWORD
; %bb.5228:                             ;   in Loop: Header=BB6_4406 Depth=4
	s_or_b64 exec, exec, s[28:29]
	v_lshrrev_b16_e32 v12, 8, v50
	v_cmp_ne_u16_e32 vcc, 0, v12
	v_mov_b32_e32 v4, 0
	s_and_saveexec_b64 s[28:29], vcc
	s_cbranch_execz .LBB6_5234
; %bb.5229:                             ;   in Loop: Header=BB6_4406 Depth=4
	v_cmp_ne_u16_e32 vcc, s96, v12
	v_bfrev_b32_e32 v4, 1
	s_and_saveexec_b64 s[30:31], vcc
	s_cbranch_execz .LBB6_5233
; %bb.5230:                             ;   in Loop: Header=BB6_4406 Depth=4
	v_and_b32_e32 v5, 0x7f, v12
	v_cmp_ne_u32_e32 vcc, s86, v5
	v_mov_b32_e32 v4, 0x7f800001
	s_and_saveexec_b64 s[34:35], vcc
	s_cbranch_execz .LBB6_5232
; %bb.5231:                             ;   in Loop: Header=BB6_4406 Depth=4
	v_and_b32_e32 v6, 7, v12
	v_ffbh_u32_e32 v4, v6
	v_min_u32_e32 v15, 32, v4
	v_lshrrev_b32_e32 v13, 3, v5
	v_subrev_u32_e32 v4, 28, v15
	v_cmp_gt_u32_e32 vcc, 8, v5
	v_lshlrev_b64 v[4:5], v4, v[12:13]
	v_sub_u32_e32 v5, 29, v15
	v_and_b32_e32 v4, 7, v4
	v_cndmask_b32_e32 v5, v13, v5, vcc
	v_cndmask_b32_e32 v4, v6, v4, vcc
	v_lshlrev_b32_e32 v6, 16, v50
	v_bfrev_b32_e32 v12, 60
	v_lshlrev_b32_e32 v4, 20, v4
	v_and_b32_e32 v6, 0x80000000, v6
	v_lshl_add_u32 v5, v5, 23, v12
	v_or3_b32 v4, v6, v5, v4
.LBB6_5232:                             ;   in Loop: Header=BB6_4406 Depth=4
	s_or_b64 exec, exec, s[34:35]
.LBB6_5233:                             ;   in Loop: Header=BB6_4406 Depth=4
	s_or_b64 exec, exec, s[30:31]
.LBB6_5234:                             ;   in Loop: Header=BB6_4406 Depth=4
	s_or_b64 exec, exec, s[28:29]
	v_mul_f32_e32 v4, v14, v4
	v_and_b32_e32 v50, 0x7f800000, v4
	v_cmp_ne_u64_e32 vcc, s[76:77], v[50:51]
                                        ; implicit-def: $vgpr5
                                        ; kill: killed $vgpr5
	s_and_saveexec_b64 s[28:29], vcc
	s_xor_b64 s[30:31], exec, s[28:29]
	s_cbranch_execz .LBB6_5248
; %bb.5235:                             ;   in Loop: Header=BB6_4406 Depth=4
	v_and_b32_e32 v50, 0x7fffffff, v4
	v_cmp_gt_u64_e32 vcc, s[78:79], v[50:51]
	v_and_b32_sdwa v6, v4, s96 dst_sel:DWORD dst_unused:UNUSED_PAD src0_sel:BYTE_3 src1_sel:DWORD
                                        ; implicit-def: $vgpr5
                                        ; kill: killed $vgpr5
	s_and_saveexec_b64 s[28:29], vcc
	s_xor_b64 s[34:35], exec, s[28:29]
	s_cbranch_execz .LBB6_5245
; %bb.5236:                             ;   in Loop: Header=BB6_4406 Depth=4
	v_mov_b32_e32 v5, 0
	v_cmp_ne_u32_e32 vcc, 0, v4
	buffer_store_dword v5, off, s[0:3], s33 offset:176 ; 4-byte Folded Spill
	s_and_saveexec_b64 s[36:37], vcc
	s_cbranch_execz .LBB6_5244
; %bb.5237:                             ;   in Loop: Header=BB6_4406 Depth=4
	v_bfe_u32 v15, v4, 23, 8
	v_and_b32_e32 v5, 0x7fffff, v4
	v_cmp_gt_u32_e64 s[28:29], s97, v15
	v_sub_u32_e32 v4, 0x79, v15
	v_cmp_eq_u32_e32 vcc, 0, v15
	v_cndmask_b32_e64 v4, 0, v4, s[28:29]
	v_mov_b32_e32 v13, 0x78
	v_cndmask_b32_e32 v16, v4, v13, vcc
	v_or_b32_e32 v12, 0x800000, v5
	v_add_u32_e32 v4, 20, v16
	v_cndmask_b32_e32 v50, v12, v5, vcc
	v_lshlrev_b64 v[4:5], v4, -1
	v_add_u32_e32 v12, 19, v16
	v_lshlrev_b64 v[12:13], v12, 1
	v_bfi_b32 v5, v5, 0, 0
	v_bfi_b32 v4, v4, 0, v50
	v_cmp_eq_u64_e64 s[28:29], v[4:5], v[12:13]
	v_lshrrev_b64 v[12:13], v16, v[50:51]
	v_mov_b32_e32 v4, v12
	v_mov_b32_e32 v5, v13
	s_and_saveexec_b64 s[38:39], s[28:29]
; %bb.5238:                             ;   in Loop: Header=BB6_4406 Depth=4
	v_bfe_u32 v4, v12, 20, 1
	v_add_co_u32_e64 v4, s[28:29], v12, v4
	v_add_co_u32_e64 v4, s[28:29], -1, v4
; %bb.5239:                             ;   in Loop: Header=BB6_4406 Depth=4
	s_or_b64 exec, exec, s[38:39]
	v_add_u32_e32 v5, 0xffffff81, v15
	v_mov_b32_e32 v13, 0xffffff82
	v_cndmask_b32_e32 v5, v5, v13, vcc
	v_lshrrev_b32_e32 v13, 23, v12
	v_add3_u32 v15, v16, v5, v13
	v_add_u32_e32 v5, 6, v15
	v_and_b32_e32 v4, 0xfffff, v4
	v_add_u32_e32 v50, v4, v12
	v_cmp_ne_u32_e32 vcc, 0, v5
                                        ; implicit-def: $vgpr12_vgpr13
                                        ; implicit-def: $vgpr4
	s_and_saveexec_b64 s[28:29], vcc
	s_xor_b64 s[28:29], exec, s[28:29]
; %bb.5240:                             ;   in Loop: Header=BB6_4406 Depth=4
	v_cmp_lt_u64_e32 vcc, s[88:89], v[50:51]
	v_add_u32_e32 v4, 7, v15
	v_cndmask_b32_e32 v4, v5, v4, vcc
	v_cndmask_b32_e64 v5, 0, 1, vcc
	v_lshrrev_b64 v[12:13], v5, v[50:51]
; %bb.5241:                             ;   in Loop: Header=BB6_4406 Depth=4
	s_andn2_saveexec_b64 s[28:29], s[28:29]
; %bb.5242:                             ;   in Loop: Header=BB6_4406 Depth=4
	v_mov_b32_e32 v12, v50
	v_bfe_u32 v4, v50, 23, 1
	v_mov_b32_e32 v13, v51
; %bb.5243:                             ;   in Loop: Header=BB6_4406 Depth=4
	s_or_b64 exec, exec, s[28:29]
	v_lshrrev_b64 v[12:13], 20, v[12:13]
	v_cmp_gt_i32_e32 vcc, 16, v4
	v_cndmask_b32_e32 v13, 0, v13, vcc
	v_cndmask_b32_e32 v12, 7, v12, vcc
	v_cmp_eq_u32_e32 vcc, 0, v4
	v_min_i32_e32 v4, 15, v4
	v_cmp_eq_u64_e64 s[28:29], 0, v[12:13]
	v_lshlrev_b32_e32 v4, 3, v4
	v_and_b32_e32 v4, 0xf8, v4
	v_and_or_b32 v4, v12, 7, v4
	s_and_b64 s[28:29], vcc, s[28:29]
	v_cndmask_b32_e64 v4, v4, 0, s[28:29]
	v_or_b32_e32 v4, v4, v6
	buffer_store_dword v4, off, s[0:3], s33 offset:176 ; 4-byte Folded Spill
.LBB6_5244:                             ;   in Loop: Header=BB6_4406 Depth=4
	s_or_b64 exec, exec, s[36:37]
                                        ; implicit-def: $vgpr6
.LBB6_5245:                             ;   in Loop: Header=BB6_4406 Depth=4
	s_andn2_saveexec_b64 s[28:29], s[34:35]
	s_cbranch_execz .LBB6_5247
; %bb.5246:                             ;   in Loop: Header=BB6_4406 Depth=4
	v_or_b32_e32 v4, 0x7e, v6
	buffer_store_dword v4, off, s[0:3], s33 offset:176 ; 4-byte Folded Spill
.LBB6_5247:                             ;   in Loop: Header=BB6_4406 Depth=4
	s_or_b64 exec, exec, s[28:29]
                                        ; implicit-def: $vgpr4
.LBB6_5248:                             ;   in Loop: Header=BB6_4406 Depth=4
	s_andn2_saveexec_b64 s[28:29], s[30:31]
	s_cbranch_execz .LBB6_5250
; %bb.5249:                             ;   in Loop: Header=BB6_4406 Depth=4
	v_or_b32_sdwa v4, v4, s86 dst_sel:DWORD dst_unused:UNUSED_PAD src0_sel:BYTE_3 src1_sel:DWORD
	buffer_store_dword v4, off, s[0:3], s33 offset:176 ; 4-byte Folded Spill
.LBB6_5250:                             ;   in Loop: Header=BB6_4406 Depth=4
	s_or_b64 exec, exec, s[28:29]
	v_lshrrev_b32_e32 v12, 16, v9
	v_cmp_ne_u16_sdwa vcc, v12, v51 src0_sel:BYTE_0 src1_sel:DWORD
	v_mov_b32_e32 v4, 0
	s_and_saveexec_b64 s[28:29], vcc
	s_cbranch_execz .LBB6_5256
; %bb.5251:                             ;   in Loop: Header=BB6_4406 Depth=4
	v_cmp_ne_u16_sdwa vcc, v12, s96 src0_sel:BYTE_0 src1_sel:DWORD
	v_bfrev_b32_e32 v4, 1
	s_and_saveexec_b64 s[30:31], vcc
	s_cbranch_execz .LBB6_5255
; %bb.5252:                             ;   in Loop: Header=BB6_4406 Depth=4
	v_bfe_u32 v5, v9, 16, 7
	v_cmp_ne_u32_e32 vcc, s86, v5
	v_mov_b32_e32 v4, 0x7f800001
	s_and_saveexec_b64 s[34:35], vcc
	s_cbranch_execz .LBB6_5254
; %bb.5253:                             ;   in Loop: Header=BB6_4406 Depth=4
	v_and_b32_e32 v6, 7, v12
	v_ffbh_u32_e32 v4, v6
	v_min_u32_e32 v15, 32, v4
	v_lshrrev_b32_e32 v13, 3, v5
	v_subrev_u32_e32 v4, 28, v15
	v_cmp_gt_u32_e32 vcc, 8, v5
	v_lshlrev_b64 v[4:5], v4, v[12:13]
	v_sub_u32_e32 v5, 29, v15
	v_and_b32_e32 v4, 7, v4
	v_cndmask_b32_e32 v5, v13, v5, vcc
	v_cndmask_b32_e32 v4, v6, v4, vcc
	v_lshlrev_b32_e32 v6, 24, v12
	v_bfrev_b32_e32 v12, 60
	v_lshlrev_b32_e32 v4, 20, v4
	v_and_b32_e32 v6, 0x80000000, v6
	v_lshl_add_u32 v5, v5, 23, v12
	v_or3_b32 v4, v6, v5, v4
.LBB6_5254:                             ;   in Loop: Header=BB6_4406 Depth=4
	s_or_b64 exec, exec, s[34:35]
.LBB6_5255:                             ;   in Loop: Header=BB6_4406 Depth=4
	s_or_b64 exec, exec, s[30:31]
.LBB6_5256:                             ;   in Loop: Header=BB6_4406 Depth=4
	s_or_b64 exec, exec, s[28:29]
	v_mul_f32_e32 v4, v14, v4
	v_and_b32_e32 v50, 0x7f800000, v4
	v_cmp_ne_u64_e32 vcc, s[76:77], v[50:51]
                                        ; implicit-def: $vgpr5
                                        ; kill: killed $vgpr5
	s_and_saveexec_b64 s[28:29], vcc
	s_xor_b64 s[30:31], exec, s[28:29]
	s_cbranch_execz .LBB6_5270
; %bb.5257:                             ;   in Loop: Header=BB6_4406 Depth=4
	v_and_b32_e32 v50, 0x7fffffff, v4
	v_cmp_gt_u64_e32 vcc, s[78:79], v[50:51]
	v_and_b32_sdwa v6, v4, s96 dst_sel:DWORD dst_unused:UNUSED_PAD src0_sel:BYTE_3 src1_sel:DWORD
                                        ; implicit-def: $vgpr5
                                        ; kill: killed $vgpr5
	s_and_saveexec_b64 s[28:29], vcc
	s_xor_b64 s[34:35], exec, s[28:29]
	s_cbranch_execz .LBB6_5267
; %bb.5258:                             ;   in Loop: Header=BB6_4406 Depth=4
	v_mov_b32_e32 v5, 0
	v_cmp_ne_u32_e32 vcc, 0, v4
	buffer_store_dword v5, off, s[0:3], s33 offset:192 ; 4-byte Folded Spill
	s_and_saveexec_b64 s[36:37], vcc
	s_cbranch_execz .LBB6_5266
; %bb.5259:                             ;   in Loop: Header=BB6_4406 Depth=4
	v_bfe_u32 v15, v4, 23, 8
	v_and_b32_e32 v5, 0x7fffff, v4
	v_cmp_gt_u32_e64 s[28:29], s97, v15
	v_sub_u32_e32 v4, 0x79, v15
	v_cmp_eq_u32_e32 vcc, 0, v15
	v_cndmask_b32_e64 v4, 0, v4, s[28:29]
	v_mov_b32_e32 v13, 0x78
	v_cndmask_b32_e32 v16, v4, v13, vcc
	v_or_b32_e32 v12, 0x800000, v5
	v_add_u32_e32 v4, 20, v16
	v_cndmask_b32_e32 v50, v12, v5, vcc
	v_lshlrev_b64 v[4:5], v4, -1
	v_add_u32_e32 v12, 19, v16
	v_lshlrev_b64 v[12:13], v12, 1
	v_bfi_b32 v5, v5, 0, 0
	v_bfi_b32 v4, v4, 0, v50
	v_cmp_eq_u64_e64 s[28:29], v[4:5], v[12:13]
	v_lshrrev_b64 v[12:13], v16, v[50:51]
	v_mov_b32_e32 v4, v12
	v_mov_b32_e32 v5, v13
	s_and_saveexec_b64 s[38:39], s[28:29]
; %bb.5260:                             ;   in Loop: Header=BB6_4406 Depth=4
	v_bfe_u32 v4, v12, 20, 1
	v_add_co_u32_e64 v4, s[28:29], v12, v4
	v_add_co_u32_e64 v4, s[28:29], -1, v4
; %bb.5261:                             ;   in Loop: Header=BB6_4406 Depth=4
	s_or_b64 exec, exec, s[38:39]
	v_add_u32_e32 v5, 0xffffff81, v15
	v_mov_b32_e32 v13, 0xffffff82
	v_cndmask_b32_e32 v5, v5, v13, vcc
	v_lshrrev_b32_e32 v13, 23, v12
	v_add3_u32 v15, v16, v5, v13
	v_add_u32_e32 v5, 6, v15
	v_and_b32_e32 v4, 0xfffff, v4
	v_add_u32_e32 v50, v4, v12
	v_cmp_ne_u32_e32 vcc, 0, v5
                                        ; implicit-def: $vgpr12_vgpr13
                                        ; implicit-def: $vgpr4
	s_and_saveexec_b64 s[28:29], vcc
	s_xor_b64 s[28:29], exec, s[28:29]
; %bb.5262:                             ;   in Loop: Header=BB6_4406 Depth=4
	v_cmp_lt_u64_e32 vcc, s[88:89], v[50:51]
	v_add_u32_e32 v4, 7, v15
	v_cndmask_b32_e32 v4, v5, v4, vcc
	v_cndmask_b32_e64 v5, 0, 1, vcc
	v_lshrrev_b64 v[12:13], v5, v[50:51]
; %bb.5263:                             ;   in Loop: Header=BB6_4406 Depth=4
	s_andn2_saveexec_b64 s[28:29], s[28:29]
; %bb.5264:                             ;   in Loop: Header=BB6_4406 Depth=4
	v_mov_b32_e32 v12, v50
	v_bfe_u32 v4, v50, 23, 1
	v_mov_b32_e32 v13, v51
; %bb.5265:                             ;   in Loop: Header=BB6_4406 Depth=4
	s_or_b64 exec, exec, s[28:29]
	v_lshrrev_b64 v[12:13], 20, v[12:13]
	v_cmp_gt_i32_e32 vcc, 16, v4
	v_cndmask_b32_e32 v13, 0, v13, vcc
	v_cndmask_b32_e32 v12, 7, v12, vcc
	v_cmp_eq_u32_e32 vcc, 0, v4
	v_min_i32_e32 v4, 15, v4
	v_cmp_eq_u64_e64 s[28:29], 0, v[12:13]
	v_lshlrev_b32_e32 v4, 3, v4
	v_and_b32_e32 v4, 0xf8, v4
	v_and_or_b32 v4, v12, 7, v4
	s_and_b64 s[28:29], vcc, s[28:29]
	v_cndmask_b32_e64 v4, v4, 0, s[28:29]
	v_or_b32_e32 v4, v4, v6
	buffer_store_dword v4, off, s[0:3], s33 offset:192 ; 4-byte Folded Spill
.LBB6_5266:                             ;   in Loop: Header=BB6_4406 Depth=4
	s_or_b64 exec, exec, s[36:37]
                                        ; implicit-def: $vgpr6
.LBB6_5267:                             ;   in Loop: Header=BB6_4406 Depth=4
	s_andn2_saveexec_b64 s[28:29], s[34:35]
	s_cbranch_execz .LBB6_5269
; %bb.5268:                             ;   in Loop: Header=BB6_4406 Depth=4
	v_or_b32_e32 v4, 0x7e, v6
	buffer_store_dword v4, off, s[0:3], s33 offset:192 ; 4-byte Folded Spill
.LBB6_5269:                             ;   in Loop: Header=BB6_4406 Depth=4
	s_or_b64 exec, exec, s[28:29]
                                        ; implicit-def: $vgpr4
.LBB6_5270:                             ;   in Loop: Header=BB6_4406 Depth=4
	s_andn2_saveexec_b64 s[28:29], s[30:31]
	s_cbranch_execz .LBB6_5272
; %bb.5271:                             ;   in Loop: Header=BB6_4406 Depth=4
	v_or_b32_sdwa v4, v4, s86 dst_sel:DWORD dst_unused:UNUSED_PAD src0_sel:BYTE_3 src1_sel:DWORD
	buffer_store_dword v4, off, s[0:3], s33 offset:192 ; 4-byte Folded Spill
.LBB6_5272:                             ;   in Loop: Header=BB6_4406 Depth=4
	s_or_b64 exec, exec, s[28:29]
	v_cmp_lt_u64_e32 vcc, s[56:57], v[8:9]
	v_mov_b32_e32 v4, 0
	s_and_saveexec_b64 s[28:29], vcc
	s_cbranch_execz .LBB6_5278
; %bb.5273:                             ;   in Loop: Header=BB6_4406 Depth=4
	v_lshrrev_b32_e32 v8, 24, v9
	v_cmp_ne_u32_e32 vcc, s96, v8
	v_bfrev_b32_e32 v4, 1
	s_and_saveexec_b64 s[30:31], vcc
	s_cbranch_execz .LBB6_5277
; %bb.5274:                             ;   in Loop: Header=BB6_4406 Depth=4
	v_bfe_u32 v5, v9, 24, 7
	v_cmp_ne_u32_e32 vcc, s86, v5
	v_mov_b32_e32 v4, 0x7f800001
	s_and_saveexec_b64 s[34:35], vcc
	s_cbranch_execz .LBB6_5276
; %bb.5275:                             ;   in Loop: Header=BB6_4406 Depth=4
	v_and_b32_e32 v6, 7, v8
	v_ffbh_u32_e32 v4, v6
	v_min_u32_e32 v12, 32, v4
	v_lshrrev_b32_e32 v9, 3, v5
	v_subrev_u32_e32 v4, 28, v12
	v_cmp_gt_u32_e32 vcc, 8, v5
	v_lshlrev_b64 v[4:5], v4, v[8:9]
	v_sub_u32_e32 v5, 29, v12
	v_and_b32_e32 v4, 7, v4
	v_cndmask_b32_e32 v5, v9, v5, vcc
	v_cndmask_b32_e32 v4, v6, v4, vcc
	v_lshlrev_b32_e32 v6, 24, v8
	v_bfrev_b32_e32 v8, 60
	v_lshlrev_b32_e32 v4, 20, v4
	v_and_b32_e32 v6, 0x80000000, v6
	v_lshl_add_u32 v5, v5, 23, v8
	v_or3_b32 v4, v6, v5, v4
.LBB6_5276:                             ;   in Loop: Header=BB6_4406 Depth=4
	s_or_b64 exec, exec, s[34:35]
.LBB6_5277:                             ;   in Loop: Header=BB6_4406 Depth=4
	s_or_b64 exec, exec, s[30:31]
.LBB6_5278:                             ;   in Loop: Header=BB6_4406 Depth=4
	s_or_b64 exec, exec, s[28:29]
	v_mul_f32_e32 v4, v14, v4
	v_and_b32_e32 v50, 0x7f800000, v4
	v_cmp_ne_u64_e32 vcc, s[76:77], v[50:51]
                                        ; implicit-def: $vgpr0
                                        ; kill: killed $vgpr0
	s_and_saveexec_b64 s[28:29], vcc
	s_xor_b64 s[30:31], exec, s[28:29]
	s_cbranch_execz .LBB6_5292
; %bb.5279:                             ;   in Loop: Header=BB6_4406 Depth=4
	v_and_b32_e32 v50, 0x7fffffff, v4
	v_cmp_gt_u64_e32 vcc, s[78:79], v[50:51]
	v_and_b32_sdwa v6, v4, s96 dst_sel:DWORD dst_unused:UNUSED_PAD src0_sel:BYTE_3 src1_sel:DWORD
                                        ; implicit-def: $vgpr0
                                        ; kill: killed $vgpr0
	s_and_saveexec_b64 s[28:29], vcc
	s_xor_b64 s[34:35], exec, s[28:29]
	s_cbranch_execz .LBB6_5289
; %bb.5280:                             ;   in Loop: Header=BB6_4406 Depth=4
	v_mov_b32_e32 v0, 0
	v_cmp_ne_u32_e32 vcc, 0, v4
	buffer_store_dword v0, off, s[0:3], s33 offset:208 ; 4-byte Folded Spill
	s_and_saveexec_b64 s[36:37], vcc
	s_cbranch_execz .LBB6_5288
; %bb.5281:                             ;   in Loop: Header=BB6_4406 Depth=4
	v_bfe_u32 v12, v4, 23, 8
	v_and_b32_e32 v5, 0x7fffff, v4
	v_cmp_gt_u32_e64 s[28:29], s97, v12
	v_sub_u32_e32 v4, 0x79, v12
	v_cmp_eq_u32_e32 vcc, 0, v12
	v_cndmask_b32_e64 v4, 0, v4, s[28:29]
	v_mov_b32_e32 v9, 0x78
	v_cndmask_b32_e32 v13, v4, v9, vcc
	v_or_b32_e32 v8, 0x800000, v5
	v_add_u32_e32 v4, 20, v13
	v_cndmask_b32_e32 v50, v8, v5, vcc
	v_lshlrev_b64 v[4:5], v4, -1
	v_add_u32_e32 v8, 19, v13
	v_lshlrev_b64 v[8:9], v8, 1
	v_bfi_b32 v5, v5, 0, 0
	v_bfi_b32 v4, v4, 0, v50
	v_cmp_eq_u64_e64 s[28:29], v[4:5], v[8:9]
	v_lshrrev_b64 v[8:9], v13, v[50:51]
	v_mov_b32_e32 v4, v8
	v_mov_b32_e32 v5, v9
	s_and_saveexec_b64 s[38:39], s[28:29]
; %bb.5282:                             ;   in Loop: Header=BB6_4406 Depth=4
	v_bfe_u32 v4, v8, 20, 1
	v_add_co_u32_e64 v4, s[28:29], v8, v4
	v_add_co_u32_e64 v4, s[28:29], -1, v4
; %bb.5283:                             ;   in Loop: Header=BB6_4406 Depth=4
	s_or_b64 exec, exec, s[38:39]
	v_add_u32_e32 v5, 0xffffff81, v12
	v_mov_b32_e32 v9, 0xffffff82
	v_cndmask_b32_e32 v5, v5, v9, vcc
	v_lshrrev_b32_e32 v9, 23, v8
	v_add3_u32 v12, v13, v5, v9
	v_add_u32_e32 v5, 6, v12
	v_and_b32_e32 v4, 0xfffff, v4
	v_add_u32_e32 v50, v4, v8
	v_cmp_ne_u32_e32 vcc, 0, v5
                                        ; implicit-def: $vgpr8_vgpr9
                                        ; implicit-def: $vgpr4
	s_and_saveexec_b64 s[28:29], vcc
	s_xor_b64 s[28:29], exec, s[28:29]
; %bb.5284:                             ;   in Loop: Header=BB6_4406 Depth=4
	v_cmp_lt_u64_e32 vcc, s[88:89], v[50:51]
	v_add_u32_e32 v4, 7, v12
	v_cndmask_b32_e32 v4, v5, v4, vcc
	v_cndmask_b32_e64 v5, 0, 1, vcc
	v_lshrrev_b64 v[8:9], v5, v[50:51]
; %bb.5285:                             ;   in Loop: Header=BB6_4406 Depth=4
	s_andn2_saveexec_b64 s[28:29], s[28:29]
; %bb.5286:                             ;   in Loop: Header=BB6_4406 Depth=4
	v_mov_b32_e32 v8, v50
	v_bfe_u32 v4, v50, 23, 1
	v_mov_b32_e32 v9, v51
; %bb.5287:                             ;   in Loop: Header=BB6_4406 Depth=4
	s_or_b64 exec, exec, s[28:29]
	v_lshrrev_b64 v[8:9], 20, v[8:9]
	v_cmp_gt_i32_e32 vcc, 16, v4
	v_cndmask_b32_e32 v9, 0, v9, vcc
	v_cndmask_b32_e32 v8, 7, v8, vcc
	v_cmp_eq_u32_e32 vcc, 0, v4
	v_min_i32_e32 v4, 15, v4
	v_cmp_eq_u64_e64 s[28:29], 0, v[8:9]
	v_lshlrev_b32_e32 v4, 3, v4
	v_and_b32_e32 v4, 0xf8, v4
	v_and_or_b32 v4, v8, 7, v4
	s_and_b64 s[28:29], vcc, s[28:29]
	v_cndmask_b32_e64 v4, v4, 0, s[28:29]
	v_or_b32_e32 v0, v4, v6
	buffer_store_dword v0, off, s[0:3], s33 offset:208 ; 4-byte Folded Spill
.LBB6_5288:                             ;   in Loop: Header=BB6_4406 Depth=4
	s_or_b64 exec, exec, s[36:37]
                                        ; implicit-def: $vgpr6
.LBB6_5289:                             ;   in Loop: Header=BB6_4406 Depth=4
	s_andn2_saveexec_b64 s[28:29], s[34:35]
	s_cbranch_execz .LBB6_5291
; %bb.5290:                             ;   in Loop: Header=BB6_4406 Depth=4
	v_or_b32_e32 v0, 0x7e, v6
	buffer_store_dword v0, off, s[0:3], s33 offset:208 ; 4-byte Folded Spill
.LBB6_5291:                             ;   in Loop: Header=BB6_4406 Depth=4
	s_or_b64 exec, exec, s[28:29]
                                        ; implicit-def: $vgpr4
.LBB6_5292:                             ;   in Loop: Header=BB6_4406 Depth=4
	s_andn2_saveexec_b64 s[28:29], s[30:31]
	s_cbranch_execz .LBB6_5294
; %bb.5293:                             ;   in Loop: Header=BB6_4406 Depth=4
	v_or_b32_sdwa v0, v4, s86 dst_sel:DWORD dst_unused:UNUSED_PAD src0_sel:BYTE_3 src1_sel:DWORD
	buffer_store_dword v0, off, s[0:3], s33 offset:208 ; 4-byte Folded Spill
.LBB6_5294:                             ;   in Loop: Header=BB6_4406 Depth=4
	s_or_b64 exec, exec, s[28:29]
	v_cmp_ne_u16_sdwa vcc, v10, v51 src0_sel:BYTE_0 src1_sel:DWORD
	v_mov_b32_e32 v4, 0
	s_and_saveexec_b64 s[28:29], vcc
	s_cbranch_execz .LBB6_5300
; %bb.5295:                             ;   in Loop: Header=BB6_4406 Depth=4
	v_cmp_ne_u16_sdwa vcc, v10, s96 src0_sel:BYTE_0 src1_sel:DWORD
	v_bfrev_b32_e32 v4, 1
	s_and_saveexec_b64 s[30:31], vcc
	s_cbranch_execz .LBB6_5299
; %bb.5296:                             ;   in Loop: Header=BB6_4406 Depth=4
	v_and_b32_e32 v5, 0x7f, v10
	v_cmp_ne_u32_e32 vcc, s86, v5
	v_mov_b32_e32 v4, 0x7f800001
	s_and_saveexec_b64 s[34:35], vcc
	s_cbranch_execz .LBB6_5298
; %bb.5297:                             ;   in Loop: Header=BB6_4406 Depth=4
	v_and_b32_e32 v4, 7, v10
	v_ffbh_u32_e32 v4, v4
	v_min_u32_e32 v4, 32, v4
	v_lshrrev_b32_e32 v6, 3, v5
	v_cmp_gt_u32_e32 vcc, 8, v5
	v_subrev_u32_e32 v5, 28, v4
	v_sub_u32_e32 v4, 29, v4
	v_cndmask_b32_e32 v6, v6, v4, vcc
	v_cndmask_b32_e32 v4, 0, v5, vcc
	v_lshlrev_b64 v[4:5], v4, v[10:11]
	v_lshlrev_b32_e32 v5, 24, v10
	v_lshlrev_b32_e32 v4, 20, v4
	v_bfrev_b32_e32 v8, 60
	v_and_b32_e32 v4, 0x700000, v4
	v_and_b32_e32 v5, 0x80000000, v5
	v_lshl_add_u32 v6, v6, 23, v8
	v_or3_b32 v4, v5, v6, v4
.LBB6_5298:                             ;   in Loop: Header=BB6_4406 Depth=4
	s_or_b64 exec, exec, s[34:35]
.LBB6_5299:                             ;   in Loop: Header=BB6_4406 Depth=4
	s_or_b64 exec, exec, s[30:31]
.LBB6_5300:                             ;   in Loop: Header=BB6_4406 Depth=4
	s_or_b64 exec, exec, s[28:29]
	v_mul_f32_e32 v4, v14, v4
	v_and_b32_e32 v50, 0x7f800000, v4
	v_cmp_ne_u64_e32 vcc, s[76:77], v[50:51]
                                        ; implicit-def: $vgpr40
	s_and_saveexec_b64 s[28:29], vcc
	s_xor_b64 s[30:31], exec, s[28:29]
	s_cbranch_execz .LBB6_5314
; %bb.5301:                             ;   in Loop: Header=BB6_4406 Depth=4
	v_and_b32_e32 v50, 0x7fffffff, v4
	v_cmp_gt_u64_e32 vcc, s[78:79], v[50:51]
	v_and_b32_sdwa v6, v4, s96 dst_sel:DWORD dst_unused:UNUSED_PAD src0_sel:BYTE_3 src1_sel:DWORD
                                        ; implicit-def: $vgpr40
	s_and_saveexec_b64 s[28:29], vcc
	s_xor_b64 s[34:35], exec, s[28:29]
	s_cbranch_execz .LBB6_5311
; %bb.5302:                             ;   in Loop: Header=BB6_4406 Depth=4
	v_mov_b32_e32 v40, 0
	v_cmp_ne_u32_e32 vcc, 0, v4
	s_and_saveexec_b64 s[36:37], vcc
	s_cbranch_execz .LBB6_5310
; %bb.5303:                             ;   in Loop: Header=BB6_4406 Depth=4
	v_bfe_u32 v12, v4, 23, 8
	v_and_b32_e32 v5, 0x7fffff, v4
	v_cmp_gt_u32_e64 s[28:29], s97, v12
	v_sub_u32_e32 v4, 0x79, v12
	v_cmp_eq_u32_e32 vcc, 0, v12
	v_cndmask_b32_e64 v4, 0, v4, s[28:29]
	v_mov_b32_e32 v9, 0x78
	v_cndmask_b32_e32 v13, v4, v9, vcc
	v_or_b32_e32 v8, 0x800000, v5
	v_add_u32_e32 v4, 20, v13
	v_cndmask_b32_e32 v50, v8, v5, vcc
	v_lshlrev_b64 v[4:5], v4, -1
	v_add_u32_e32 v8, 19, v13
	v_lshlrev_b64 v[8:9], v8, 1
	v_bfi_b32 v5, v5, 0, 0
	v_bfi_b32 v4, v4, 0, v50
	v_cmp_eq_u64_e64 s[28:29], v[4:5], v[8:9]
	v_lshrrev_b64 v[8:9], v13, v[50:51]
	v_mov_b32_e32 v4, v8
	v_mov_b32_e32 v5, v9
	s_and_saveexec_b64 s[38:39], s[28:29]
; %bb.5304:                             ;   in Loop: Header=BB6_4406 Depth=4
	v_bfe_u32 v4, v8, 20, 1
	v_add_co_u32_e64 v4, s[28:29], v8, v4
	v_add_co_u32_e64 v4, s[28:29], -1, v4
; %bb.5305:                             ;   in Loop: Header=BB6_4406 Depth=4
	s_or_b64 exec, exec, s[38:39]
	v_add_u32_e32 v5, 0xffffff81, v12
	v_mov_b32_e32 v9, 0xffffff82
	v_cndmask_b32_e32 v5, v5, v9, vcc
	v_lshrrev_b32_e32 v9, 23, v8
	v_add3_u32 v12, v13, v5, v9
	v_add_u32_e32 v5, 6, v12
	v_and_b32_e32 v4, 0xfffff, v4
	v_add_u32_e32 v50, v4, v8
	v_cmp_ne_u32_e32 vcc, 0, v5
                                        ; implicit-def: $vgpr8_vgpr9
                                        ; implicit-def: $vgpr4
	s_and_saveexec_b64 s[28:29], vcc
	s_xor_b64 s[28:29], exec, s[28:29]
; %bb.5306:                             ;   in Loop: Header=BB6_4406 Depth=4
	v_cmp_lt_u64_e32 vcc, s[88:89], v[50:51]
	v_add_u32_e32 v4, 7, v12
	v_cndmask_b32_e32 v4, v5, v4, vcc
	v_cndmask_b32_e64 v5, 0, 1, vcc
	v_lshrrev_b64 v[8:9], v5, v[50:51]
; %bb.5307:                             ;   in Loop: Header=BB6_4406 Depth=4
	s_andn2_saveexec_b64 s[28:29], s[28:29]
; %bb.5308:                             ;   in Loop: Header=BB6_4406 Depth=4
	v_mov_b32_e32 v8, v50
	v_bfe_u32 v4, v50, 23, 1
	v_mov_b32_e32 v9, v51
; %bb.5309:                             ;   in Loop: Header=BB6_4406 Depth=4
	s_or_b64 exec, exec, s[28:29]
	v_lshrrev_b64 v[8:9], 20, v[8:9]
	v_cmp_gt_i32_e32 vcc, 16, v4
	v_cndmask_b32_e32 v9, 0, v9, vcc
	v_cndmask_b32_e32 v8, 7, v8, vcc
	v_cmp_eq_u32_e32 vcc, 0, v4
	v_min_i32_e32 v4, 15, v4
	v_cmp_eq_u64_e64 s[28:29], 0, v[8:9]
	v_lshlrev_b32_e32 v4, 3, v4
	v_and_b32_e32 v4, 0xf8, v4
	v_and_or_b32 v4, v8, 7, v4
	s_and_b64 s[28:29], vcc, s[28:29]
	v_cndmask_b32_e64 v4, v4, 0, s[28:29]
	v_or_b32_e32 v40, v4, v6
.LBB6_5310:                             ;   in Loop: Header=BB6_4406 Depth=4
	s_or_b64 exec, exec, s[36:37]
                                        ; implicit-def: $vgpr6
.LBB6_5311:                             ;   in Loop: Header=BB6_4406 Depth=4
	s_andn2_saveexec_b64 s[28:29], s[34:35]
; %bb.5312:                             ;   in Loop: Header=BB6_4406 Depth=4
	v_or_b32_e32 v40, 0x7e, v6
; %bb.5313:                             ;   in Loop: Header=BB6_4406 Depth=4
	s_or_b64 exec, exec, s[28:29]
                                        ; implicit-def: $vgpr4
.LBB6_5314:                             ;   in Loop: Header=BB6_4406 Depth=4
	s_andn2_saveexec_b64 s[28:29], s[30:31]
; %bb.5315:                             ;   in Loop: Header=BB6_4406 Depth=4
	v_or_b32_sdwa v40, v4, s86 dst_sel:DWORD dst_unused:UNUSED_PAD src0_sel:BYTE_3 src1_sel:DWORD
; %bb.5316:                             ;   in Loop: Header=BB6_4406 Depth=4
	s_or_b64 exec, exec, s[28:29]
	v_lshrrev_b16_e32 v8, 8, v10
	v_cmp_ne_u16_e32 vcc, 0, v8
	v_mov_b32_e32 v4, 0
	s_and_saveexec_b64 s[28:29], vcc
	s_cbranch_execz .LBB6_5322
; %bb.5317:                             ;   in Loop: Header=BB6_4406 Depth=4
	v_cmp_ne_u16_e32 vcc, s96, v8
	v_bfrev_b32_e32 v4, 1
	s_and_saveexec_b64 s[30:31], vcc
	s_cbranch_execz .LBB6_5321
; %bb.5318:                             ;   in Loop: Header=BB6_4406 Depth=4
	v_and_b32_e32 v5, 0x7f, v8
	v_cmp_ne_u32_e32 vcc, s86, v5
	v_mov_b32_e32 v4, 0x7f800001
	s_and_saveexec_b64 s[34:35], vcc
	s_cbranch_execz .LBB6_5320
; %bb.5319:                             ;   in Loop: Header=BB6_4406 Depth=4
	v_and_b32_e32 v6, 7, v8
	v_ffbh_u32_e32 v4, v6
	v_min_u32_e32 v12, 32, v4
	v_lshrrev_b32_e32 v9, 3, v5
	v_subrev_u32_e32 v4, 28, v12
	v_cmp_gt_u32_e32 vcc, 8, v5
	v_lshlrev_b64 v[4:5], v4, v[8:9]
	v_sub_u32_e32 v5, 29, v12
	v_and_b32_e32 v4, 7, v4
	v_cndmask_b32_e32 v5, v9, v5, vcc
	v_cndmask_b32_e32 v4, v6, v4, vcc
	v_lshlrev_b32_e32 v6, 16, v10
	v_bfrev_b32_e32 v8, 60
	v_lshlrev_b32_e32 v4, 20, v4
	v_and_b32_e32 v6, 0x80000000, v6
	v_lshl_add_u32 v5, v5, 23, v8
	v_or3_b32 v4, v6, v5, v4
.LBB6_5320:                             ;   in Loop: Header=BB6_4406 Depth=4
	s_or_b64 exec, exec, s[34:35]
.LBB6_5321:                             ;   in Loop: Header=BB6_4406 Depth=4
	s_or_b64 exec, exec, s[30:31]
.LBB6_5322:                             ;   in Loop: Header=BB6_4406 Depth=4
	s_or_b64 exec, exec, s[28:29]
	v_mul_f32_e32 v4, v14, v4
	v_and_b32_e32 v50, 0x7f800000, v4
	v_cmp_ne_u64_e32 vcc, s[76:77], v[50:51]
                                        ; implicit-def: $vgpr5
                                        ; kill: killed $vgpr5
	s_and_saveexec_b64 s[28:29], vcc
	s_xor_b64 s[30:31], exec, s[28:29]
	s_cbranch_execz .LBB6_5336
; %bb.5323:                             ;   in Loop: Header=BB6_4406 Depth=4
	v_and_b32_e32 v50, 0x7fffffff, v4
	v_cmp_gt_u64_e32 vcc, s[78:79], v[50:51]
	v_and_b32_sdwa v6, v4, s96 dst_sel:DWORD dst_unused:UNUSED_PAD src0_sel:BYTE_3 src1_sel:DWORD
                                        ; implicit-def: $vgpr5
                                        ; kill: killed $vgpr5
	s_and_saveexec_b64 s[28:29], vcc
	s_xor_b64 s[34:35], exec, s[28:29]
	s_cbranch_execz .LBB6_5333
; %bb.5324:                             ;   in Loop: Header=BB6_4406 Depth=4
	v_mov_b32_e32 v5, 0
	v_cmp_ne_u32_e32 vcc, 0, v4
	buffer_store_dword v5, off, s[0:3], s33 offset:164 ; 4-byte Folded Spill
	s_and_saveexec_b64 s[36:37], vcc
	s_cbranch_execz .LBB6_5332
; %bb.5325:                             ;   in Loop: Header=BB6_4406 Depth=4
	v_bfe_u32 v12, v4, 23, 8
	v_and_b32_e32 v5, 0x7fffff, v4
	v_cmp_gt_u32_e64 s[28:29], s97, v12
	v_sub_u32_e32 v4, 0x79, v12
	v_cmp_eq_u32_e32 vcc, 0, v12
	v_cndmask_b32_e64 v4, 0, v4, s[28:29]
	v_mov_b32_e32 v9, 0x78
	v_cndmask_b32_e32 v13, v4, v9, vcc
	v_or_b32_e32 v8, 0x800000, v5
	v_add_u32_e32 v4, 20, v13
	v_cndmask_b32_e32 v50, v8, v5, vcc
	v_lshlrev_b64 v[4:5], v4, -1
	v_add_u32_e32 v8, 19, v13
	v_lshlrev_b64 v[8:9], v8, 1
	v_bfi_b32 v5, v5, 0, 0
	v_bfi_b32 v4, v4, 0, v50
	v_cmp_eq_u64_e64 s[28:29], v[4:5], v[8:9]
	v_lshrrev_b64 v[8:9], v13, v[50:51]
	v_mov_b32_e32 v4, v8
	v_mov_b32_e32 v5, v9
	s_and_saveexec_b64 s[38:39], s[28:29]
; %bb.5326:                             ;   in Loop: Header=BB6_4406 Depth=4
	v_bfe_u32 v4, v8, 20, 1
	v_add_co_u32_e64 v4, s[28:29], v8, v4
	v_add_co_u32_e64 v4, s[28:29], -1, v4
; %bb.5327:                             ;   in Loop: Header=BB6_4406 Depth=4
	s_or_b64 exec, exec, s[38:39]
	v_add_u32_e32 v5, 0xffffff81, v12
	v_mov_b32_e32 v9, 0xffffff82
	v_cndmask_b32_e32 v5, v5, v9, vcc
	v_lshrrev_b32_e32 v9, 23, v8
	v_add3_u32 v12, v13, v5, v9
	v_add_u32_e32 v5, 6, v12
	v_and_b32_e32 v4, 0xfffff, v4
	v_add_u32_e32 v50, v4, v8
	v_cmp_ne_u32_e32 vcc, 0, v5
                                        ; implicit-def: $vgpr8_vgpr9
                                        ; implicit-def: $vgpr4
	s_and_saveexec_b64 s[28:29], vcc
	s_xor_b64 s[28:29], exec, s[28:29]
; %bb.5328:                             ;   in Loop: Header=BB6_4406 Depth=4
	v_cmp_lt_u64_e32 vcc, s[88:89], v[50:51]
	v_add_u32_e32 v4, 7, v12
	v_cndmask_b32_e32 v4, v5, v4, vcc
	v_cndmask_b32_e64 v5, 0, 1, vcc
	v_lshrrev_b64 v[8:9], v5, v[50:51]
; %bb.5329:                             ;   in Loop: Header=BB6_4406 Depth=4
	s_andn2_saveexec_b64 s[28:29], s[28:29]
; %bb.5330:                             ;   in Loop: Header=BB6_4406 Depth=4
	v_mov_b32_e32 v8, v50
	v_bfe_u32 v4, v50, 23, 1
	v_mov_b32_e32 v9, v51
; %bb.5331:                             ;   in Loop: Header=BB6_4406 Depth=4
	s_or_b64 exec, exec, s[28:29]
	v_lshrrev_b64 v[8:9], 20, v[8:9]
	v_cmp_gt_i32_e32 vcc, 16, v4
	v_cndmask_b32_e32 v9, 0, v9, vcc
	v_cndmask_b32_e32 v8, 7, v8, vcc
	v_cmp_eq_u32_e32 vcc, 0, v4
	v_min_i32_e32 v4, 15, v4
	v_cmp_eq_u64_e64 s[28:29], 0, v[8:9]
	v_lshlrev_b32_e32 v4, 3, v4
	v_and_b32_e32 v4, 0xf8, v4
	v_and_or_b32 v4, v8, 7, v4
	s_and_b64 s[28:29], vcc, s[28:29]
	v_cndmask_b32_e64 v4, v4, 0, s[28:29]
	v_or_b32_e32 v4, v4, v6
	buffer_store_dword v4, off, s[0:3], s33 offset:164 ; 4-byte Folded Spill
.LBB6_5332:                             ;   in Loop: Header=BB6_4406 Depth=4
	s_or_b64 exec, exec, s[36:37]
                                        ; implicit-def: $vgpr6
.LBB6_5333:                             ;   in Loop: Header=BB6_4406 Depth=4
	s_andn2_saveexec_b64 s[28:29], s[34:35]
	s_cbranch_execz .LBB6_5335
; %bb.5334:                             ;   in Loop: Header=BB6_4406 Depth=4
	v_or_b32_e32 v4, 0x7e, v6
	buffer_store_dword v4, off, s[0:3], s33 offset:164 ; 4-byte Folded Spill
.LBB6_5335:                             ;   in Loop: Header=BB6_4406 Depth=4
	s_or_b64 exec, exec, s[28:29]
                                        ; implicit-def: $vgpr4
.LBB6_5336:                             ;   in Loop: Header=BB6_4406 Depth=4
	s_andn2_saveexec_b64 s[28:29], s[30:31]
	s_cbranch_execz .LBB6_5338
; %bb.5337:                             ;   in Loop: Header=BB6_4406 Depth=4
	v_or_b32_sdwa v4, v4, s86 dst_sel:DWORD dst_unused:UNUSED_PAD src0_sel:BYTE_3 src1_sel:DWORD
	buffer_store_dword v4, off, s[0:3], s33 offset:164 ; 4-byte Folded Spill
.LBB6_5338:                             ;   in Loop: Header=BB6_4406 Depth=4
	s_or_b64 exec, exec, s[28:29]
	v_lshrrev_b32_e32 v8, 16, v10
	v_cmp_ne_u16_sdwa vcc, v8, v51 src0_sel:BYTE_0 src1_sel:DWORD
	v_mov_b32_e32 v4, 0
	s_and_saveexec_b64 s[28:29], vcc
	s_cbranch_execz .LBB6_5344
; %bb.5339:                             ;   in Loop: Header=BB6_4406 Depth=4
	v_cmp_ne_u16_sdwa vcc, v8, s96 src0_sel:BYTE_0 src1_sel:DWORD
	v_bfrev_b32_e32 v4, 1
	s_and_saveexec_b64 s[30:31], vcc
	s_cbranch_execz .LBB6_5343
; %bb.5340:                             ;   in Loop: Header=BB6_4406 Depth=4
	v_bfe_u32 v5, v10, 16, 7
	v_cmp_ne_u32_e32 vcc, s86, v5
	v_mov_b32_e32 v4, 0x7f800001
	s_and_saveexec_b64 s[34:35], vcc
	s_cbranch_execz .LBB6_5342
; %bb.5341:                             ;   in Loop: Header=BB6_4406 Depth=4
	v_and_b32_e32 v6, 7, v8
	v_ffbh_u32_e32 v4, v6
	v_min_u32_e32 v12, 32, v4
	v_lshrrev_b32_e32 v9, 3, v5
	v_subrev_u32_e32 v4, 28, v12
	v_cmp_gt_u32_e32 vcc, 8, v5
	v_lshlrev_b64 v[4:5], v4, v[8:9]
	v_sub_u32_e32 v5, 29, v12
	v_and_b32_e32 v4, 7, v4
	v_cndmask_b32_e32 v5, v9, v5, vcc
	v_cndmask_b32_e32 v4, v6, v4, vcc
	v_lshlrev_b32_e32 v6, 24, v8
	v_bfrev_b32_e32 v8, 60
	v_lshlrev_b32_e32 v4, 20, v4
	v_and_b32_e32 v6, 0x80000000, v6
	v_lshl_add_u32 v5, v5, 23, v8
	v_or3_b32 v4, v6, v5, v4
.LBB6_5342:                             ;   in Loop: Header=BB6_4406 Depth=4
	s_or_b64 exec, exec, s[34:35]
.LBB6_5343:                             ;   in Loop: Header=BB6_4406 Depth=4
	s_or_b64 exec, exec, s[30:31]
.LBB6_5344:                             ;   in Loop: Header=BB6_4406 Depth=4
	s_or_b64 exec, exec, s[28:29]
	v_mul_f32_e32 v4, v14, v4
	v_and_b32_e32 v50, 0x7f800000, v4
	v_cmp_ne_u64_e32 vcc, s[76:77], v[50:51]
                                        ; implicit-def: $vgpr5
                                        ; kill: killed $vgpr5
	s_and_saveexec_b64 s[28:29], vcc
	s_xor_b64 s[30:31], exec, s[28:29]
	s_cbranch_execz .LBB6_5358
; %bb.5345:                             ;   in Loop: Header=BB6_4406 Depth=4
	v_and_b32_e32 v50, 0x7fffffff, v4
	v_cmp_gt_u64_e32 vcc, s[78:79], v[50:51]
	v_and_b32_sdwa v6, v4, s96 dst_sel:DWORD dst_unused:UNUSED_PAD src0_sel:BYTE_3 src1_sel:DWORD
                                        ; implicit-def: $vgpr5
                                        ; kill: killed $vgpr5
	s_and_saveexec_b64 s[28:29], vcc
	s_xor_b64 s[34:35], exec, s[28:29]
	s_cbranch_execz .LBB6_5355
; %bb.5346:                             ;   in Loop: Header=BB6_4406 Depth=4
	v_mov_b32_e32 v5, 0
	v_cmp_ne_u32_e32 vcc, 0, v4
	buffer_store_dword v5, off, s[0:3], s33 offset:184 ; 4-byte Folded Spill
	s_and_saveexec_b64 s[36:37], vcc
	s_cbranch_execz .LBB6_5354
; %bb.5347:                             ;   in Loop: Header=BB6_4406 Depth=4
	v_bfe_u32 v12, v4, 23, 8
	v_and_b32_e32 v5, 0x7fffff, v4
	v_cmp_gt_u32_e64 s[28:29], s97, v12
	v_sub_u32_e32 v4, 0x79, v12
	v_cmp_eq_u32_e32 vcc, 0, v12
	v_cndmask_b32_e64 v4, 0, v4, s[28:29]
	v_mov_b32_e32 v9, 0x78
	v_cndmask_b32_e32 v13, v4, v9, vcc
	v_or_b32_e32 v8, 0x800000, v5
	v_add_u32_e32 v4, 20, v13
	v_cndmask_b32_e32 v50, v8, v5, vcc
	v_lshlrev_b64 v[4:5], v4, -1
	v_add_u32_e32 v8, 19, v13
	v_lshlrev_b64 v[8:9], v8, 1
	v_bfi_b32 v5, v5, 0, 0
	v_bfi_b32 v4, v4, 0, v50
	v_cmp_eq_u64_e64 s[28:29], v[4:5], v[8:9]
	v_lshrrev_b64 v[8:9], v13, v[50:51]
	v_mov_b32_e32 v4, v8
	v_mov_b32_e32 v5, v9
	s_and_saveexec_b64 s[38:39], s[28:29]
; %bb.5348:                             ;   in Loop: Header=BB6_4406 Depth=4
	v_bfe_u32 v4, v8, 20, 1
	v_add_co_u32_e64 v4, s[28:29], v8, v4
	v_add_co_u32_e64 v4, s[28:29], -1, v4
; %bb.5349:                             ;   in Loop: Header=BB6_4406 Depth=4
	s_or_b64 exec, exec, s[38:39]
	v_add_u32_e32 v5, 0xffffff81, v12
	v_mov_b32_e32 v9, 0xffffff82
	v_cndmask_b32_e32 v5, v5, v9, vcc
	v_lshrrev_b32_e32 v9, 23, v8
	v_add3_u32 v12, v13, v5, v9
	v_add_u32_e32 v5, 6, v12
	v_and_b32_e32 v4, 0xfffff, v4
	v_add_u32_e32 v50, v4, v8
	v_cmp_ne_u32_e32 vcc, 0, v5
                                        ; implicit-def: $vgpr8_vgpr9
                                        ; implicit-def: $vgpr4
	s_and_saveexec_b64 s[28:29], vcc
	s_xor_b64 s[28:29], exec, s[28:29]
; %bb.5350:                             ;   in Loop: Header=BB6_4406 Depth=4
	v_cmp_lt_u64_e32 vcc, s[88:89], v[50:51]
	v_add_u32_e32 v4, 7, v12
	v_cndmask_b32_e32 v4, v5, v4, vcc
	v_cndmask_b32_e64 v5, 0, 1, vcc
	v_lshrrev_b64 v[8:9], v5, v[50:51]
; %bb.5351:                             ;   in Loop: Header=BB6_4406 Depth=4
	s_andn2_saveexec_b64 s[28:29], s[28:29]
; %bb.5352:                             ;   in Loop: Header=BB6_4406 Depth=4
	v_mov_b32_e32 v8, v50
	v_bfe_u32 v4, v50, 23, 1
	v_mov_b32_e32 v9, v51
; %bb.5353:                             ;   in Loop: Header=BB6_4406 Depth=4
	s_or_b64 exec, exec, s[28:29]
	v_lshrrev_b64 v[8:9], 20, v[8:9]
	v_cmp_gt_i32_e32 vcc, 16, v4
	v_cndmask_b32_e32 v9, 0, v9, vcc
	v_cndmask_b32_e32 v8, 7, v8, vcc
	v_cmp_eq_u32_e32 vcc, 0, v4
	v_min_i32_e32 v4, 15, v4
	v_cmp_eq_u64_e64 s[28:29], 0, v[8:9]
	v_lshlrev_b32_e32 v4, 3, v4
	v_and_b32_e32 v4, 0xf8, v4
	v_and_or_b32 v4, v8, 7, v4
	s_and_b64 s[28:29], vcc, s[28:29]
	v_cndmask_b32_e64 v4, v4, 0, s[28:29]
	v_or_b32_e32 v4, v4, v6
	buffer_store_dword v4, off, s[0:3], s33 offset:184 ; 4-byte Folded Spill
.LBB6_5354:                             ;   in Loop: Header=BB6_4406 Depth=4
	s_or_b64 exec, exec, s[36:37]
                                        ; implicit-def: $vgpr6
.LBB6_5355:                             ;   in Loop: Header=BB6_4406 Depth=4
	s_andn2_saveexec_b64 s[28:29], s[34:35]
	s_cbranch_execz .LBB6_5357
; %bb.5356:                             ;   in Loop: Header=BB6_4406 Depth=4
	v_or_b32_e32 v4, 0x7e, v6
	buffer_store_dword v4, off, s[0:3], s33 offset:184 ; 4-byte Folded Spill
.LBB6_5357:                             ;   in Loop: Header=BB6_4406 Depth=4
	s_or_b64 exec, exec, s[28:29]
                                        ; implicit-def: $vgpr4
.LBB6_5358:                             ;   in Loop: Header=BB6_4406 Depth=4
	s_andn2_saveexec_b64 s[28:29], s[30:31]
	s_cbranch_execz .LBB6_5360
; %bb.5359:                             ;   in Loop: Header=BB6_4406 Depth=4
	v_or_b32_sdwa v4, v4, s86 dst_sel:DWORD dst_unused:UNUSED_PAD src0_sel:BYTE_3 src1_sel:DWORD
	buffer_store_dword v4, off, s[0:3], s33 offset:184 ; 4-byte Folded Spill
.LBB6_5360:                             ;   in Loop: Header=BB6_4406 Depth=4
	s_or_b64 exec, exec, s[28:29]
	v_cmp_lt_u32_e32 vcc, s57, v10
	v_mov_b32_e32 v4, 0
	s_and_saveexec_b64 s[28:29], vcc
	s_cbranch_execz .LBB6_5366
; %bb.5361:                             ;   in Loop: Header=BB6_4406 Depth=4
	v_lshrrev_b32_e32 v8, 24, v10
	v_cmp_ne_u32_e32 vcc, s96, v8
	v_bfrev_b32_e32 v4, 1
	s_and_saveexec_b64 s[30:31], vcc
	s_cbranch_execz .LBB6_5365
; %bb.5362:                             ;   in Loop: Header=BB6_4406 Depth=4
	v_bfe_u32 v5, v10, 24, 7
	v_cmp_ne_u32_e32 vcc, s86, v5
	v_mov_b32_e32 v4, 0x7f800001
	s_and_saveexec_b64 s[34:35], vcc
	s_cbranch_execz .LBB6_5364
; %bb.5363:                             ;   in Loop: Header=BB6_4406 Depth=4
	v_and_b32_e32 v6, 7, v8
	v_ffbh_u32_e32 v4, v6
	v_min_u32_e32 v12, 32, v4
	v_lshrrev_b32_e32 v9, 3, v5
	v_subrev_u32_e32 v4, 28, v12
	v_cmp_gt_u32_e32 vcc, 8, v5
	v_lshlrev_b64 v[4:5], v4, v[8:9]
	v_sub_u32_e32 v5, 29, v12
	v_and_b32_e32 v4, 7, v4
	v_cndmask_b32_e32 v5, v9, v5, vcc
	v_cndmask_b32_e32 v4, v6, v4, vcc
	v_lshlrev_b32_e32 v6, 24, v8
	v_bfrev_b32_e32 v8, 60
	v_lshlrev_b32_e32 v4, 20, v4
	v_and_b32_e32 v6, 0x80000000, v6
	v_lshl_add_u32 v5, v5, 23, v8
	v_or3_b32 v4, v6, v5, v4
.LBB6_5364:                             ;   in Loop: Header=BB6_4406 Depth=4
	s_or_b64 exec, exec, s[34:35]
.LBB6_5365:                             ;   in Loop: Header=BB6_4406 Depth=4
	s_or_b64 exec, exec, s[30:31]
.LBB6_5366:                             ;   in Loop: Header=BB6_4406 Depth=4
	s_or_b64 exec, exec, s[28:29]
	v_mul_f32_e32 v4, v14, v4
	v_and_b32_e32 v50, 0x7f800000, v4
	v_cmp_ne_u64_e32 vcc, s[76:77], v[50:51]
                                        ; implicit-def: $vgpr5
                                        ; kill: killed $vgpr5
	s_and_saveexec_b64 s[28:29], vcc
	s_xor_b64 s[30:31], exec, s[28:29]
	s_cbranch_execz .LBB6_5380
; %bb.5367:                             ;   in Loop: Header=BB6_4406 Depth=4
	v_and_b32_e32 v50, 0x7fffffff, v4
	v_cmp_gt_u64_e32 vcc, s[78:79], v[50:51]
	v_and_b32_sdwa v6, v4, s96 dst_sel:DWORD dst_unused:UNUSED_PAD src0_sel:BYTE_3 src1_sel:DWORD
                                        ; implicit-def: $vgpr5
                                        ; kill: killed $vgpr5
	s_and_saveexec_b64 s[28:29], vcc
	s_xor_b64 s[34:35], exec, s[28:29]
	s_cbranch_execz .LBB6_5377
; %bb.5368:                             ;   in Loop: Header=BB6_4406 Depth=4
	v_mov_b32_e32 v5, 0
	v_cmp_ne_u32_e32 vcc, 0, v4
	buffer_store_dword v5, off, s[0:3], s33 offset:196 ; 4-byte Folded Spill
	s_and_saveexec_b64 s[36:37], vcc
	s_cbranch_execz .LBB6_5376
; %bb.5369:                             ;   in Loop: Header=BB6_4406 Depth=4
	v_bfe_u32 v12, v4, 23, 8
	v_and_b32_e32 v5, 0x7fffff, v4
	v_cmp_gt_u32_e64 s[28:29], s97, v12
	v_sub_u32_e32 v4, 0x79, v12
	v_cmp_eq_u32_e32 vcc, 0, v12
	v_cndmask_b32_e64 v4, 0, v4, s[28:29]
	v_mov_b32_e32 v9, 0x78
	v_cndmask_b32_e32 v13, v4, v9, vcc
	v_or_b32_e32 v8, 0x800000, v5
	v_add_u32_e32 v4, 20, v13
	v_cndmask_b32_e32 v50, v8, v5, vcc
	v_lshlrev_b64 v[4:5], v4, -1
	v_add_u32_e32 v8, 19, v13
	v_lshlrev_b64 v[8:9], v8, 1
	v_bfi_b32 v5, v5, 0, 0
	v_bfi_b32 v4, v4, 0, v50
	v_cmp_eq_u64_e64 s[28:29], v[4:5], v[8:9]
	v_lshrrev_b64 v[8:9], v13, v[50:51]
	v_mov_b32_e32 v4, v8
	v_mov_b32_e32 v5, v9
	s_and_saveexec_b64 s[38:39], s[28:29]
; %bb.5370:                             ;   in Loop: Header=BB6_4406 Depth=4
	v_bfe_u32 v4, v8, 20, 1
	v_add_co_u32_e64 v4, s[28:29], v8, v4
	v_add_co_u32_e64 v4, s[28:29], -1, v4
; %bb.5371:                             ;   in Loop: Header=BB6_4406 Depth=4
	s_or_b64 exec, exec, s[38:39]
	v_add_u32_e32 v5, 0xffffff81, v12
	v_mov_b32_e32 v9, 0xffffff82
	v_cndmask_b32_e32 v5, v5, v9, vcc
	v_lshrrev_b32_e32 v9, 23, v8
	v_add3_u32 v12, v13, v5, v9
	v_add_u32_e32 v5, 6, v12
	v_and_b32_e32 v4, 0xfffff, v4
	v_add_u32_e32 v50, v4, v8
	v_cmp_ne_u32_e32 vcc, 0, v5
                                        ; implicit-def: $vgpr8_vgpr9
                                        ; implicit-def: $vgpr4
	s_and_saveexec_b64 s[28:29], vcc
	s_xor_b64 s[28:29], exec, s[28:29]
; %bb.5372:                             ;   in Loop: Header=BB6_4406 Depth=4
	v_cmp_lt_u64_e32 vcc, s[88:89], v[50:51]
	v_add_u32_e32 v4, 7, v12
	v_cndmask_b32_e32 v4, v5, v4, vcc
	v_cndmask_b32_e64 v5, 0, 1, vcc
	v_lshrrev_b64 v[8:9], v5, v[50:51]
; %bb.5373:                             ;   in Loop: Header=BB6_4406 Depth=4
	s_andn2_saveexec_b64 s[28:29], s[28:29]
; %bb.5374:                             ;   in Loop: Header=BB6_4406 Depth=4
	v_mov_b32_e32 v8, v50
	v_bfe_u32 v4, v50, 23, 1
	v_mov_b32_e32 v9, v51
; %bb.5375:                             ;   in Loop: Header=BB6_4406 Depth=4
	s_or_b64 exec, exec, s[28:29]
	v_lshrrev_b64 v[8:9], 20, v[8:9]
	v_cmp_gt_i32_e32 vcc, 16, v4
	v_cndmask_b32_e32 v9, 0, v9, vcc
	v_cndmask_b32_e32 v8, 7, v8, vcc
	v_cmp_eq_u32_e32 vcc, 0, v4
	v_min_i32_e32 v4, 15, v4
	v_cmp_eq_u64_e64 s[28:29], 0, v[8:9]
	v_lshlrev_b32_e32 v4, 3, v4
	v_and_b32_e32 v4, 0xf8, v4
	v_and_or_b32 v4, v8, 7, v4
	s_and_b64 s[28:29], vcc, s[28:29]
	v_cndmask_b32_e64 v4, v4, 0, s[28:29]
	v_or_b32_e32 v4, v4, v6
	buffer_store_dword v4, off, s[0:3], s33 offset:196 ; 4-byte Folded Spill
.LBB6_5376:                             ;   in Loop: Header=BB6_4406 Depth=4
	s_or_b64 exec, exec, s[36:37]
                                        ; implicit-def: $vgpr6
.LBB6_5377:                             ;   in Loop: Header=BB6_4406 Depth=4
	s_andn2_saveexec_b64 s[28:29], s[34:35]
	s_cbranch_execz .LBB6_5379
; %bb.5378:                             ;   in Loop: Header=BB6_4406 Depth=4
	v_or_b32_e32 v4, 0x7e, v6
	buffer_store_dword v4, off, s[0:3], s33 offset:196 ; 4-byte Folded Spill
.LBB6_5379:                             ;   in Loop: Header=BB6_4406 Depth=4
	s_or_b64 exec, exec, s[28:29]
                                        ; implicit-def: $vgpr4
.LBB6_5380:                             ;   in Loop: Header=BB6_4406 Depth=4
	s_andn2_saveexec_b64 s[28:29], s[30:31]
	s_cbranch_execz .LBB6_5382
; %bb.5381:                             ;   in Loop: Header=BB6_4406 Depth=4
	v_or_b32_sdwa v4, v4, s86 dst_sel:DWORD dst_unused:UNUSED_PAD src0_sel:BYTE_3 src1_sel:DWORD
	buffer_store_dword v4, off, s[0:3], s33 offset:196 ; 4-byte Folded Spill
.LBB6_5382:                             ;   in Loop: Header=BB6_4406 Depth=4
	s_or_b64 exec, exec, s[28:29]
	v_mov_b32_e32 v50, v11
	v_cmp_ne_u16_sdwa vcc, v11, v51 src0_sel:BYTE_0 src1_sel:DWORD
	v_mov_b32_e32 v4, 0
	s_and_saveexec_b64 s[28:29], vcc
	s_cbranch_execz .LBB6_5388
; %bb.5383:                             ;   in Loop: Header=BB6_4406 Depth=4
	v_cmp_ne_u16_sdwa vcc, v11, s96 src0_sel:BYTE_0 src1_sel:DWORD
	v_bfrev_b32_e32 v4, 1
	s_and_saveexec_b64 s[30:31], vcc
	s_cbranch_execz .LBB6_5387
; %bb.5384:                             ;   in Loop: Header=BB6_4406 Depth=4
	v_and_b32_e32 v5, 0x7f, v11
	v_cmp_ne_u32_e32 vcc, s86, v5
	v_mov_b32_e32 v4, 0x7f800001
	s_and_saveexec_b64 s[34:35], vcc
	s_cbranch_execz .LBB6_5386
; %bb.5385:                             ;   in Loop: Header=BB6_4406 Depth=4
	v_and_b32_e32 v4, 7, v11
	v_ffbh_u32_e32 v4, v4
	v_min_u32_e32 v4, 32, v4
	v_lshrrev_b32_e32 v6, 3, v5
	v_cmp_gt_u32_e32 vcc, 8, v5
	v_subrev_u32_e32 v5, 28, v4
	v_sub_u32_e32 v4, 29, v4
	v_cndmask_b32_e32 v6, v6, v4, vcc
	v_cndmask_b32_e32 v4, 0, v5, vcc
	v_lshlrev_b64 v[4:5], v4, v[50:51]
	v_lshlrev_b32_e32 v5, 24, v50
	v_lshlrev_b32_e32 v4, 20, v4
	v_bfrev_b32_e32 v8, 60
	v_and_b32_e32 v4, 0x700000, v4
	v_and_b32_e32 v5, 0x80000000, v5
	v_lshl_add_u32 v6, v6, 23, v8
	v_or3_b32 v4, v5, v6, v4
.LBB6_5386:                             ;   in Loop: Header=BB6_4406 Depth=4
	s_or_b64 exec, exec, s[34:35]
.LBB6_5387:                             ;   in Loop: Header=BB6_4406 Depth=4
	s_or_b64 exec, exec, s[30:31]
.LBB6_5388:                             ;   in Loop: Header=BB6_4406 Depth=4
	s_or_b64 exec, exec, s[28:29]
	v_mul_f32_e32 v4, v14, v4
	v_and_b32_e32 v5, 0x7f800000, v4
	v_mov_b32_e32 v6, v51
	v_cmp_ne_u64_e32 vcc, s[76:77], v[5:6]
                                        ; implicit-def: $vgpr57
	s_and_saveexec_b64 s[28:29], vcc
	s_xor_b64 s[30:31], exec, s[28:29]
	s_cbranch_execz .LBB6_5402
; %bb.5389:                             ;   in Loop: Header=BB6_4406 Depth=4
	v_and_b32_e32 v5, 0x7fffffff, v4
	v_mov_b32_e32 v6, v51
	v_cmp_gt_u64_e32 vcc, s[78:79], v[5:6]
	v_and_b32_sdwa v6, v4, s96 dst_sel:DWORD dst_unused:UNUSED_PAD src0_sel:BYTE_3 src1_sel:DWORD
                                        ; implicit-def: $vgpr57
	s_and_saveexec_b64 s[28:29], vcc
	s_xor_b64 s[34:35], exec, s[28:29]
	s_cbranch_execz .LBB6_5399
; %bb.5390:                             ;   in Loop: Header=BB6_4406 Depth=4
	v_mov_b32_e32 v57, 0
	v_cmp_ne_u32_e32 vcc, 0, v4
	s_and_saveexec_b64 s[36:37], vcc
	s_cbranch_execz .LBB6_5398
; %bb.5391:                             ;   in Loop: Header=BB6_4406 Depth=4
	v_bfe_u32 v12, v4, 23, 8
	v_and_b32_e32 v5, 0x7fffff, v4
	v_cmp_gt_u32_e64 s[28:29], s97, v12
	v_sub_u32_e32 v4, 0x79, v12
	v_cmp_eq_u32_e32 vcc, 0, v12
	v_cndmask_b32_e64 v4, 0, v4, s[28:29]
	v_mov_b32_e32 v9, 0x78
	v_or_b32_e32 v8, 0x800000, v5
	v_cndmask_b32_e32 v13, v4, v9, vcc
	v_cndmask_b32_e32 v4, v8, v5, vcc
	v_add_u32_e32 v8, 20, v13
	v_lshlrev_b64 v[8:9], v8, -1
	v_add_u32_e32 v15, 19, v13
	v_lshlrev_b64 v[15:16], v15, 1
	v_mov_b32_e32 v5, v51
	v_bfi_b32 v9, v9, 0, 0
	v_bfi_b32 v8, v8, 0, v4
	v_cmp_eq_u64_e64 s[28:29], v[8:9], v[15:16]
	v_lshrrev_b64 v[8:9], v13, v[4:5]
	v_mov_b32_e32 v4, v8
	v_mov_b32_e32 v5, v9
	s_and_saveexec_b64 s[38:39], s[28:29]
; %bb.5392:                             ;   in Loop: Header=BB6_4406 Depth=4
	v_bfe_u32 v4, v8, 20, 1
	v_add_co_u32_e64 v4, s[28:29], v8, v4
	v_add_co_u32_e64 v4, s[28:29], -1, v4
; %bb.5393:                             ;   in Loop: Header=BB6_4406 Depth=4
	s_or_b64 exec, exec, s[38:39]
	v_add_u32_e32 v5, 0xffffff81, v12
	v_mov_b32_e32 v9, 0xffffff82
	v_cndmask_b32_e32 v5, v5, v9, vcc
	v_lshrrev_b32_e32 v9, 23, v8
	v_add3_u32 v12, v13, v5, v9
	v_add_u32_e32 v5, 6, v12
	v_and_b32_e32 v4, 0xfffff, v4
	v_add_u32_e32 v8, v4, v8
	v_mov_b32_e32 v9, v51
	v_cmp_ne_u32_e32 vcc, 0, v5
                                        ; implicit-def: $vgpr4
	s_and_saveexec_b64 s[28:29], vcc
	s_xor_b64 s[28:29], exec, s[28:29]
; %bb.5394:                             ;   in Loop: Header=BB6_4406 Depth=4
	v_cmp_lt_u64_e32 vcc, s[88:89], v[8:9]
	v_add_u32_e32 v4, 7, v12
	v_cndmask_b32_e32 v4, v5, v4, vcc
	v_cndmask_b32_e64 v5, 0, 1, vcc
	v_lshrrev_b64 v[8:9], v5, v[8:9]
; %bb.5395:                             ;   in Loop: Header=BB6_4406 Depth=4
	s_andn2_saveexec_b64 s[28:29], s[28:29]
; %bb.5396:                             ;   in Loop: Header=BB6_4406 Depth=4
	v_bfe_u32 v4, v8, 23, 1
; %bb.5397:                             ;   in Loop: Header=BB6_4406 Depth=4
	s_or_b64 exec, exec, s[28:29]
	v_lshrrev_b64 v[8:9], 20, v[8:9]
	v_cmp_gt_i32_e32 vcc, 16, v4
	v_cndmask_b32_e32 v9, 0, v9, vcc
	v_cndmask_b32_e32 v8, 7, v8, vcc
	v_cmp_eq_u32_e32 vcc, 0, v4
	v_min_i32_e32 v4, 15, v4
	v_cmp_eq_u64_e64 s[28:29], 0, v[8:9]
	v_lshlrev_b32_e32 v4, 3, v4
	v_and_b32_e32 v4, 0xf8, v4
	v_and_or_b32 v4, v8, 7, v4
	s_and_b64 s[28:29], vcc, s[28:29]
	v_cndmask_b32_e64 v4, v4, 0, s[28:29]
	v_or_b32_e32 v57, v4, v6
.LBB6_5398:                             ;   in Loop: Header=BB6_4406 Depth=4
	s_or_b64 exec, exec, s[36:37]
                                        ; implicit-def: $vgpr6
.LBB6_5399:                             ;   in Loop: Header=BB6_4406 Depth=4
	s_andn2_saveexec_b64 s[28:29], s[34:35]
; %bb.5400:                             ;   in Loop: Header=BB6_4406 Depth=4
	v_or_b32_e32 v57, 0x7e, v6
; %bb.5401:                             ;   in Loop: Header=BB6_4406 Depth=4
	s_or_b64 exec, exec, s[28:29]
                                        ; implicit-def: $vgpr4
.LBB6_5402:                             ;   in Loop: Header=BB6_4406 Depth=4
	s_andn2_saveexec_b64 s[28:29], s[30:31]
; %bb.5403:                             ;   in Loop: Header=BB6_4406 Depth=4
	v_or_b32_sdwa v57, v4, s86 dst_sel:DWORD dst_unused:UNUSED_PAD src0_sel:BYTE_3 src1_sel:DWORD
; %bb.5404:                             ;   in Loop: Header=BB6_4406 Depth=4
	s_or_b64 exec, exec, s[28:29]
	v_lshrrev_b16_e32 v8, 8, v50
	v_cmp_ne_u16_e32 vcc, 0, v8
	v_mov_b32_e32 v4, 0
	s_and_saveexec_b64 s[28:29], vcc
	s_cbranch_execz .LBB6_5410
; %bb.5405:                             ;   in Loop: Header=BB6_4406 Depth=4
	v_cmp_ne_u16_e32 vcc, s96, v8
	v_bfrev_b32_e32 v4, 1
	s_and_saveexec_b64 s[30:31], vcc
	s_cbranch_execz .LBB6_5409
; %bb.5406:                             ;   in Loop: Header=BB6_4406 Depth=4
	v_and_b32_e32 v5, 0x7f, v8
	v_cmp_ne_u32_e32 vcc, s86, v5
	v_mov_b32_e32 v4, 0x7f800001
	s_and_saveexec_b64 s[34:35], vcc
	s_cbranch_execz .LBB6_5408
; %bb.5407:                             ;   in Loop: Header=BB6_4406 Depth=4
	v_and_b32_e32 v6, 7, v8
	v_ffbh_u32_e32 v4, v6
	v_min_u32_e32 v12, 32, v4
	v_lshrrev_b32_e32 v9, 3, v5
	v_subrev_u32_e32 v4, 28, v12
	v_cmp_gt_u32_e32 vcc, 8, v5
	v_lshlrev_b64 v[4:5], v4, v[8:9]
	v_sub_u32_e32 v5, 29, v12
	v_and_b32_e32 v4, 7, v4
	v_cndmask_b32_e32 v5, v9, v5, vcc
	v_cndmask_b32_e32 v4, v6, v4, vcc
	v_lshlrev_b32_e32 v6, 16, v50
	v_bfrev_b32_e32 v8, 60
	v_lshlrev_b32_e32 v4, 20, v4
	v_and_b32_e32 v6, 0x80000000, v6
	v_lshl_add_u32 v5, v5, 23, v8
	v_or3_b32 v4, v6, v5, v4
.LBB6_5408:                             ;   in Loop: Header=BB6_4406 Depth=4
	s_or_b64 exec, exec, s[34:35]
.LBB6_5409:                             ;   in Loop: Header=BB6_4406 Depth=4
	s_or_b64 exec, exec, s[30:31]
.LBB6_5410:                             ;   in Loop: Header=BB6_4406 Depth=4
	s_or_b64 exec, exec, s[28:29]
	v_mul_f32_e32 v4, v14, v4
	v_and_b32_e32 v50, 0x7f800000, v4
	v_cmp_ne_u64_e32 vcc, s[76:77], v[50:51]
                                        ; implicit-def: $vgpr5
                                        ; kill: killed $vgpr5
	s_and_saveexec_b64 s[28:29], vcc
	s_xor_b64 s[30:31], exec, s[28:29]
	s_cbranch_execz .LBB6_5424
; %bb.5411:                             ;   in Loop: Header=BB6_4406 Depth=4
	v_and_b32_e32 v50, 0x7fffffff, v4
	v_cmp_gt_u64_e32 vcc, s[78:79], v[50:51]
	v_and_b32_sdwa v6, v4, s96 dst_sel:DWORD dst_unused:UNUSED_PAD src0_sel:BYTE_3 src1_sel:DWORD
                                        ; implicit-def: $vgpr5
                                        ; kill: killed $vgpr5
	s_and_saveexec_b64 s[28:29], vcc
	s_xor_b64 s[34:35], exec, s[28:29]
	s_cbranch_execz .LBB6_5421
; %bb.5412:                             ;   in Loop: Header=BB6_4406 Depth=4
	v_mov_b32_e32 v5, 0
	v_cmp_ne_u32_e32 vcc, 0, v4
	buffer_store_dword v5, off, s[0:3], s33 offset:148 ; 4-byte Folded Spill
	s_and_saveexec_b64 s[36:37], vcc
	s_cbranch_execz .LBB6_5420
; %bb.5413:                             ;   in Loop: Header=BB6_4406 Depth=4
	v_bfe_u32 v12, v4, 23, 8
	v_and_b32_e32 v5, 0x7fffff, v4
	v_cmp_gt_u32_e64 s[28:29], s97, v12
	v_sub_u32_e32 v4, 0x79, v12
	v_cmp_eq_u32_e32 vcc, 0, v12
	v_cndmask_b32_e64 v4, 0, v4, s[28:29]
	v_mov_b32_e32 v9, 0x78
	v_cndmask_b32_e32 v13, v4, v9, vcc
	v_or_b32_e32 v8, 0x800000, v5
	v_add_u32_e32 v4, 20, v13
	v_cndmask_b32_e32 v50, v8, v5, vcc
	v_lshlrev_b64 v[4:5], v4, -1
	v_add_u32_e32 v8, 19, v13
	v_lshlrev_b64 v[8:9], v8, 1
	v_bfi_b32 v5, v5, 0, 0
	v_bfi_b32 v4, v4, 0, v50
	v_cmp_eq_u64_e64 s[28:29], v[4:5], v[8:9]
	v_lshrrev_b64 v[8:9], v13, v[50:51]
	v_mov_b32_e32 v4, v8
	v_mov_b32_e32 v5, v9
	s_and_saveexec_b64 s[38:39], s[28:29]
; %bb.5414:                             ;   in Loop: Header=BB6_4406 Depth=4
	v_bfe_u32 v4, v8, 20, 1
	v_add_co_u32_e64 v4, s[28:29], v8, v4
	v_add_co_u32_e64 v4, s[28:29], -1, v4
; %bb.5415:                             ;   in Loop: Header=BB6_4406 Depth=4
	s_or_b64 exec, exec, s[38:39]
	v_add_u32_e32 v5, 0xffffff81, v12
	v_mov_b32_e32 v9, 0xffffff82
	v_cndmask_b32_e32 v5, v5, v9, vcc
	v_lshrrev_b32_e32 v9, 23, v8
	v_add3_u32 v12, v13, v5, v9
	v_add_u32_e32 v5, 6, v12
	v_and_b32_e32 v4, 0xfffff, v4
	v_add_u32_e32 v50, v4, v8
	v_cmp_ne_u32_e32 vcc, 0, v5
                                        ; implicit-def: $vgpr8_vgpr9
                                        ; implicit-def: $vgpr4
	s_and_saveexec_b64 s[28:29], vcc
	s_xor_b64 s[28:29], exec, s[28:29]
; %bb.5416:                             ;   in Loop: Header=BB6_4406 Depth=4
	v_cmp_lt_u64_e32 vcc, s[88:89], v[50:51]
	v_add_u32_e32 v4, 7, v12
	v_cndmask_b32_e32 v4, v5, v4, vcc
	v_cndmask_b32_e64 v5, 0, 1, vcc
	v_lshrrev_b64 v[8:9], v5, v[50:51]
; %bb.5417:                             ;   in Loop: Header=BB6_4406 Depth=4
	s_andn2_saveexec_b64 s[28:29], s[28:29]
; %bb.5418:                             ;   in Loop: Header=BB6_4406 Depth=4
	v_mov_b32_e32 v8, v50
	v_bfe_u32 v4, v50, 23, 1
	v_mov_b32_e32 v9, v51
; %bb.5419:                             ;   in Loop: Header=BB6_4406 Depth=4
	s_or_b64 exec, exec, s[28:29]
	v_lshrrev_b64 v[8:9], 20, v[8:9]
	v_cmp_gt_i32_e32 vcc, 16, v4
	v_cndmask_b32_e32 v9, 0, v9, vcc
	v_cndmask_b32_e32 v8, 7, v8, vcc
	v_cmp_eq_u32_e32 vcc, 0, v4
	v_min_i32_e32 v4, 15, v4
	v_cmp_eq_u64_e64 s[28:29], 0, v[8:9]
	v_lshlrev_b32_e32 v4, 3, v4
	v_and_b32_e32 v4, 0xf8, v4
	v_and_or_b32 v4, v8, 7, v4
	s_and_b64 s[28:29], vcc, s[28:29]
	v_cndmask_b32_e64 v4, v4, 0, s[28:29]
	v_or_b32_e32 v4, v4, v6
	buffer_store_dword v4, off, s[0:3], s33 offset:148 ; 4-byte Folded Spill
.LBB6_5420:                             ;   in Loop: Header=BB6_4406 Depth=4
	s_or_b64 exec, exec, s[36:37]
                                        ; implicit-def: $vgpr6
.LBB6_5421:                             ;   in Loop: Header=BB6_4406 Depth=4
	s_andn2_saveexec_b64 s[28:29], s[34:35]
	s_cbranch_execz .LBB6_5423
; %bb.5422:                             ;   in Loop: Header=BB6_4406 Depth=4
	v_or_b32_e32 v4, 0x7e, v6
	buffer_store_dword v4, off, s[0:3], s33 offset:148 ; 4-byte Folded Spill
.LBB6_5423:                             ;   in Loop: Header=BB6_4406 Depth=4
	s_or_b64 exec, exec, s[28:29]
                                        ; implicit-def: $vgpr4
.LBB6_5424:                             ;   in Loop: Header=BB6_4406 Depth=4
	s_andn2_saveexec_b64 s[28:29], s[30:31]
	s_cbranch_execz .LBB6_5426
; %bb.5425:                             ;   in Loop: Header=BB6_4406 Depth=4
	v_or_b32_sdwa v4, v4, s86 dst_sel:DWORD dst_unused:UNUSED_PAD src0_sel:BYTE_3 src1_sel:DWORD
	buffer_store_dword v4, off, s[0:3], s33 offset:148 ; 4-byte Folded Spill
.LBB6_5426:                             ;   in Loop: Header=BB6_4406 Depth=4
	s_or_b64 exec, exec, s[28:29]
	v_lshrrev_b32_e32 v8, 16, v11
	v_cmp_ne_u16_sdwa vcc, v8, v51 src0_sel:BYTE_0 src1_sel:DWORD
	v_mov_b32_e32 v4, 0
	s_and_saveexec_b64 s[28:29], vcc
	s_cbranch_execz .LBB6_5432
; %bb.5427:                             ;   in Loop: Header=BB6_4406 Depth=4
	v_cmp_ne_u16_sdwa vcc, v8, s96 src0_sel:BYTE_0 src1_sel:DWORD
	v_bfrev_b32_e32 v4, 1
	s_and_saveexec_b64 s[30:31], vcc
	s_cbranch_execz .LBB6_5431
; %bb.5428:                             ;   in Loop: Header=BB6_4406 Depth=4
	v_bfe_u32 v5, v11, 16, 7
	v_cmp_ne_u32_e32 vcc, s86, v5
	v_mov_b32_e32 v4, 0x7f800001
	s_and_saveexec_b64 s[34:35], vcc
	s_cbranch_execz .LBB6_5430
; %bb.5429:                             ;   in Loop: Header=BB6_4406 Depth=4
	v_and_b32_e32 v6, 7, v8
	v_ffbh_u32_e32 v4, v6
	v_min_u32_e32 v12, 32, v4
	v_lshrrev_b32_e32 v9, 3, v5
	v_subrev_u32_e32 v4, 28, v12
	v_cmp_gt_u32_e32 vcc, 8, v5
	v_lshlrev_b64 v[4:5], v4, v[8:9]
	v_sub_u32_e32 v5, 29, v12
	v_and_b32_e32 v4, 7, v4
	v_cndmask_b32_e32 v5, v9, v5, vcc
	v_cndmask_b32_e32 v4, v6, v4, vcc
	v_lshlrev_b32_e32 v6, 24, v8
	v_bfrev_b32_e32 v8, 60
	v_lshlrev_b32_e32 v4, 20, v4
	v_and_b32_e32 v6, 0x80000000, v6
	v_lshl_add_u32 v5, v5, 23, v8
	v_or3_b32 v4, v6, v5, v4
.LBB6_5430:                             ;   in Loop: Header=BB6_4406 Depth=4
	s_or_b64 exec, exec, s[34:35]
.LBB6_5431:                             ;   in Loop: Header=BB6_4406 Depth=4
	s_or_b64 exec, exec, s[30:31]
.LBB6_5432:                             ;   in Loop: Header=BB6_4406 Depth=4
	s_or_b64 exec, exec, s[28:29]
	v_mul_f32_e32 v4, v14, v4
	v_and_b32_e32 v50, 0x7f800000, v4
	v_cmp_ne_u64_e32 vcc, s[76:77], v[50:51]
                                        ; implicit-def: $vgpr5
                                        ; kill: killed $vgpr5
	s_and_saveexec_b64 s[28:29], vcc
	s_xor_b64 s[30:31], exec, s[28:29]
	s_cbranch_execz .LBB6_5446
; %bb.5433:                             ;   in Loop: Header=BB6_4406 Depth=4
	v_and_b32_e32 v50, 0x7fffffff, v4
	v_cmp_gt_u64_e32 vcc, s[78:79], v[50:51]
	v_and_b32_sdwa v6, v4, s96 dst_sel:DWORD dst_unused:UNUSED_PAD src0_sel:BYTE_3 src1_sel:DWORD
                                        ; implicit-def: $vgpr5
                                        ; kill: killed $vgpr5
	s_and_saveexec_b64 s[28:29], vcc
	s_xor_b64 s[34:35], exec, s[28:29]
	s_cbranch_execz .LBB6_5443
; %bb.5434:                             ;   in Loop: Header=BB6_4406 Depth=4
	v_mov_b32_e32 v5, 0
	v_cmp_ne_u32_e32 vcc, 0, v4
	buffer_store_dword v5, off, s[0:3], s33 offset:168 ; 4-byte Folded Spill
	s_and_saveexec_b64 s[36:37], vcc
	s_cbranch_execz .LBB6_5442
; %bb.5435:                             ;   in Loop: Header=BB6_4406 Depth=4
	v_bfe_u32 v12, v4, 23, 8
	v_and_b32_e32 v5, 0x7fffff, v4
	v_cmp_gt_u32_e64 s[28:29], s97, v12
	v_sub_u32_e32 v4, 0x79, v12
	v_cmp_eq_u32_e32 vcc, 0, v12
	v_cndmask_b32_e64 v4, 0, v4, s[28:29]
	v_mov_b32_e32 v9, 0x78
	v_cndmask_b32_e32 v13, v4, v9, vcc
	v_or_b32_e32 v8, 0x800000, v5
	v_add_u32_e32 v4, 20, v13
	v_cndmask_b32_e32 v50, v8, v5, vcc
	v_lshlrev_b64 v[4:5], v4, -1
	v_add_u32_e32 v8, 19, v13
	v_lshlrev_b64 v[8:9], v8, 1
	v_bfi_b32 v5, v5, 0, 0
	v_bfi_b32 v4, v4, 0, v50
	v_cmp_eq_u64_e64 s[28:29], v[4:5], v[8:9]
	v_lshrrev_b64 v[8:9], v13, v[50:51]
	v_mov_b32_e32 v4, v8
	v_mov_b32_e32 v5, v9
	s_and_saveexec_b64 s[38:39], s[28:29]
; %bb.5436:                             ;   in Loop: Header=BB6_4406 Depth=4
	v_bfe_u32 v4, v8, 20, 1
	v_add_co_u32_e64 v4, s[28:29], v8, v4
	v_add_co_u32_e64 v4, s[28:29], -1, v4
; %bb.5437:                             ;   in Loop: Header=BB6_4406 Depth=4
	s_or_b64 exec, exec, s[38:39]
	v_add_u32_e32 v5, 0xffffff81, v12
	v_mov_b32_e32 v9, 0xffffff82
	v_cndmask_b32_e32 v5, v5, v9, vcc
	v_lshrrev_b32_e32 v9, 23, v8
	v_add3_u32 v12, v13, v5, v9
	v_add_u32_e32 v5, 6, v12
	v_and_b32_e32 v4, 0xfffff, v4
	v_add_u32_e32 v50, v4, v8
	v_cmp_ne_u32_e32 vcc, 0, v5
                                        ; implicit-def: $vgpr8_vgpr9
                                        ; implicit-def: $vgpr4
	s_and_saveexec_b64 s[28:29], vcc
	s_xor_b64 s[28:29], exec, s[28:29]
; %bb.5438:                             ;   in Loop: Header=BB6_4406 Depth=4
	v_cmp_lt_u64_e32 vcc, s[88:89], v[50:51]
	v_add_u32_e32 v4, 7, v12
	v_cndmask_b32_e32 v4, v5, v4, vcc
	v_cndmask_b32_e64 v5, 0, 1, vcc
	v_lshrrev_b64 v[8:9], v5, v[50:51]
; %bb.5439:                             ;   in Loop: Header=BB6_4406 Depth=4
	s_andn2_saveexec_b64 s[28:29], s[28:29]
; %bb.5440:                             ;   in Loop: Header=BB6_4406 Depth=4
	v_mov_b32_e32 v8, v50
	v_bfe_u32 v4, v50, 23, 1
	v_mov_b32_e32 v9, v51
; %bb.5441:                             ;   in Loop: Header=BB6_4406 Depth=4
	s_or_b64 exec, exec, s[28:29]
	v_lshrrev_b64 v[8:9], 20, v[8:9]
	v_cmp_gt_i32_e32 vcc, 16, v4
	v_cndmask_b32_e32 v9, 0, v9, vcc
	v_cndmask_b32_e32 v8, 7, v8, vcc
	v_cmp_eq_u32_e32 vcc, 0, v4
	v_min_i32_e32 v4, 15, v4
	v_cmp_eq_u64_e64 s[28:29], 0, v[8:9]
	v_lshlrev_b32_e32 v4, 3, v4
	v_and_b32_e32 v4, 0xf8, v4
	v_and_or_b32 v4, v8, 7, v4
	s_and_b64 s[28:29], vcc, s[28:29]
	v_cndmask_b32_e64 v4, v4, 0, s[28:29]
	v_or_b32_e32 v4, v4, v6
	buffer_store_dword v4, off, s[0:3], s33 offset:168 ; 4-byte Folded Spill
.LBB6_5442:                             ;   in Loop: Header=BB6_4406 Depth=4
	s_or_b64 exec, exec, s[36:37]
                                        ; implicit-def: $vgpr6
.LBB6_5443:                             ;   in Loop: Header=BB6_4406 Depth=4
	s_andn2_saveexec_b64 s[28:29], s[34:35]
	s_cbranch_execz .LBB6_5445
; %bb.5444:                             ;   in Loop: Header=BB6_4406 Depth=4
	v_or_b32_e32 v4, 0x7e, v6
	buffer_store_dword v4, off, s[0:3], s33 offset:168 ; 4-byte Folded Spill
.LBB6_5445:                             ;   in Loop: Header=BB6_4406 Depth=4
	s_or_b64 exec, exec, s[28:29]
                                        ; implicit-def: $vgpr4
.LBB6_5446:                             ;   in Loop: Header=BB6_4406 Depth=4
	s_andn2_saveexec_b64 s[28:29], s[30:31]
	s_cbranch_execz .LBB6_5448
; %bb.5447:                             ;   in Loop: Header=BB6_4406 Depth=4
	v_or_b32_sdwa v4, v4, s86 dst_sel:DWORD dst_unused:UNUSED_PAD src0_sel:BYTE_3 src1_sel:DWORD
	buffer_store_dword v4, off, s[0:3], s33 offset:168 ; 4-byte Folded Spill
.LBB6_5448:                             ;   in Loop: Header=BB6_4406 Depth=4
	s_or_b64 exec, exec, s[28:29]
	v_cmp_lt_u64_e32 vcc, s[56:57], v[10:11]
	v_mov_b32_e32 v4, 0
	s_and_saveexec_b64 s[28:29], vcc
	s_cbranch_execz .LBB6_5454
; %bb.5449:                             ;   in Loop: Header=BB6_4406 Depth=4
	v_lshrrev_b32_e32 v8, 24, v11
	v_cmp_ne_u32_e32 vcc, s96, v8
	v_bfrev_b32_e32 v4, 1
	s_and_saveexec_b64 s[30:31], vcc
	s_cbranch_execz .LBB6_5453
; %bb.5450:                             ;   in Loop: Header=BB6_4406 Depth=4
	v_bfe_u32 v5, v11, 24, 7
	v_cmp_ne_u32_e32 vcc, s86, v5
	v_mov_b32_e32 v4, 0x7f800001
	s_and_saveexec_b64 s[34:35], vcc
	s_cbranch_execz .LBB6_5452
; %bb.5451:                             ;   in Loop: Header=BB6_4406 Depth=4
	v_and_b32_e32 v6, 7, v8
	v_ffbh_u32_e32 v4, v6
	v_min_u32_e32 v10, 32, v4
	v_lshrrev_b32_e32 v9, 3, v5
	v_subrev_u32_e32 v4, 28, v10
	v_cmp_gt_u32_e32 vcc, 8, v5
	v_lshlrev_b64 v[4:5], v4, v[8:9]
	v_sub_u32_e32 v5, 29, v10
	v_and_b32_e32 v4, 7, v4
	v_cndmask_b32_e32 v5, v9, v5, vcc
	v_cndmask_b32_e32 v4, v6, v4, vcc
	v_lshlrev_b32_e32 v6, 24, v8
	v_bfrev_b32_e32 v8, 60
	v_lshlrev_b32_e32 v4, 20, v4
	v_and_b32_e32 v6, 0x80000000, v6
	v_lshl_add_u32 v5, v5, 23, v8
	v_or3_b32 v4, v6, v5, v4
.LBB6_5452:                             ;   in Loop: Header=BB6_4406 Depth=4
	s_or_b64 exec, exec, s[34:35]
.LBB6_5453:                             ;   in Loop: Header=BB6_4406 Depth=4
	s_or_b64 exec, exec, s[30:31]
.LBB6_5454:                             ;   in Loop: Header=BB6_4406 Depth=4
	s_or_b64 exec, exec, s[28:29]
	v_mul_f32_e32 v4, v14, v4
	v_and_b32_e32 v50, 0x7f800000, v4
	v_cmp_ne_u64_e32 vcc, s[76:77], v[50:51]
                                        ; implicit-def: $vgpr5
                                        ; kill: killed $vgpr5
	s_and_saveexec_b64 s[28:29], vcc
	s_xor_b64 s[30:31], exec, s[28:29]
	s_cbranch_execz .LBB6_5468
; %bb.5455:                             ;   in Loop: Header=BB6_4406 Depth=4
	v_and_b32_e32 v50, 0x7fffffff, v4
	v_cmp_gt_u64_e32 vcc, s[78:79], v[50:51]
	v_and_b32_sdwa v6, v4, s96 dst_sel:DWORD dst_unused:UNUSED_PAD src0_sel:BYTE_3 src1_sel:DWORD
                                        ; implicit-def: $vgpr5
                                        ; kill: killed $vgpr5
	s_and_saveexec_b64 s[28:29], vcc
	s_xor_b64 s[34:35], exec, s[28:29]
	s_cbranch_execz .LBB6_5465
; %bb.5456:                             ;   in Loop: Header=BB6_4406 Depth=4
	v_mov_b32_e32 v5, 0
	v_cmp_ne_u32_e32 vcc, 0, v4
	buffer_store_dword v5, off, s[0:3], s33 offset:188 ; 4-byte Folded Spill
	s_and_saveexec_b64 s[36:37], vcc
	s_cbranch_execz .LBB6_5464
; %bb.5457:                             ;   in Loop: Header=BB6_4406 Depth=4
	v_bfe_u32 v10, v4, 23, 8
	v_and_b32_e32 v5, 0x7fffff, v4
	v_cmp_gt_u32_e64 s[28:29], s97, v10
	v_sub_u32_e32 v4, 0x79, v10
	v_cmp_eq_u32_e32 vcc, 0, v10
	v_cndmask_b32_e64 v4, 0, v4, s[28:29]
	v_mov_b32_e32 v9, 0x78
	v_cndmask_b32_e32 v11, v4, v9, vcc
	v_or_b32_e32 v8, 0x800000, v5
	v_add_u32_e32 v4, 20, v11
	v_cndmask_b32_e32 v50, v8, v5, vcc
	v_lshlrev_b64 v[4:5], v4, -1
	v_add_u32_e32 v8, 19, v11
	v_lshlrev_b64 v[8:9], v8, 1
	v_bfi_b32 v5, v5, 0, 0
	v_bfi_b32 v4, v4, 0, v50
	v_cmp_eq_u64_e64 s[28:29], v[4:5], v[8:9]
	v_lshrrev_b64 v[8:9], v11, v[50:51]
	v_mov_b32_e32 v4, v8
	v_mov_b32_e32 v5, v9
	s_and_saveexec_b64 s[38:39], s[28:29]
; %bb.5458:                             ;   in Loop: Header=BB6_4406 Depth=4
	v_bfe_u32 v4, v8, 20, 1
	v_add_co_u32_e64 v4, s[28:29], v8, v4
	v_add_co_u32_e64 v4, s[28:29], -1, v4
; %bb.5459:                             ;   in Loop: Header=BB6_4406 Depth=4
	s_or_b64 exec, exec, s[38:39]
	v_add_u32_e32 v5, 0xffffff81, v10
	v_mov_b32_e32 v9, 0xffffff82
	v_cndmask_b32_e32 v5, v5, v9, vcc
	v_lshrrev_b32_e32 v9, 23, v8
	v_add3_u32 v10, v11, v5, v9
	v_add_u32_e32 v5, 6, v10
	v_and_b32_e32 v4, 0xfffff, v4
	v_add_u32_e32 v50, v4, v8
	v_cmp_ne_u32_e32 vcc, 0, v5
                                        ; implicit-def: $vgpr8_vgpr9
                                        ; implicit-def: $vgpr4
	s_and_saveexec_b64 s[28:29], vcc
	s_xor_b64 s[28:29], exec, s[28:29]
; %bb.5460:                             ;   in Loop: Header=BB6_4406 Depth=4
	v_cmp_lt_u64_e32 vcc, s[88:89], v[50:51]
	v_add_u32_e32 v4, 7, v10
	v_cndmask_b32_e32 v4, v5, v4, vcc
	v_cndmask_b32_e64 v5, 0, 1, vcc
	v_lshrrev_b64 v[8:9], v5, v[50:51]
; %bb.5461:                             ;   in Loop: Header=BB6_4406 Depth=4
	s_andn2_saveexec_b64 s[28:29], s[28:29]
; %bb.5462:                             ;   in Loop: Header=BB6_4406 Depth=4
	v_mov_b32_e32 v8, v50
	v_bfe_u32 v4, v50, 23, 1
	v_mov_b32_e32 v9, v51
; %bb.5463:                             ;   in Loop: Header=BB6_4406 Depth=4
	s_or_b64 exec, exec, s[28:29]
	v_lshrrev_b64 v[8:9], 20, v[8:9]
	v_cmp_gt_i32_e32 vcc, 16, v4
	v_cndmask_b32_e32 v9, 0, v9, vcc
	v_cndmask_b32_e32 v8, 7, v8, vcc
	v_cmp_eq_u32_e32 vcc, 0, v4
	v_min_i32_e32 v4, 15, v4
	v_cmp_eq_u64_e64 s[28:29], 0, v[8:9]
	v_lshlrev_b32_e32 v4, 3, v4
	v_and_b32_e32 v4, 0xf8, v4
	v_and_or_b32 v4, v8, 7, v4
	s_and_b64 s[28:29], vcc, s[28:29]
	v_cndmask_b32_e64 v4, v4, 0, s[28:29]
	v_or_b32_e32 v4, v4, v6
	buffer_store_dword v4, off, s[0:3], s33 offset:188 ; 4-byte Folded Spill
.LBB6_5464:                             ;   in Loop: Header=BB6_4406 Depth=4
	s_or_b64 exec, exec, s[36:37]
                                        ; implicit-def: $vgpr6
.LBB6_5465:                             ;   in Loop: Header=BB6_4406 Depth=4
	s_andn2_saveexec_b64 s[28:29], s[34:35]
	s_cbranch_execz .LBB6_5467
; %bb.5466:                             ;   in Loop: Header=BB6_4406 Depth=4
	v_or_b32_e32 v4, 0x7e, v6
	buffer_store_dword v4, off, s[0:3], s33 offset:188 ; 4-byte Folded Spill
.LBB6_5467:                             ;   in Loop: Header=BB6_4406 Depth=4
	s_or_b64 exec, exec, s[28:29]
                                        ; implicit-def: $vgpr4
.LBB6_5468:                             ;   in Loop: Header=BB6_4406 Depth=4
	s_andn2_saveexec_b64 s[28:29], s[30:31]
	s_cbranch_execz .LBB6_5470
; %bb.5469:                             ;   in Loop: Header=BB6_4406 Depth=4
	v_or_b32_sdwa v4, v4, s86 dst_sel:DWORD dst_unused:UNUSED_PAD src0_sel:BYTE_3 src1_sel:DWORD
	buffer_store_dword v4, off, s[0:3], s33 offset:188 ; 4-byte Folded Spill
.LBB6_5470:                             ;   in Loop: Header=BB6_4406 Depth=4
	s_or_b64 exec, exec, s[28:29]
	global_load_dwordx4 v[8:11], v[26:27], off offset:3072 glc slc
	v_mov_b32_e32 v4, 0
	s_waitcnt vmcnt(0)
	v_cmp_ne_u16_sdwa vcc, v8, v51 src0_sel:BYTE_0 src1_sel:DWORD
	s_and_saveexec_b64 s[28:29], vcc
	s_cbranch_execz .LBB6_5476
; %bb.5471:                             ;   in Loop: Header=BB6_4406 Depth=4
	v_cmp_ne_u16_sdwa vcc, v8, s96 src0_sel:BYTE_0 src1_sel:DWORD
	v_bfrev_b32_e32 v4, 1
	s_and_saveexec_b64 s[30:31], vcc
	s_cbranch_execz .LBB6_5475
; %bb.5472:                             ;   in Loop: Header=BB6_4406 Depth=4
	v_and_b32_e32 v5, 0x7f, v8
	v_cmp_ne_u32_e32 vcc, s86, v5
	v_mov_b32_e32 v4, 0x7f800001
	s_and_saveexec_b64 s[34:35], vcc
	s_cbranch_execz .LBB6_5474
; %bb.5473:                             ;   in Loop: Header=BB6_4406 Depth=4
	v_and_b32_e32 v4, 7, v8
	v_ffbh_u32_e32 v4, v4
	v_min_u32_e32 v4, 32, v4
	v_lshrrev_b32_e32 v6, 3, v5
	v_cmp_gt_u32_e32 vcc, 8, v5
	v_subrev_u32_e32 v5, 28, v4
	v_sub_u32_e32 v4, 29, v4
	v_cndmask_b32_e32 v6, v6, v4, vcc
	v_cndmask_b32_e32 v4, 0, v5, vcc
	v_lshlrev_b64 v[4:5], v4, v[8:9]
	v_lshlrev_b32_e32 v5, 24, v8
	v_lshlrev_b32_e32 v4, 20, v4
	v_bfrev_b32_e32 v12, 60
	v_and_b32_e32 v4, 0x700000, v4
	v_and_b32_e32 v5, 0x80000000, v5
	v_lshl_add_u32 v6, v6, 23, v12
	v_or3_b32 v4, v5, v6, v4
.LBB6_5474:                             ;   in Loop: Header=BB6_4406 Depth=4
	s_or_b64 exec, exec, s[34:35]
.LBB6_5475:                             ;   in Loop: Header=BB6_4406 Depth=4
	s_or_b64 exec, exec, s[30:31]
.LBB6_5476:                             ;   in Loop: Header=BB6_4406 Depth=4
	s_or_b64 exec, exec, s[28:29]
	v_mul_f32_e32 v4, v14, v4
	v_and_b32_e32 v50, 0x7f800000, v4
	v_cmp_ne_u64_e32 vcc, s[76:77], v[50:51]
                                        ; implicit-def: $vgpr55
	s_and_saveexec_b64 s[28:29], vcc
	s_xor_b64 s[30:31], exec, s[28:29]
	s_cbranch_execz .LBB6_5490
; %bb.5477:                             ;   in Loop: Header=BB6_4406 Depth=4
	v_and_b32_e32 v50, 0x7fffffff, v4
	v_cmp_gt_u64_e32 vcc, s[78:79], v[50:51]
	v_and_b32_sdwa v6, v4, s96 dst_sel:DWORD dst_unused:UNUSED_PAD src0_sel:BYTE_3 src1_sel:DWORD
                                        ; implicit-def: $vgpr55
	s_and_saveexec_b64 s[28:29], vcc
	s_xor_b64 s[34:35], exec, s[28:29]
	s_cbranch_execz .LBB6_5487
; %bb.5478:                             ;   in Loop: Header=BB6_4406 Depth=4
	v_mov_b32_e32 v55, 0
	v_cmp_ne_u32_e32 vcc, 0, v4
	s_and_saveexec_b64 s[36:37], vcc
	s_cbranch_execz .LBB6_5486
; %bb.5479:                             ;   in Loop: Header=BB6_4406 Depth=4
	v_bfe_u32 v15, v4, 23, 8
	v_and_b32_e32 v5, 0x7fffff, v4
	v_cmp_gt_u32_e64 s[28:29], s97, v15
	v_sub_u32_e32 v4, 0x79, v15
	v_cmp_eq_u32_e32 vcc, 0, v15
	v_cndmask_b32_e64 v4, 0, v4, s[28:29]
	v_mov_b32_e32 v13, 0x78
	v_cndmask_b32_e32 v16, v4, v13, vcc
	v_or_b32_e32 v12, 0x800000, v5
	v_add_u32_e32 v4, 20, v16
	v_cndmask_b32_e32 v50, v12, v5, vcc
	v_lshlrev_b64 v[4:5], v4, -1
	v_add_u32_e32 v12, 19, v16
	v_lshlrev_b64 v[12:13], v12, 1
	v_bfi_b32 v5, v5, 0, 0
	v_bfi_b32 v4, v4, 0, v50
	v_cmp_eq_u64_e64 s[28:29], v[4:5], v[12:13]
	v_lshrrev_b64 v[12:13], v16, v[50:51]
	v_mov_b32_e32 v4, v12
	v_mov_b32_e32 v5, v13
	s_and_saveexec_b64 s[38:39], s[28:29]
; %bb.5480:                             ;   in Loop: Header=BB6_4406 Depth=4
	v_bfe_u32 v4, v12, 20, 1
	v_add_co_u32_e64 v4, s[28:29], v12, v4
	v_add_co_u32_e64 v4, s[28:29], -1, v4
; %bb.5481:                             ;   in Loop: Header=BB6_4406 Depth=4
	s_or_b64 exec, exec, s[38:39]
	v_add_u32_e32 v5, 0xffffff81, v15
	v_mov_b32_e32 v13, 0xffffff82
	v_cndmask_b32_e32 v5, v5, v13, vcc
	v_lshrrev_b32_e32 v13, 23, v12
	v_add3_u32 v15, v16, v5, v13
	v_add_u32_e32 v5, 6, v15
	v_and_b32_e32 v4, 0xfffff, v4
	v_add_u32_e32 v50, v4, v12
	v_cmp_ne_u32_e32 vcc, 0, v5
                                        ; implicit-def: $vgpr12_vgpr13
                                        ; implicit-def: $vgpr4
	s_and_saveexec_b64 s[28:29], vcc
	s_xor_b64 s[28:29], exec, s[28:29]
; %bb.5482:                             ;   in Loop: Header=BB6_4406 Depth=4
	v_cmp_lt_u64_e32 vcc, s[88:89], v[50:51]
	v_add_u32_e32 v4, 7, v15
	v_cndmask_b32_e32 v4, v5, v4, vcc
	v_cndmask_b32_e64 v5, 0, 1, vcc
	v_lshrrev_b64 v[12:13], v5, v[50:51]
; %bb.5483:                             ;   in Loop: Header=BB6_4406 Depth=4
	s_andn2_saveexec_b64 s[28:29], s[28:29]
; %bb.5484:                             ;   in Loop: Header=BB6_4406 Depth=4
	v_mov_b32_e32 v12, v50
	v_bfe_u32 v4, v50, 23, 1
	v_mov_b32_e32 v13, v51
; %bb.5485:                             ;   in Loop: Header=BB6_4406 Depth=4
	s_or_b64 exec, exec, s[28:29]
	v_lshrrev_b64 v[12:13], 20, v[12:13]
	v_cmp_gt_i32_e32 vcc, 16, v4
	v_cndmask_b32_e32 v13, 0, v13, vcc
	v_cndmask_b32_e32 v12, 7, v12, vcc
	v_cmp_eq_u32_e32 vcc, 0, v4
	v_min_i32_e32 v4, 15, v4
	v_cmp_eq_u64_e64 s[28:29], 0, v[12:13]
	v_lshlrev_b32_e32 v4, 3, v4
	v_and_b32_e32 v4, 0xf8, v4
	v_and_or_b32 v4, v12, 7, v4
	s_and_b64 s[28:29], vcc, s[28:29]
	v_cndmask_b32_e64 v4, v4, 0, s[28:29]
	v_or_b32_e32 v55, v4, v6
.LBB6_5486:                             ;   in Loop: Header=BB6_4406 Depth=4
	s_or_b64 exec, exec, s[36:37]
                                        ; implicit-def: $vgpr6
.LBB6_5487:                             ;   in Loop: Header=BB6_4406 Depth=4
	s_andn2_saveexec_b64 s[28:29], s[34:35]
; %bb.5488:                             ;   in Loop: Header=BB6_4406 Depth=4
	v_or_b32_e32 v55, 0x7e, v6
; %bb.5489:                             ;   in Loop: Header=BB6_4406 Depth=4
	s_or_b64 exec, exec, s[28:29]
                                        ; implicit-def: $vgpr4
.LBB6_5490:                             ;   in Loop: Header=BB6_4406 Depth=4
	s_andn2_saveexec_b64 s[28:29], s[30:31]
; %bb.5491:                             ;   in Loop: Header=BB6_4406 Depth=4
	v_or_b32_sdwa v55, v4, s86 dst_sel:DWORD dst_unused:UNUSED_PAD src0_sel:BYTE_3 src1_sel:DWORD
; %bb.5492:                             ;   in Loop: Header=BB6_4406 Depth=4
	s_or_b64 exec, exec, s[28:29]
	v_lshrrev_b16_e32 v12, 8, v8
	v_cmp_ne_u16_e32 vcc, 0, v12
	v_mov_b32_e32 v4, 0
	s_and_saveexec_b64 s[28:29], vcc
	s_cbranch_execz .LBB6_5498
; %bb.5493:                             ;   in Loop: Header=BB6_4406 Depth=4
	v_cmp_ne_u16_e32 vcc, s96, v12
	v_bfrev_b32_e32 v4, 1
	s_and_saveexec_b64 s[30:31], vcc
	s_cbranch_execz .LBB6_5497
; %bb.5494:                             ;   in Loop: Header=BB6_4406 Depth=4
	v_and_b32_e32 v5, 0x7f, v12
	v_cmp_ne_u32_e32 vcc, s86, v5
	v_mov_b32_e32 v4, 0x7f800001
	s_and_saveexec_b64 s[34:35], vcc
	s_cbranch_execz .LBB6_5496
; %bb.5495:                             ;   in Loop: Header=BB6_4406 Depth=4
	v_and_b32_e32 v6, 7, v12
	v_ffbh_u32_e32 v4, v6
	v_min_u32_e32 v15, 32, v4
	v_lshrrev_b32_e32 v13, 3, v5
	v_subrev_u32_e32 v4, 28, v15
	v_cmp_gt_u32_e32 vcc, 8, v5
	v_lshlrev_b64 v[4:5], v4, v[12:13]
	v_sub_u32_e32 v5, 29, v15
	v_and_b32_e32 v4, 7, v4
	v_cndmask_b32_e32 v5, v13, v5, vcc
	v_cndmask_b32_e32 v4, v6, v4, vcc
	v_lshlrev_b32_e32 v6, 16, v8
	v_bfrev_b32_e32 v12, 60
	v_lshlrev_b32_e32 v4, 20, v4
	v_and_b32_e32 v6, 0x80000000, v6
	v_lshl_add_u32 v5, v5, 23, v12
	v_or3_b32 v4, v6, v5, v4
.LBB6_5496:                             ;   in Loop: Header=BB6_4406 Depth=4
	s_or_b64 exec, exec, s[34:35]
.LBB6_5497:                             ;   in Loop: Header=BB6_4406 Depth=4
	s_or_b64 exec, exec, s[30:31]
.LBB6_5498:                             ;   in Loop: Header=BB6_4406 Depth=4
	s_or_b64 exec, exec, s[28:29]
	v_mul_f32_e32 v4, v14, v4
	v_and_b32_e32 v50, 0x7f800000, v4
	v_cmp_ne_u64_e32 vcc, s[76:77], v[50:51]
                                        ; implicit-def: $vgpr41
	s_and_saveexec_b64 s[28:29], vcc
	s_xor_b64 s[30:31], exec, s[28:29]
	s_cbranch_execz .LBB6_5512
; %bb.5499:                             ;   in Loop: Header=BB6_4406 Depth=4
	v_and_b32_e32 v50, 0x7fffffff, v4
	v_cmp_gt_u64_e32 vcc, s[78:79], v[50:51]
	v_and_b32_sdwa v6, v4, s96 dst_sel:DWORD dst_unused:UNUSED_PAD src0_sel:BYTE_3 src1_sel:DWORD
                                        ; implicit-def: $vgpr41
	s_and_saveexec_b64 s[28:29], vcc
	s_xor_b64 s[34:35], exec, s[28:29]
	s_cbranch_execz .LBB6_5509
; %bb.5500:                             ;   in Loop: Header=BB6_4406 Depth=4
	v_mov_b32_e32 v41, 0
	v_cmp_ne_u32_e32 vcc, 0, v4
	s_and_saveexec_b64 s[36:37], vcc
	s_cbranch_execz .LBB6_5508
; %bb.5501:                             ;   in Loop: Header=BB6_4406 Depth=4
	v_bfe_u32 v15, v4, 23, 8
	v_and_b32_e32 v5, 0x7fffff, v4
	v_cmp_gt_u32_e64 s[28:29], s97, v15
	v_sub_u32_e32 v4, 0x79, v15
	v_cmp_eq_u32_e32 vcc, 0, v15
	v_cndmask_b32_e64 v4, 0, v4, s[28:29]
	v_mov_b32_e32 v13, 0x78
	v_cndmask_b32_e32 v16, v4, v13, vcc
	v_or_b32_e32 v12, 0x800000, v5
	v_add_u32_e32 v4, 20, v16
	v_cndmask_b32_e32 v50, v12, v5, vcc
	v_lshlrev_b64 v[4:5], v4, -1
	v_add_u32_e32 v12, 19, v16
	v_lshlrev_b64 v[12:13], v12, 1
	v_bfi_b32 v5, v5, 0, 0
	v_bfi_b32 v4, v4, 0, v50
	v_cmp_eq_u64_e64 s[28:29], v[4:5], v[12:13]
	v_lshrrev_b64 v[12:13], v16, v[50:51]
	v_mov_b32_e32 v4, v12
	v_mov_b32_e32 v5, v13
	s_and_saveexec_b64 s[38:39], s[28:29]
; %bb.5502:                             ;   in Loop: Header=BB6_4406 Depth=4
	v_bfe_u32 v4, v12, 20, 1
	v_add_co_u32_e64 v4, s[28:29], v12, v4
	v_add_co_u32_e64 v4, s[28:29], -1, v4
; %bb.5503:                             ;   in Loop: Header=BB6_4406 Depth=4
	s_or_b64 exec, exec, s[38:39]
	v_add_u32_e32 v5, 0xffffff81, v15
	v_mov_b32_e32 v13, 0xffffff82
	v_cndmask_b32_e32 v5, v5, v13, vcc
	v_lshrrev_b32_e32 v13, 23, v12
	v_add3_u32 v15, v16, v5, v13
	v_add_u32_e32 v5, 6, v15
	v_and_b32_e32 v4, 0xfffff, v4
	v_add_u32_e32 v50, v4, v12
	v_cmp_ne_u32_e32 vcc, 0, v5
                                        ; implicit-def: $vgpr12_vgpr13
                                        ; implicit-def: $vgpr4
	s_and_saveexec_b64 s[28:29], vcc
	s_xor_b64 s[28:29], exec, s[28:29]
; %bb.5504:                             ;   in Loop: Header=BB6_4406 Depth=4
	v_cmp_lt_u64_e32 vcc, s[88:89], v[50:51]
	v_add_u32_e32 v4, 7, v15
	v_cndmask_b32_e32 v4, v5, v4, vcc
	v_cndmask_b32_e64 v5, 0, 1, vcc
	v_lshrrev_b64 v[12:13], v5, v[50:51]
; %bb.5505:                             ;   in Loop: Header=BB6_4406 Depth=4
	s_andn2_saveexec_b64 s[28:29], s[28:29]
; %bb.5506:                             ;   in Loop: Header=BB6_4406 Depth=4
	v_mov_b32_e32 v12, v50
	v_bfe_u32 v4, v50, 23, 1
	v_mov_b32_e32 v13, v51
; %bb.5507:                             ;   in Loop: Header=BB6_4406 Depth=4
	s_or_b64 exec, exec, s[28:29]
	v_lshrrev_b64 v[12:13], 20, v[12:13]
	v_cmp_gt_i32_e32 vcc, 16, v4
	v_cndmask_b32_e32 v13, 0, v13, vcc
	v_cndmask_b32_e32 v12, 7, v12, vcc
	v_cmp_eq_u32_e32 vcc, 0, v4
	v_min_i32_e32 v4, 15, v4
	v_cmp_eq_u64_e64 s[28:29], 0, v[12:13]
	v_lshlrev_b32_e32 v4, 3, v4
	v_and_b32_e32 v4, 0xf8, v4
	v_and_or_b32 v4, v12, 7, v4
	s_and_b64 s[28:29], vcc, s[28:29]
	v_cndmask_b32_e64 v4, v4, 0, s[28:29]
	v_or_b32_e32 v41, v4, v6
.LBB6_5508:                             ;   in Loop: Header=BB6_4406 Depth=4
	s_or_b64 exec, exec, s[36:37]
                                        ; implicit-def: $vgpr6
.LBB6_5509:                             ;   in Loop: Header=BB6_4406 Depth=4
	s_andn2_saveexec_b64 s[28:29], s[34:35]
; %bb.5510:                             ;   in Loop: Header=BB6_4406 Depth=4
	v_or_b32_e32 v41, 0x7e, v6
; %bb.5511:                             ;   in Loop: Header=BB6_4406 Depth=4
	s_or_b64 exec, exec, s[28:29]
                                        ; implicit-def: $vgpr4
.LBB6_5512:                             ;   in Loop: Header=BB6_4406 Depth=4
	s_andn2_saveexec_b64 s[28:29], s[30:31]
; %bb.5513:                             ;   in Loop: Header=BB6_4406 Depth=4
	v_or_b32_sdwa v41, v4, s86 dst_sel:DWORD dst_unused:UNUSED_PAD src0_sel:BYTE_3 src1_sel:DWORD
; %bb.5514:                             ;   in Loop: Header=BB6_4406 Depth=4
	s_or_b64 exec, exec, s[28:29]
	v_lshrrev_b32_e32 v12, 16, v8
	v_cmp_ne_u16_sdwa vcc, v12, v51 src0_sel:BYTE_0 src1_sel:DWORD
	v_mov_b32_e32 v4, 0
	s_and_saveexec_b64 s[28:29], vcc
	s_cbranch_execz .LBB6_5520
; %bb.5515:                             ;   in Loop: Header=BB6_4406 Depth=4
	v_cmp_ne_u16_sdwa vcc, v12, s96 src0_sel:BYTE_0 src1_sel:DWORD
	v_bfrev_b32_e32 v4, 1
	s_and_saveexec_b64 s[30:31], vcc
	s_cbranch_execz .LBB6_5519
; %bb.5516:                             ;   in Loop: Header=BB6_4406 Depth=4
	v_bfe_u32 v5, v8, 16, 7
	v_cmp_ne_u32_e32 vcc, s86, v5
	v_mov_b32_e32 v4, 0x7f800001
	s_and_saveexec_b64 s[34:35], vcc
	s_cbranch_execz .LBB6_5518
; %bb.5517:                             ;   in Loop: Header=BB6_4406 Depth=4
	v_and_b32_e32 v6, 7, v12
	v_ffbh_u32_e32 v4, v6
	v_min_u32_e32 v15, 32, v4
	v_lshrrev_b32_e32 v13, 3, v5
	v_subrev_u32_e32 v4, 28, v15
	v_cmp_gt_u32_e32 vcc, 8, v5
	v_lshlrev_b64 v[4:5], v4, v[12:13]
	v_sub_u32_e32 v5, 29, v15
	v_and_b32_e32 v4, 7, v4
	v_cndmask_b32_e32 v5, v13, v5, vcc
	v_cndmask_b32_e32 v4, v6, v4, vcc
	v_lshlrev_b32_e32 v6, 24, v12
	v_bfrev_b32_e32 v12, 60
	v_lshlrev_b32_e32 v4, 20, v4
	v_and_b32_e32 v6, 0x80000000, v6
	v_lshl_add_u32 v5, v5, 23, v12
	v_or3_b32 v4, v6, v5, v4
.LBB6_5518:                             ;   in Loop: Header=BB6_4406 Depth=4
	s_or_b64 exec, exec, s[34:35]
.LBB6_5519:                             ;   in Loop: Header=BB6_4406 Depth=4
	s_or_b64 exec, exec, s[30:31]
.LBB6_5520:                             ;   in Loop: Header=BB6_4406 Depth=4
	s_or_b64 exec, exec, s[28:29]
	v_mul_f32_e32 v4, v14, v4
	v_and_b32_e32 v50, 0x7f800000, v4
	v_cmp_ne_u64_e32 vcc, s[76:77], v[50:51]
                                        ; implicit-def: $vgpr5
                                        ; kill: killed $vgpr5
	s_and_saveexec_b64 s[28:29], vcc
	s_xor_b64 s[30:31], exec, s[28:29]
	s_cbranch_execz .LBB6_5534
; %bb.5521:                             ;   in Loop: Header=BB6_4406 Depth=4
	v_and_b32_e32 v50, 0x7fffffff, v4
	v_cmp_gt_u64_e32 vcc, s[78:79], v[50:51]
	v_and_b32_sdwa v6, v4, s96 dst_sel:DWORD dst_unused:UNUSED_PAD src0_sel:BYTE_3 src1_sel:DWORD
                                        ; implicit-def: $vgpr5
                                        ; kill: killed $vgpr5
	s_and_saveexec_b64 s[28:29], vcc
	s_xor_b64 s[34:35], exec, s[28:29]
	s_cbranch_execz .LBB6_5531
; %bb.5522:                             ;   in Loop: Header=BB6_4406 Depth=4
	v_mov_b32_e32 v5, 0
	v_cmp_ne_u32_e32 vcc, 0, v4
	buffer_store_dword v5, off, s[0:3], s33 offset:152 ; 4-byte Folded Spill
	s_and_saveexec_b64 s[36:37], vcc
	s_cbranch_execz .LBB6_5530
; %bb.5523:                             ;   in Loop: Header=BB6_4406 Depth=4
	v_bfe_u32 v15, v4, 23, 8
	v_and_b32_e32 v5, 0x7fffff, v4
	v_cmp_gt_u32_e64 s[28:29], s97, v15
	v_sub_u32_e32 v4, 0x79, v15
	v_cmp_eq_u32_e32 vcc, 0, v15
	v_cndmask_b32_e64 v4, 0, v4, s[28:29]
	v_mov_b32_e32 v13, 0x78
	v_cndmask_b32_e32 v16, v4, v13, vcc
	v_or_b32_e32 v12, 0x800000, v5
	v_add_u32_e32 v4, 20, v16
	v_cndmask_b32_e32 v50, v12, v5, vcc
	v_lshlrev_b64 v[4:5], v4, -1
	v_add_u32_e32 v12, 19, v16
	v_lshlrev_b64 v[12:13], v12, 1
	v_bfi_b32 v5, v5, 0, 0
	v_bfi_b32 v4, v4, 0, v50
	v_cmp_eq_u64_e64 s[28:29], v[4:5], v[12:13]
	v_lshrrev_b64 v[12:13], v16, v[50:51]
	v_mov_b32_e32 v4, v12
	v_mov_b32_e32 v5, v13
	s_and_saveexec_b64 s[38:39], s[28:29]
; %bb.5524:                             ;   in Loop: Header=BB6_4406 Depth=4
	v_bfe_u32 v4, v12, 20, 1
	v_add_co_u32_e64 v4, s[28:29], v12, v4
	v_add_co_u32_e64 v4, s[28:29], -1, v4
; %bb.5525:                             ;   in Loop: Header=BB6_4406 Depth=4
	s_or_b64 exec, exec, s[38:39]
	v_add_u32_e32 v5, 0xffffff81, v15
	v_mov_b32_e32 v13, 0xffffff82
	v_cndmask_b32_e32 v5, v5, v13, vcc
	v_lshrrev_b32_e32 v13, 23, v12
	v_add3_u32 v15, v16, v5, v13
	v_add_u32_e32 v5, 6, v15
	v_and_b32_e32 v4, 0xfffff, v4
	v_add_u32_e32 v50, v4, v12
	v_cmp_ne_u32_e32 vcc, 0, v5
                                        ; implicit-def: $vgpr12_vgpr13
                                        ; implicit-def: $vgpr4
	s_and_saveexec_b64 s[28:29], vcc
	s_xor_b64 s[28:29], exec, s[28:29]
; %bb.5526:                             ;   in Loop: Header=BB6_4406 Depth=4
	v_cmp_lt_u64_e32 vcc, s[88:89], v[50:51]
	v_add_u32_e32 v4, 7, v15
	v_cndmask_b32_e32 v4, v5, v4, vcc
	v_cndmask_b32_e64 v5, 0, 1, vcc
	v_lshrrev_b64 v[12:13], v5, v[50:51]
; %bb.5527:                             ;   in Loop: Header=BB6_4406 Depth=4
	s_andn2_saveexec_b64 s[28:29], s[28:29]
; %bb.5528:                             ;   in Loop: Header=BB6_4406 Depth=4
	v_mov_b32_e32 v12, v50
	v_bfe_u32 v4, v50, 23, 1
	v_mov_b32_e32 v13, v51
; %bb.5529:                             ;   in Loop: Header=BB6_4406 Depth=4
	s_or_b64 exec, exec, s[28:29]
	v_lshrrev_b64 v[12:13], 20, v[12:13]
	v_cmp_gt_i32_e32 vcc, 16, v4
	v_cndmask_b32_e32 v13, 0, v13, vcc
	v_cndmask_b32_e32 v12, 7, v12, vcc
	v_cmp_eq_u32_e32 vcc, 0, v4
	v_min_i32_e32 v4, 15, v4
	v_cmp_eq_u64_e64 s[28:29], 0, v[12:13]
	v_lshlrev_b32_e32 v4, 3, v4
	v_and_b32_e32 v4, 0xf8, v4
	v_and_or_b32 v4, v12, 7, v4
	s_and_b64 s[28:29], vcc, s[28:29]
	v_cndmask_b32_e64 v4, v4, 0, s[28:29]
	v_or_b32_e32 v4, v4, v6
	buffer_store_dword v4, off, s[0:3], s33 offset:152 ; 4-byte Folded Spill
.LBB6_5530:                             ;   in Loop: Header=BB6_4406 Depth=4
	s_or_b64 exec, exec, s[36:37]
                                        ; implicit-def: $vgpr6
.LBB6_5531:                             ;   in Loop: Header=BB6_4406 Depth=4
	s_andn2_saveexec_b64 s[28:29], s[34:35]
	s_cbranch_execz .LBB6_5533
; %bb.5532:                             ;   in Loop: Header=BB6_4406 Depth=4
	v_or_b32_e32 v4, 0x7e, v6
	buffer_store_dword v4, off, s[0:3], s33 offset:152 ; 4-byte Folded Spill
.LBB6_5533:                             ;   in Loop: Header=BB6_4406 Depth=4
	s_or_b64 exec, exec, s[28:29]
                                        ; implicit-def: $vgpr4
.LBB6_5534:                             ;   in Loop: Header=BB6_4406 Depth=4
	s_andn2_saveexec_b64 s[28:29], s[30:31]
	s_cbranch_execz .LBB6_5536
; %bb.5535:                             ;   in Loop: Header=BB6_4406 Depth=4
	v_or_b32_sdwa v4, v4, s86 dst_sel:DWORD dst_unused:UNUSED_PAD src0_sel:BYTE_3 src1_sel:DWORD
	buffer_store_dword v4, off, s[0:3], s33 offset:152 ; 4-byte Folded Spill
.LBB6_5536:                             ;   in Loop: Header=BB6_4406 Depth=4
	s_or_b64 exec, exec, s[28:29]
	v_cmp_lt_u32_e32 vcc, s57, v8
	v_mov_b32_e32 v4, 0
	s_and_saveexec_b64 s[28:29], vcc
	s_cbranch_execz .LBB6_5542
; %bb.5537:                             ;   in Loop: Header=BB6_4406 Depth=4
	v_lshrrev_b32_e32 v12, 24, v8
	v_cmp_ne_u32_e32 vcc, s96, v12
	v_bfrev_b32_e32 v4, 1
	s_and_saveexec_b64 s[30:31], vcc
	s_cbranch_execz .LBB6_5541
; %bb.5538:                             ;   in Loop: Header=BB6_4406 Depth=4
	v_bfe_u32 v5, v8, 24, 7
	v_cmp_ne_u32_e32 vcc, s86, v5
	v_mov_b32_e32 v4, 0x7f800001
	s_and_saveexec_b64 s[34:35], vcc
	s_cbranch_execz .LBB6_5540
; %bb.5539:                             ;   in Loop: Header=BB6_4406 Depth=4
	v_and_b32_e32 v6, 7, v12
	v_ffbh_u32_e32 v4, v6
	v_min_u32_e32 v15, 32, v4
	v_lshrrev_b32_e32 v13, 3, v5
	v_subrev_u32_e32 v4, 28, v15
	v_cmp_gt_u32_e32 vcc, 8, v5
	v_lshlrev_b64 v[4:5], v4, v[12:13]
	v_sub_u32_e32 v5, 29, v15
	v_and_b32_e32 v4, 7, v4
	v_cndmask_b32_e32 v5, v13, v5, vcc
	v_cndmask_b32_e32 v4, v6, v4, vcc
	v_lshlrev_b32_e32 v6, 24, v12
	v_bfrev_b32_e32 v12, 60
	v_lshlrev_b32_e32 v4, 20, v4
	v_and_b32_e32 v6, 0x80000000, v6
	v_lshl_add_u32 v5, v5, 23, v12
	v_or3_b32 v4, v6, v5, v4
.LBB6_5540:                             ;   in Loop: Header=BB6_4406 Depth=4
	s_or_b64 exec, exec, s[34:35]
.LBB6_5541:                             ;   in Loop: Header=BB6_4406 Depth=4
	s_or_b64 exec, exec, s[30:31]
.LBB6_5542:                             ;   in Loop: Header=BB6_4406 Depth=4
	s_or_b64 exec, exec, s[28:29]
	v_mul_f32_e32 v4, v14, v4
	v_and_b32_e32 v50, 0x7f800000, v4
	v_cmp_ne_u64_e32 vcc, s[76:77], v[50:51]
                                        ; implicit-def: $vgpr5
                                        ; kill: killed $vgpr5
	s_and_saveexec_b64 s[28:29], vcc
	s_xor_b64 s[30:31], exec, s[28:29]
	s_cbranch_execz .LBB6_5556
; %bb.5543:                             ;   in Loop: Header=BB6_4406 Depth=4
	v_and_b32_e32 v50, 0x7fffffff, v4
	v_cmp_gt_u64_e32 vcc, s[78:79], v[50:51]
	v_and_b32_sdwa v6, v4, s96 dst_sel:DWORD dst_unused:UNUSED_PAD src0_sel:BYTE_3 src1_sel:DWORD
                                        ; implicit-def: $vgpr5
                                        ; kill: killed $vgpr5
	s_and_saveexec_b64 s[28:29], vcc
	s_xor_b64 s[34:35], exec, s[28:29]
	s_cbranch_execz .LBB6_5553
; %bb.5544:                             ;   in Loop: Header=BB6_4406 Depth=4
	v_mov_b32_e32 v5, 0
	v_cmp_ne_u32_e32 vcc, 0, v4
	buffer_store_dword v5, off, s[0:3], s33 offset:172 ; 4-byte Folded Spill
	s_and_saveexec_b64 s[36:37], vcc
	s_cbranch_execz .LBB6_5552
; %bb.5545:                             ;   in Loop: Header=BB6_4406 Depth=4
	v_bfe_u32 v15, v4, 23, 8
	v_and_b32_e32 v5, 0x7fffff, v4
	v_cmp_gt_u32_e64 s[28:29], s97, v15
	v_sub_u32_e32 v4, 0x79, v15
	v_cmp_eq_u32_e32 vcc, 0, v15
	v_cndmask_b32_e64 v4, 0, v4, s[28:29]
	v_mov_b32_e32 v13, 0x78
	v_cndmask_b32_e32 v16, v4, v13, vcc
	v_or_b32_e32 v12, 0x800000, v5
	v_add_u32_e32 v4, 20, v16
	v_cndmask_b32_e32 v50, v12, v5, vcc
	v_lshlrev_b64 v[4:5], v4, -1
	v_add_u32_e32 v12, 19, v16
	v_lshlrev_b64 v[12:13], v12, 1
	v_bfi_b32 v5, v5, 0, 0
	v_bfi_b32 v4, v4, 0, v50
	v_cmp_eq_u64_e64 s[28:29], v[4:5], v[12:13]
	v_lshrrev_b64 v[12:13], v16, v[50:51]
	v_mov_b32_e32 v4, v12
	v_mov_b32_e32 v5, v13
	s_and_saveexec_b64 s[38:39], s[28:29]
; %bb.5546:                             ;   in Loop: Header=BB6_4406 Depth=4
	v_bfe_u32 v4, v12, 20, 1
	v_add_co_u32_e64 v4, s[28:29], v12, v4
	v_add_co_u32_e64 v4, s[28:29], -1, v4
; %bb.5547:                             ;   in Loop: Header=BB6_4406 Depth=4
	s_or_b64 exec, exec, s[38:39]
	v_add_u32_e32 v5, 0xffffff81, v15
	v_mov_b32_e32 v13, 0xffffff82
	v_cndmask_b32_e32 v5, v5, v13, vcc
	v_lshrrev_b32_e32 v13, 23, v12
	v_add3_u32 v15, v16, v5, v13
	v_add_u32_e32 v5, 6, v15
	v_and_b32_e32 v4, 0xfffff, v4
	v_add_u32_e32 v50, v4, v12
	v_cmp_ne_u32_e32 vcc, 0, v5
                                        ; implicit-def: $vgpr12_vgpr13
                                        ; implicit-def: $vgpr4
	s_and_saveexec_b64 s[28:29], vcc
	s_xor_b64 s[28:29], exec, s[28:29]
; %bb.5548:                             ;   in Loop: Header=BB6_4406 Depth=4
	v_cmp_lt_u64_e32 vcc, s[88:89], v[50:51]
	v_add_u32_e32 v4, 7, v15
	v_cndmask_b32_e32 v4, v5, v4, vcc
	v_cndmask_b32_e64 v5, 0, 1, vcc
	v_lshrrev_b64 v[12:13], v5, v[50:51]
; %bb.5549:                             ;   in Loop: Header=BB6_4406 Depth=4
	s_andn2_saveexec_b64 s[28:29], s[28:29]
; %bb.5550:                             ;   in Loop: Header=BB6_4406 Depth=4
	v_mov_b32_e32 v12, v50
	v_bfe_u32 v4, v50, 23, 1
	v_mov_b32_e32 v13, v51
; %bb.5551:                             ;   in Loop: Header=BB6_4406 Depth=4
	s_or_b64 exec, exec, s[28:29]
	v_lshrrev_b64 v[12:13], 20, v[12:13]
	v_cmp_gt_i32_e32 vcc, 16, v4
	v_cndmask_b32_e32 v13, 0, v13, vcc
	v_cndmask_b32_e32 v12, 7, v12, vcc
	v_cmp_eq_u32_e32 vcc, 0, v4
	v_min_i32_e32 v4, 15, v4
	v_cmp_eq_u64_e64 s[28:29], 0, v[12:13]
	v_lshlrev_b32_e32 v4, 3, v4
	v_and_b32_e32 v4, 0xf8, v4
	v_and_or_b32 v4, v12, 7, v4
	s_and_b64 s[28:29], vcc, s[28:29]
	v_cndmask_b32_e64 v4, v4, 0, s[28:29]
	v_or_b32_e32 v4, v4, v6
	buffer_store_dword v4, off, s[0:3], s33 offset:172 ; 4-byte Folded Spill
.LBB6_5552:                             ;   in Loop: Header=BB6_4406 Depth=4
	s_or_b64 exec, exec, s[36:37]
                                        ; implicit-def: $vgpr6
.LBB6_5553:                             ;   in Loop: Header=BB6_4406 Depth=4
	s_andn2_saveexec_b64 s[28:29], s[34:35]
	s_cbranch_execz .LBB6_5555
; %bb.5554:                             ;   in Loop: Header=BB6_4406 Depth=4
	v_or_b32_e32 v4, 0x7e, v6
	buffer_store_dword v4, off, s[0:3], s33 offset:172 ; 4-byte Folded Spill
.LBB6_5555:                             ;   in Loop: Header=BB6_4406 Depth=4
	s_or_b64 exec, exec, s[28:29]
                                        ; implicit-def: $vgpr4
.LBB6_5556:                             ;   in Loop: Header=BB6_4406 Depth=4
	s_andn2_saveexec_b64 s[28:29], s[30:31]
	s_cbranch_execz .LBB6_5558
; %bb.5557:                             ;   in Loop: Header=BB6_4406 Depth=4
	v_or_b32_sdwa v4, v4, s86 dst_sel:DWORD dst_unused:UNUSED_PAD src0_sel:BYTE_3 src1_sel:DWORD
	buffer_store_dword v4, off, s[0:3], s33 offset:172 ; 4-byte Folded Spill
.LBB6_5558:                             ;   in Loop: Header=BB6_4406 Depth=4
	s_or_b64 exec, exec, s[28:29]
	v_mov_b32_e32 v50, v9
	v_cmp_ne_u16_sdwa vcc, v9, v51 src0_sel:BYTE_0 src1_sel:DWORD
	v_mov_b32_e32 v4, 0
	s_and_saveexec_b64 s[28:29], vcc
	s_cbranch_execz .LBB6_5564
; %bb.5559:                             ;   in Loop: Header=BB6_4406 Depth=4
	v_cmp_ne_u16_sdwa vcc, v9, s96 src0_sel:BYTE_0 src1_sel:DWORD
	v_bfrev_b32_e32 v4, 1
	s_and_saveexec_b64 s[30:31], vcc
	s_cbranch_execz .LBB6_5563
; %bb.5560:                             ;   in Loop: Header=BB6_4406 Depth=4
	v_and_b32_e32 v5, 0x7f, v9
	v_cmp_ne_u32_e32 vcc, s86, v5
	v_mov_b32_e32 v4, 0x7f800001
	s_and_saveexec_b64 s[34:35], vcc
	s_cbranch_execz .LBB6_5562
; %bb.5561:                             ;   in Loop: Header=BB6_4406 Depth=4
	v_and_b32_e32 v4, 7, v9
	v_ffbh_u32_e32 v4, v4
	v_min_u32_e32 v4, 32, v4
	v_lshrrev_b32_e32 v6, 3, v5
	v_cmp_gt_u32_e32 vcc, 8, v5
	v_subrev_u32_e32 v5, 28, v4
	v_sub_u32_e32 v4, 29, v4
	v_cndmask_b32_e32 v6, v6, v4, vcc
	v_cndmask_b32_e32 v4, 0, v5, vcc
	v_lshlrev_b64 v[4:5], v4, v[50:51]
	v_lshlrev_b32_e32 v5, 24, v50
	v_lshlrev_b32_e32 v4, 20, v4
	v_bfrev_b32_e32 v12, 60
	v_and_b32_e32 v4, 0x700000, v4
	v_and_b32_e32 v5, 0x80000000, v5
	v_lshl_add_u32 v6, v6, 23, v12
	v_or3_b32 v4, v5, v6, v4
.LBB6_5562:                             ;   in Loop: Header=BB6_4406 Depth=4
	s_or_b64 exec, exec, s[34:35]
.LBB6_5563:                             ;   in Loop: Header=BB6_4406 Depth=4
	s_or_b64 exec, exec, s[30:31]
.LBB6_5564:                             ;   in Loop: Header=BB6_4406 Depth=4
	s_or_b64 exec, exec, s[28:29]
	v_mul_f32_e32 v4, v14, v4
	v_and_b32_e32 v5, 0x7f800000, v4
	v_mov_b32_e32 v6, v51
	v_cmp_ne_u64_e32 vcc, s[76:77], v[5:6]
                                        ; implicit-def: $vgpr46
	s_and_saveexec_b64 s[28:29], vcc
	s_xor_b64 s[30:31], exec, s[28:29]
	s_cbranch_execz .LBB6_5578
; %bb.5565:                             ;   in Loop: Header=BB6_4406 Depth=4
	v_and_b32_e32 v5, 0x7fffffff, v4
	v_mov_b32_e32 v6, v51
	v_cmp_gt_u64_e32 vcc, s[78:79], v[5:6]
	v_and_b32_sdwa v6, v4, s96 dst_sel:DWORD dst_unused:UNUSED_PAD src0_sel:BYTE_3 src1_sel:DWORD
                                        ; implicit-def: $vgpr46
	s_and_saveexec_b64 s[28:29], vcc
	s_xor_b64 s[34:35], exec, s[28:29]
	s_cbranch_execz .LBB6_5575
; %bb.5566:                             ;   in Loop: Header=BB6_4406 Depth=4
	v_mov_b32_e32 v46, 0
	v_cmp_ne_u32_e32 vcc, 0, v4
	s_and_saveexec_b64 s[36:37], vcc
	s_cbranch_execz .LBB6_5574
; %bb.5567:                             ;   in Loop: Header=BB6_4406 Depth=4
	v_bfe_u32 v15, v4, 23, 8
	v_and_b32_e32 v5, 0x7fffff, v4
	v_cmp_gt_u32_e64 s[28:29], s97, v15
	v_sub_u32_e32 v4, 0x79, v15
	v_cmp_eq_u32_e32 vcc, 0, v15
	v_cndmask_b32_e64 v4, 0, v4, s[28:29]
	v_mov_b32_e32 v13, 0x78
	v_or_b32_e32 v12, 0x800000, v5
	v_cndmask_b32_e32 v16, v4, v13, vcc
	v_cndmask_b32_e32 v4, v12, v5, vcc
	v_add_u32_e32 v12, 20, v16
	v_lshlrev_b64 v[12:13], v12, -1
	v_add_u32_e32 v17, 19, v16
	v_lshlrev_b64 v[17:18], v17, 1
	v_mov_b32_e32 v5, v51
	v_bfi_b32 v13, v13, 0, 0
	v_bfi_b32 v12, v12, 0, v4
	v_cmp_eq_u64_e64 s[28:29], v[12:13], v[17:18]
	v_lshrrev_b64 v[12:13], v16, v[4:5]
	v_mov_b32_e32 v4, v12
	v_mov_b32_e32 v5, v13
	s_and_saveexec_b64 s[38:39], s[28:29]
; %bb.5568:                             ;   in Loop: Header=BB6_4406 Depth=4
	v_bfe_u32 v4, v12, 20, 1
	v_add_co_u32_e64 v4, s[28:29], v12, v4
	v_add_co_u32_e64 v4, s[28:29], -1, v4
; %bb.5569:                             ;   in Loop: Header=BB6_4406 Depth=4
	s_or_b64 exec, exec, s[38:39]
	v_add_u32_e32 v5, 0xffffff81, v15
	v_mov_b32_e32 v13, 0xffffff82
	v_cndmask_b32_e32 v5, v5, v13, vcc
	v_lshrrev_b32_e32 v13, 23, v12
	v_add3_u32 v15, v16, v5, v13
	v_add_u32_e32 v5, 6, v15
	v_and_b32_e32 v4, 0xfffff, v4
	v_add_u32_e32 v12, v4, v12
	v_mov_b32_e32 v13, v51
	v_cmp_ne_u32_e32 vcc, 0, v5
                                        ; implicit-def: $vgpr4
	s_and_saveexec_b64 s[28:29], vcc
	s_xor_b64 s[28:29], exec, s[28:29]
; %bb.5570:                             ;   in Loop: Header=BB6_4406 Depth=4
	v_cmp_lt_u64_e32 vcc, s[88:89], v[12:13]
	v_add_u32_e32 v4, 7, v15
	v_cndmask_b32_e32 v4, v5, v4, vcc
	v_cndmask_b32_e64 v5, 0, 1, vcc
	v_lshrrev_b64 v[12:13], v5, v[12:13]
; %bb.5571:                             ;   in Loop: Header=BB6_4406 Depth=4
	s_andn2_saveexec_b64 s[28:29], s[28:29]
; %bb.5572:                             ;   in Loop: Header=BB6_4406 Depth=4
	v_bfe_u32 v4, v12, 23, 1
; %bb.5573:                             ;   in Loop: Header=BB6_4406 Depth=4
	s_or_b64 exec, exec, s[28:29]
	v_lshrrev_b64 v[12:13], 20, v[12:13]
	v_cmp_gt_i32_e32 vcc, 16, v4
	v_cndmask_b32_e32 v13, 0, v13, vcc
	v_cndmask_b32_e32 v12, 7, v12, vcc
	v_cmp_eq_u32_e32 vcc, 0, v4
	v_min_i32_e32 v4, 15, v4
	v_cmp_eq_u64_e64 s[28:29], 0, v[12:13]
	v_lshlrev_b32_e32 v4, 3, v4
	v_and_b32_e32 v4, 0xf8, v4
	v_and_or_b32 v4, v12, 7, v4
	s_and_b64 s[28:29], vcc, s[28:29]
	v_cndmask_b32_e64 v4, v4, 0, s[28:29]
	v_or_b32_e32 v46, v4, v6
.LBB6_5574:                             ;   in Loop: Header=BB6_4406 Depth=4
	s_or_b64 exec, exec, s[36:37]
                                        ; implicit-def: $vgpr6
.LBB6_5575:                             ;   in Loop: Header=BB6_4406 Depth=4
	s_andn2_saveexec_b64 s[28:29], s[34:35]
; %bb.5576:                             ;   in Loop: Header=BB6_4406 Depth=4
	v_or_b32_e32 v46, 0x7e, v6
; %bb.5577:                             ;   in Loop: Header=BB6_4406 Depth=4
	s_or_b64 exec, exec, s[28:29]
                                        ; implicit-def: $vgpr4
.LBB6_5578:                             ;   in Loop: Header=BB6_4406 Depth=4
	s_andn2_saveexec_b64 s[28:29], s[30:31]
; %bb.5579:                             ;   in Loop: Header=BB6_4406 Depth=4
	v_or_b32_sdwa v46, v4, s86 dst_sel:DWORD dst_unused:UNUSED_PAD src0_sel:BYTE_3 src1_sel:DWORD
; %bb.5580:                             ;   in Loop: Header=BB6_4406 Depth=4
	s_or_b64 exec, exec, s[28:29]
	v_lshrrev_b16_e32 v12, 8, v50
	v_cmp_ne_u16_e32 vcc, 0, v12
	v_mov_b32_e32 v4, 0
	s_and_saveexec_b64 s[28:29], vcc
	s_cbranch_execz .LBB6_5586
; %bb.5581:                             ;   in Loop: Header=BB6_4406 Depth=4
	v_cmp_ne_u16_e32 vcc, s96, v12
	v_bfrev_b32_e32 v4, 1
	s_and_saveexec_b64 s[30:31], vcc
	s_cbranch_execz .LBB6_5585
; %bb.5582:                             ;   in Loop: Header=BB6_4406 Depth=4
	v_and_b32_e32 v5, 0x7f, v12
	v_cmp_ne_u32_e32 vcc, s86, v5
	v_mov_b32_e32 v4, 0x7f800001
	s_and_saveexec_b64 s[34:35], vcc
	s_cbranch_execz .LBB6_5584
; %bb.5583:                             ;   in Loop: Header=BB6_4406 Depth=4
	v_and_b32_e32 v6, 7, v12
	v_ffbh_u32_e32 v4, v6
	v_min_u32_e32 v15, 32, v4
	v_lshrrev_b32_e32 v13, 3, v5
	v_subrev_u32_e32 v4, 28, v15
	v_cmp_gt_u32_e32 vcc, 8, v5
	v_lshlrev_b64 v[4:5], v4, v[12:13]
	v_sub_u32_e32 v5, 29, v15
	v_and_b32_e32 v4, 7, v4
	v_cndmask_b32_e32 v5, v13, v5, vcc
	v_cndmask_b32_e32 v4, v6, v4, vcc
	v_lshlrev_b32_e32 v6, 16, v50
	v_bfrev_b32_e32 v12, 60
	v_lshlrev_b32_e32 v4, 20, v4
	v_and_b32_e32 v6, 0x80000000, v6
	v_lshl_add_u32 v5, v5, 23, v12
	v_or3_b32 v4, v6, v5, v4
.LBB6_5584:                             ;   in Loop: Header=BB6_4406 Depth=4
	s_or_b64 exec, exec, s[34:35]
.LBB6_5585:                             ;   in Loop: Header=BB6_4406 Depth=4
	s_or_b64 exec, exec, s[30:31]
.LBB6_5586:                             ;   in Loop: Header=BB6_4406 Depth=4
	s_or_b64 exec, exec, s[28:29]
	v_mul_f32_e32 v4, v14, v4
	v_and_b32_e32 v50, 0x7f800000, v4
	v_cmp_ne_u64_e32 vcc, s[76:77], v[50:51]
                                        ; implicit-def: $vgpr5
                                        ; kill: killed $vgpr5
	s_and_saveexec_b64 s[28:29], vcc
	s_xor_b64 s[30:31], exec, s[28:29]
	s_cbranch_execz .LBB6_5600
; %bb.5587:                             ;   in Loop: Header=BB6_4406 Depth=4
	v_and_b32_e32 v50, 0x7fffffff, v4
	v_cmp_gt_u64_e32 vcc, s[78:79], v[50:51]
	v_and_b32_sdwa v6, v4, s96 dst_sel:DWORD dst_unused:UNUSED_PAD src0_sel:BYTE_3 src1_sel:DWORD
                                        ; implicit-def: $vgpr5
                                        ; kill: killed $vgpr5
	s_and_saveexec_b64 s[28:29], vcc
	s_xor_b64 s[34:35], exec, s[28:29]
	s_cbranch_execz .LBB6_5597
; %bb.5588:                             ;   in Loop: Header=BB6_4406 Depth=4
	v_mov_b32_e32 v5, 0
	v_cmp_ne_u32_e32 vcc, 0, v4
	buffer_store_dword v5, off, s[0:3], s33 offset:120 ; 4-byte Folded Spill
	s_and_saveexec_b64 s[36:37], vcc
	s_cbranch_execz .LBB6_5596
; %bb.5589:                             ;   in Loop: Header=BB6_4406 Depth=4
	v_bfe_u32 v15, v4, 23, 8
	v_and_b32_e32 v5, 0x7fffff, v4
	v_cmp_gt_u32_e64 s[28:29], s97, v15
	v_sub_u32_e32 v4, 0x79, v15
	v_cmp_eq_u32_e32 vcc, 0, v15
	v_cndmask_b32_e64 v4, 0, v4, s[28:29]
	v_mov_b32_e32 v13, 0x78
	v_cndmask_b32_e32 v16, v4, v13, vcc
	v_or_b32_e32 v12, 0x800000, v5
	v_add_u32_e32 v4, 20, v16
	v_cndmask_b32_e32 v50, v12, v5, vcc
	v_lshlrev_b64 v[4:5], v4, -1
	v_add_u32_e32 v12, 19, v16
	v_lshlrev_b64 v[12:13], v12, 1
	v_bfi_b32 v5, v5, 0, 0
	v_bfi_b32 v4, v4, 0, v50
	v_cmp_eq_u64_e64 s[28:29], v[4:5], v[12:13]
	v_lshrrev_b64 v[12:13], v16, v[50:51]
	v_mov_b32_e32 v4, v12
	v_mov_b32_e32 v5, v13
	s_and_saveexec_b64 s[38:39], s[28:29]
; %bb.5590:                             ;   in Loop: Header=BB6_4406 Depth=4
	v_bfe_u32 v4, v12, 20, 1
	v_add_co_u32_e64 v4, s[28:29], v12, v4
	v_add_co_u32_e64 v4, s[28:29], -1, v4
; %bb.5591:                             ;   in Loop: Header=BB6_4406 Depth=4
	s_or_b64 exec, exec, s[38:39]
	v_add_u32_e32 v5, 0xffffff81, v15
	v_mov_b32_e32 v13, 0xffffff82
	v_cndmask_b32_e32 v5, v5, v13, vcc
	v_lshrrev_b32_e32 v13, 23, v12
	v_add3_u32 v15, v16, v5, v13
	v_add_u32_e32 v5, 6, v15
	v_and_b32_e32 v4, 0xfffff, v4
	v_add_u32_e32 v50, v4, v12
	v_cmp_ne_u32_e32 vcc, 0, v5
                                        ; implicit-def: $vgpr12_vgpr13
                                        ; implicit-def: $vgpr4
	s_and_saveexec_b64 s[28:29], vcc
	s_xor_b64 s[28:29], exec, s[28:29]
; %bb.5592:                             ;   in Loop: Header=BB6_4406 Depth=4
	v_cmp_lt_u64_e32 vcc, s[88:89], v[50:51]
	v_add_u32_e32 v4, 7, v15
	v_cndmask_b32_e32 v4, v5, v4, vcc
	v_cndmask_b32_e64 v5, 0, 1, vcc
	v_lshrrev_b64 v[12:13], v5, v[50:51]
; %bb.5593:                             ;   in Loop: Header=BB6_4406 Depth=4
	s_andn2_saveexec_b64 s[28:29], s[28:29]
; %bb.5594:                             ;   in Loop: Header=BB6_4406 Depth=4
	v_mov_b32_e32 v12, v50
	v_bfe_u32 v4, v50, 23, 1
	v_mov_b32_e32 v13, v51
; %bb.5595:                             ;   in Loop: Header=BB6_4406 Depth=4
	s_or_b64 exec, exec, s[28:29]
	v_lshrrev_b64 v[12:13], 20, v[12:13]
	v_cmp_gt_i32_e32 vcc, 16, v4
	v_cndmask_b32_e32 v13, 0, v13, vcc
	v_cndmask_b32_e32 v12, 7, v12, vcc
	v_cmp_eq_u32_e32 vcc, 0, v4
	v_min_i32_e32 v4, 15, v4
	v_cmp_eq_u64_e64 s[28:29], 0, v[12:13]
	v_lshlrev_b32_e32 v4, 3, v4
	v_and_b32_e32 v4, 0xf8, v4
	v_and_or_b32 v4, v12, 7, v4
	s_and_b64 s[28:29], vcc, s[28:29]
	v_cndmask_b32_e64 v4, v4, 0, s[28:29]
	v_or_b32_e32 v4, v4, v6
	buffer_store_dword v4, off, s[0:3], s33 offset:120 ; 4-byte Folded Spill
.LBB6_5596:                             ;   in Loop: Header=BB6_4406 Depth=4
	s_or_b64 exec, exec, s[36:37]
                                        ; implicit-def: $vgpr6
.LBB6_5597:                             ;   in Loop: Header=BB6_4406 Depth=4
	s_andn2_saveexec_b64 s[28:29], s[34:35]
	s_cbranch_execz .LBB6_5599
; %bb.5598:                             ;   in Loop: Header=BB6_4406 Depth=4
	v_or_b32_e32 v4, 0x7e, v6
	buffer_store_dword v4, off, s[0:3], s33 offset:120 ; 4-byte Folded Spill
.LBB6_5599:                             ;   in Loop: Header=BB6_4406 Depth=4
	s_or_b64 exec, exec, s[28:29]
                                        ; implicit-def: $vgpr4
.LBB6_5600:                             ;   in Loop: Header=BB6_4406 Depth=4
	s_andn2_saveexec_b64 s[28:29], s[30:31]
	s_cbranch_execz .LBB6_5602
; %bb.5601:                             ;   in Loop: Header=BB6_4406 Depth=4
	v_or_b32_sdwa v4, v4, s86 dst_sel:DWORD dst_unused:UNUSED_PAD src0_sel:BYTE_3 src1_sel:DWORD
	buffer_store_dword v4, off, s[0:3], s33 offset:120 ; 4-byte Folded Spill
.LBB6_5602:                             ;   in Loop: Header=BB6_4406 Depth=4
	s_or_b64 exec, exec, s[28:29]
	v_lshrrev_b32_e32 v12, 16, v9
	v_cmp_ne_u16_sdwa vcc, v12, v51 src0_sel:BYTE_0 src1_sel:DWORD
	v_mov_b32_e32 v4, 0
	s_and_saveexec_b64 s[28:29], vcc
	s_cbranch_execz .LBB6_5608
; %bb.5603:                             ;   in Loop: Header=BB6_4406 Depth=4
	v_cmp_ne_u16_sdwa vcc, v12, s96 src0_sel:BYTE_0 src1_sel:DWORD
	v_bfrev_b32_e32 v4, 1
	s_and_saveexec_b64 s[30:31], vcc
	s_cbranch_execz .LBB6_5607
; %bb.5604:                             ;   in Loop: Header=BB6_4406 Depth=4
	v_bfe_u32 v5, v9, 16, 7
	v_cmp_ne_u32_e32 vcc, s86, v5
	v_mov_b32_e32 v4, 0x7f800001
	s_and_saveexec_b64 s[34:35], vcc
	s_cbranch_execz .LBB6_5606
; %bb.5605:                             ;   in Loop: Header=BB6_4406 Depth=4
	v_and_b32_e32 v6, 7, v12
	v_ffbh_u32_e32 v4, v6
	v_min_u32_e32 v15, 32, v4
	v_lshrrev_b32_e32 v13, 3, v5
	v_subrev_u32_e32 v4, 28, v15
	v_cmp_gt_u32_e32 vcc, 8, v5
	v_lshlrev_b64 v[4:5], v4, v[12:13]
	v_sub_u32_e32 v5, 29, v15
	v_and_b32_e32 v4, 7, v4
	v_cndmask_b32_e32 v5, v13, v5, vcc
	v_cndmask_b32_e32 v4, v6, v4, vcc
	v_lshlrev_b32_e32 v6, 24, v12
	v_bfrev_b32_e32 v12, 60
	v_lshlrev_b32_e32 v4, 20, v4
	v_and_b32_e32 v6, 0x80000000, v6
	v_lshl_add_u32 v5, v5, 23, v12
	v_or3_b32 v4, v6, v5, v4
.LBB6_5606:                             ;   in Loop: Header=BB6_4406 Depth=4
	s_or_b64 exec, exec, s[34:35]
.LBB6_5607:                             ;   in Loop: Header=BB6_4406 Depth=4
	s_or_b64 exec, exec, s[30:31]
.LBB6_5608:                             ;   in Loop: Header=BB6_4406 Depth=4
	s_or_b64 exec, exec, s[28:29]
	v_mul_f32_e32 v4, v14, v4
	v_and_b32_e32 v50, 0x7f800000, v4
	v_cmp_ne_u64_e32 vcc, s[76:77], v[50:51]
                                        ; implicit-def: $vgpr5
                                        ; kill: killed $vgpr5
	s_and_saveexec_b64 s[28:29], vcc
	s_xor_b64 s[30:31], exec, s[28:29]
	s_cbranch_execz .LBB6_5622
; %bb.5609:                             ;   in Loop: Header=BB6_4406 Depth=4
	v_and_b32_e32 v50, 0x7fffffff, v4
	v_cmp_gt_u64_e32 vcc, s[78:79], v[50:51]
	v_and_b32_sdwa v6, v4, s96 dst_sel:DWORD dst_unused:UNUSED_PAD src0_sel:BYTE_3 src1_sel:DWORD
                                        ; implicit-def: $vgpr5
                                        ; kill: killed $vgpr5
	s_and_saveexec_b64 s[28:29], vcc
	s_xor_b64 s[34:35], exec, s[28:29]
	s_cbranch_execz .LBB6_5619
; %bb.5610:                             ;   in Loop: Header=BB6_4406 Depth=4
	v_mov_b32_e32 v5, 0
	v_cmp_ne_u32_e32 vcc, 0, v4
	buffer_store_dword v5, off, s[0:3], s33 offset:136 ; 4-byte Folded Spill
	s_and_saveexec_b64 s[36:37], vcc
	s_cbranch_execz .LBB6_5618
; %bb.5611:                             ;   in Loop: Header=BB6_4406 Depth=4
	v_bfe_u32 v15, v4, 23, 8
	v_and_b32_e32 v5, 0x7fffff, v4
	v_cmp_gt_u32_e64 s[28:29], s97, v15
	v_sub_u32_e32 v4, 0x79, v15
	v_cmp_eq_u32_e32 vcc, 0, v15
	v_cndmask_b32_e64 v4, 0, v4, s[28:29]
	v_mov_b32_e32 v13, 0x78
	v_cndmask_b32_e32 v16, v4, v13, vcc
	v_or_b32_e32 v12, 0x800000, v5
	v_add_u32_e32 v4, 20, v16
	v_cndmask_b32_e32 v50, v12, v5, vcc
	v_lshlrev_b64 v[4:5], v4, -1
	v_add_u32_e32 v12, 19, v16
	v_lshlrev_b64 v[12:13], v12, 1
	v_bfi_b32 v5, v5, 0, 0
	v_bfi_b32 v4, v4, 0, v50
	v_cmp_eq_u64_e64 s[28:29], v[4:5], v[12:13]
	v_lshrrev_b64 v[12:13], v16, v[50:51]
	v_mov_b32_e32 v4, v12
	v_mov_b32_e32 v5, v13
	s_and_saveexec_b64 s[38:39], s[28:29]
; %bb.5612:                             ;   in Loop: Header=BB6_4406 Depth=4
	v_bfe_u32 v4, v12, 20, 1
	v_add_co_u32_e64 v4, s[28:29], v12, v4
	v_add_co_u32_e64 v4, s[28:29], -1, v4
; %bb.5613:                             ;   in Loop: Header=BB6_4406 Depth=4
	s_or_b64 exec, exec, s[38:39]
	v_add_u32_e32 v5, 0xffffff81, v15
	v_mov_b32_e32 v13, 0xffffff82
	v_cndmask_b32_e32 v5, v5, v13, vcc
	v_lshrrev_b32_e32 v13, 23, v12
	v_add3_u32 v15, v16, v5, v13
	v_add_u32_e32 v5, 6, v15
	v_and_b32_e32 v4, 0xfffff, v4
	v_add_u32_e32 v50, v4, v12
	v_cmp_ne_u32_e32 vcc, 0, v5
                                        ; implicit-def: $vgpr12_vgpr13
                                        ; implicit-def: $vgpr4
	s_and_saveexec_b64 s[28:29], vcc
	s_xor_b64 s[28:29], exec, s[28:29]
; %bb.5614:                             ;   in Loop: Header=BB6_4406 Depth=4
	v_cmp_lt_u64_e32 vcc, s[88:89], v[50:51]
	v_add_u32_e32 v4, 7, v15
	v_cndmask_b32_e32 v4, v5, v4, vcc
	v_cndmask_b32_e64 v5, 0, 1, vcc
	v_lshrrev_b64 v[12:13], v5, v[50:51]
; %bb.5615:                             ;   in Loop: Header=BB6_4406 Depth=4
	s_andn2_saveexec_b64 s[28:29], s[28:29]
; %bb.5616:                             ;   in Loop: Header=BB6_4406 Depth=4
	v_mov_b32_e32 v12, v50
	v_bfe_u32 v4, v50, 23, 1
	v_mov_b32_e32 v13, v51
; %bb.5617:                             ;   in Loop: Header=BB6_4406 Depth=4
	s_or_b64 exec, exec, s[28:29]
	v_lshrrev_b64 v[12:13], 20, v[12:13]
	v_cmp_gt_i32_e32 vcc, 16, v4
	v_cndmask_b32_e32 v13, 0, v13, vcc
	v_cndmask_b32_e32 v12, 7, v12, vcc
	v_cmp_eq_u32_e32 vcc, 0, v4
	v_min_i32_e32 v4, 15, v4
	v_cmp_eq_u64_e64 s[28:29], 0, v[12:13]
	v_lshlrev_b32_e32 v4, 3, v4
	v_and_b32_e32 v4, 0xf8, v4
	v_and_or_b32 v4, v12, 7, v4
	s_and_b64 s[28:29], vcc, s[28:29]
	v_cndmask_b32_e64 v4, v4, 0, s[28:29]
	v_or_b32_e32 v4, v4, v6
	buffer_store_dword v4, off, s[0:3], s33 offset:136 ; 4-byte Folded Spill
.LBB6_5618:                             ;   in Loop: Header=BB6_4406 Depth=4
	s_or_b64 exec, exec, s[36:37]
                                        ; implicit-def: $vgpr6
.LBB6_5619:                             ;   in Loop: Header=BB6_4406 Depth=4
	s_andn2_saveexec_b64 s[28:29], s[34:35]
	s_cbranch_execz .LBB6_5621
; %bb.5620:                             ;   in Loop: Header=BB6_4406 Depth=4
	v_or_b32_e32 v4, 0x7e, v6
	buffer_store_dword v4, off, s[0:3], s33 offset:136 ; 4-byte Folded Spill
.LBB6_5621:                             ;   in Loop: Header=BB6_4406 Depth=4
	s_or_b64 exec, exec, s[28:29]
                                        ; implicit-def: $vgpr4
.LBB6_5622:                             ;   in Loop: Header=BB6_4406 Depth=4
	s_andn2_saveexec_b64 s[28:29], s[30:31]
	s_cbranch_execz .LBB6_5624
; %bb.5623:                             ;   in Loop: Header=BB6_4406 Depth=4
	v_or_b32_sdwa v4, v4, s86 dst_sel:DWORD dst_unused:UNUSED_PAD src0_sel:BYTE_3 src1_sel:DWORD
	buffer_store_dword v4, off, s[0:3], s33 offset:136 ; 4-byte Folded Spill
.LBB6_5624:                             ;   in Loop: Header=BB6_4406 Depth=4
	s_or_b64 exec, exec, s[28:29]
	v_cmp_lt_u64_e32 vcc, s[56:57], v[8:9]
	v_mov_b32_e32 v4, 0
	s_and_saveexec_b64 s[28:29], vcc
	s_cbranch_execz .LBB6_5630
; %bb.5625:                             ;   in Loop: Header=BB6_4406 Depth=4
	v_lshrrev_b32_e32 v8, 24, v9
	v_cmp_ne_u32_e32 vcc, s96, v8
	v_bfrev_b32_e32 v4, 1
	s_and_saveexec_b64 s[30:31], vcc
	s_cbranch_execz .LBB6_5629
; %bb.5626:                             ;   in Loop: Header=BB6_4406 Depth=4
	v_bfe_u32 v5, v9, 24, 7
	v_cmp_ne_u32_e32 vcc, s86, v5
	v_mov_b32_e32 v4, 0x7f800001
	s_and_saveexec_b64 s[34:35], vcc
	s_cbranch_execz .LBB6_5628
; %bb.5627:                             ;   in Loop: Header=BB6_4406 Depth=4
	v_and_b32_e32 v6, 7, v8
	v_ffbh_u32_e32 v4, v6
	v_min_u32_e32 v12, 32, v4
	v_lshrrev_b32_e32 v9, 3, v5
	v_subrev_u32_e32 v4, 28, v12
	v_cmp_gt_u32_e32 vcc, 8, v5
	v_lshlrev_b64 v[4:5], v4, v[8:9]
	v_sub_u32_e32 v5, 29, v12
	v_and_b32_e32 v4, 7, v4
	v_cndmask_b32_e32 v5, v9, v5, vcc
	v_cndmask_b32_e32 v4, v6, v4, vcc
	v_lshlrev_b32_e32 v6, 24, v8
	v_bfrev_b32_e32 v8, 60
	v_lshlrev_b32_e32 v4, 20, v4
	v_and_b32_e32 v6, 0x80000000, v6
	v_lshl_add_u32 v5, v5, 23, v8
	v_or3_b32 v4, v6, v5, v4
.LBB6_5628:                             ;   in Loop: Header=BB6_4406 Depth=4
	s_or_b64 exec, exec, s[34:35]
.LBB6_5629:                             ;   in Loop: Header=BB6_4406 Depth=4
	s_or_b64 exec, exec, s[30:31]
.LBB6_5630:                             ;   in Loop: Header=BB6_4406 Depth=4
	s_or_b64 exec, exec, s[28:29]
	v_mul_f32_e32 v4, v14, v4
	v_and_b32_e32 v50, 0x7f800000, v4
	v_cmp_ne_u64_e32 vcc, s[76:77], v[50:51]
                                        ; implicit-def: $vgpr5
                                        ; kill: killed $vgpr5
	s_and_saveexec_b64 s[28:29], vcc
	s_xor_b64 s[30:31], exec, s[28:29]
	s_cbranch_execz .LBB6_5644
; %bb.5631:                             ;   in Loop: Header=BB6_4406 Depth=4
	v_and_b32_e32 v50, 0x7fffffff, v4
	v_cmp_gt_u64_e32 vcc, s[78:79], v[50:51]
	v_and_b32_sdwa v6, v4, s96 dst_sel:DWORD dst_unused:UNUSED_PAD src0_sel:BYTE_3 src1_sel:DWORD
                                        ; implicit-def: $vgpr5
                                        ; kill: killed $vgpr5
	s_and_saveexec_b64 s[28:29], vcc
	s_xor_b64 s[34:35], exec, s[28:29]
	s_cbranch_execz .LBB6_5641
; %bb.5632:                             ;   in Loop: Header=BB6_4406 Depth=4
	v_mov_b32_e32 v5, 0
	v_cmp_ne_u32_e32 vcc, 0, v4
	buffer_store_dword v5, off, s[0:3], s33 offset:156 ; 4-byte Folded Spill
	s_and_saveexec_b64 s[36:37], vcc
	s_cbranch_execz .LBB6_5640
; %bb.5633:                             ;   in Loop: Header=BB6_4406 Depth=4
	v_bfe_u32 v12, v4, 23, 8
	v_and_b32_e32 v5, 0x7fffff, v4
	v_cmp_gt_u32_e64 s[28:29], s97, v12
	v_sub_u32_e32 v4, 0x79, v12
	v_cmp_eq_u32_e32 vcc, 0, v12
	v_cndmask_b32_e64 v4, 0, v4, s[28:29]
	v_mov_b32_e32 v9, 0x78
	v_cndmask_b32_e32 v13, v4, v9, vcc
	v_or_b32_e32 v8, 0x800000, v5
	v_add_u32_e32 v4, 20, v13
	v_cndmask_b32_e32 v50, v8, v5, vcc
	v_lshlrev_b64 v[4:5], v4, -1
	v_add_u32_e32 v8, 19, v13
	v_lshlrev_b64 v[8:9], v8, 1
	v_bfi_b32 v5, v5, 0, 0
	v_bfi_b32 v4, v4, 0, v50
	v_cmp_eq_u64_e64 s[28:29], v[4:5], v[8:9]
	v_lshrrev_b64 v[8:9], v13, v[50:51]
	v_mov_b32_e32 v4, v8
	v_mov_b32_e32 v5, v9
	s_and_saveexec_b64 s[38:39], s[28:29]
; %bb.5634:                             ;   in Loop: Header=BB6_4406 Depth=4
	v_bfe_u32 v4, v8, 20, 1
	v_add_co_u32_e64 v4, s[28:29], v8, v4
	v_add_co_u32_e64 v4, s[28:29], -1, v4
; %bb.5635:                             ;   in Loop: Header=BB6_4406 Depth=4
	s_or_b64 exec, exec, s[38:39]
	v_add_u32_e32 v5, 0xffffff81, v12
	v_mov_b32_e32 v9, 0xffffff82
	v_cndmask_b32_e32 v5, v5, v9, vcc
	v_lshrrev_b32_e32 v9, 23, v8
	v_add3_u32 v12, v13, v5, v9
	v_add_u32_e32 v5, 6, v12
	v_and_b32_e32 v4, 0xfffff, v4
	v_add_u32_e32 v50, v4, v8
	v_cmp_ne_u32_e32 vcc, 0, v5
                                        ; implicit-def: $vgpr8_vgpr9
                                        ; implicit-def: $vgpr4
	s_and_saveexec_b64 s[28:29], vcc
	s_xor_b64 s[28:29], exec, s[28:29]
; %bb.5636:                             ;   in Loop: Header=BB6_4406 Depth=4
	v_cmp_lt_u64_e32 vcc, s[88:89], v[50:51]
	v_add_u32_e32 v4, 7, v12
	v_cndmask_b32_e32 v4, v5, v4, vcc
	v_cndmask_b32_e64 v5, 0, 1, vcc
	v_lshrrev_b64 v[8:9], v5, v[50:51]
; %bb.5637:                             ;   in Loop: Header=BB6_4406 Depth=4
	s_andn2_saveexec_b64 s[28:29], s[28:29]
; %bb.5638:                             ;   in Loop: Header=BB6_4406 Depth=4
	v_mov_b32_e32 v8, v50
	v_bfe_u32 v4, v50, 23, 1
	v_mov_b32_e32 v9, v51
; %bb.5639:                             ;   in Loop: Header=BB6_4406 Depth=4
	s_or_b64 exec, exec, s[28:29]
	v_lshrrev_b64 v[8:9], 20, v[8:9]
	v_cmp_gt_i32_e32 vcc, 16, v4
	v_cndmask_b32_e32 v9, 0, v9, vcc
	v_cndmask_b32_e32 v8, 7, v8, vcc
	v_cmp_eq_u32_e32 vcc, 0, v4
	v_min_i32_e32 v4, 15, v4
	v_cmp_eq_u64_e64 s[28:29], 0, v[8:9]
	v_lshlrev_b32_e32 v4, 3, v4
	v_and_b32_e32 v4, 0xf8, v4
	v_and_or_b32 v4, v8, 7, v4
	s_and_b64 s[28:29], vcc, s[28:29]
	v_cndmask_b32_e64 v4, v4, 0, s[28:29]
	v_or_b32_e32 v4, v4, v6
	buffer_store_dword v4, off, s[0:3], s33 offset:156 ; 4-byte Folded Spill
.LBB6_5640:                             ;   in Loop: Header=BB6_4406 Depth=4
	s_or_b64 exec, exec, s[36:37]
                                        ; implicit-def: $vgpr6
.LBB6_5641:                             ;   in Loop: Header=BB6_4406 Depth=4
	s_andn2_saveexec_b64 s[28:29], s[34:35]
	s_cbranch_execz .LBB6_5643
; %bb.5642:                             ;   in Loop: Header=BB6_4406 Depth=4
	v_or_b32_e32 v4, 0x7e, v6
	buffer_store_dword v4, off, s[0:3], s33 offset:156 ; 4-byte Folded Spill
.LBB6_5643:                             ;   in Loop: Header=BB6_4406 Depth=4
	s_or_b64 exec, exec, s[28:29]
                                        ; implicit-def: $vgpr4
.LBB6_5644:                             ;   in Loop: Header=BB6_4406 Depth=4
	s_andn2_saveexec_b64 s[28:29], s[30:31]
	s_cbranch_execz .LBB6_5646
; %bb.5645:                             ;   in Loop: Header=BB6_4406 Depth=4
	v_or_b32_sdwa v4, v4, s86 dst_sel:DWORD dst_unused:UNUSED_PAD src0_sel:BYTE_3 src1_sel:DWORD
	buffer_store_dword v4, off, s[0:3], s33 offset:156 ; 4-byte Folded Spill
.LBB6_5646:                             ;   in Loop: Header=BB6_4406 Depth=4
	s_or_b64 exec, exec, s[28:29]
	v_cmp_ne_u16_sdwa vcc, v10, v51 src0_sel:BYTE_0 src1_sel:DWORD
	v_mov_b32_e32 v4, 0
	s_and_saveexec_b64 s[28:29], vcc
	s_cbranch_execz .LBB6_5652
; %bb.5647:                             ;   in Loop: Header=BB6_4406 Depth=4
	v_cmp_ne_u16_sdwa vcc, v10, s96 src0_sel:BYTE_0 src1_sel:DWORD
	v_bfrev_b32_e32 v4, 1
	s_and_saveexec_b64 s[30:31], vcc
	s_cbranch_execz .LBB6_5651
; %bb.5648:                             ;   in Loop: Header=BB6_4406 Depth=4
	v_and_b32_e32 v5, 0x7f, v10
	v_cmp_ne_u32_e32 vcc, s86, v5
	v_mov_b32_e32 v4, 0x7f800001
	s_and_saveexec_b64 s[34:35], vcc
	s_cbranch_execz .LBB6_5650
; %bb.5649:                             ;   in Loop: Header=BB6_4406 Depth=4
	v_and_b32_e32 v4, 7, v10
	v_ffbh_u32_e32 v4, v4
	v_min_u32_e32 v4, 32, v4
	v_lshrrev_b32_e32 v6, 3, v5
	v_cmp_gt_u32_e32 vcc, 8, v5
	v_subrev_u32_e32 v5, 28, v4
	v_sub_u32_e32 v4, 29, v4
	v_cndmask_b32_e32 v6, v6, v4, vcc
	v_cndmask_b32_e32 v4, 0, v5, vcc
	v_lshlrev_b64 v[4:5], v4, v[10:11]
	v_lshlrev_b32_e32 v5, 24, v10
	v_lshlrev_b32_e32 v4, 20, v4
	v_bfrev_b32_e32 v8, 60
	v_and_b32_e32 v4, 0x700000, v4
	v_and_b32_e32 v5, 0x80000000, v5
	v_lshl_add_u32 v6, v6, 23, v8
	v_or3_b32 v4, v5, v6, v4
.LBB6_5650:                             ;   in Loop: Header=BB6_4406 Depth=4
	s_or_b64 exec, exec, s[34:35]
.LBB6_5651:                             ;   in Loop: Header=BB6_4406 Depth=4
	s_or_b64 exec, exec, s[30:31]
.LBB6_5652:                             ;   in Loop: Header=BB6_4406 Depth=4
	s_or_b64 exec, exec, s[28:29]
	v_mul_f32_e32 v4, v14, v4
	v_and_b32_e32 v50, 0x7f800000, v4
	v_cmp_ne_u64_e32 vcc, s[76:77], v[50:51]
                                        ; implicit-def: $vgpr34
	s_and_saveexec_b64 s[28:29], vcc
	s_xor_b64 s[30:31], exec, s[28:29]
	s_cbranch_execz .LBB6_5666
; %bb.5653:                             ;   in Loop: Header=BB6_4406 Depth=4
	v_and_b32_e32 v50, 0x7fffffff, v4
	v_cmp_gt_u64_e32 vcc, s[78:79], v[50:51]
	v_and_b32_sdwa v6, v4, s96 dst_sel:DWORD dst_unused:UNUSED_PAD src0_sel:BYTE_3 src1_sel:DWORD
                                        ; implicit-def: $vgpr34
	s_and_saveexec_b64 s[28:29], vcc
	s_xor_b64 s[34:35], exec, s[28:29]
	s_cbranch_execz .LBB6_5663
; %bb.5654:                             ;   in Loop: Header=BB6_4406 Depth=4
	v_mov_b32_e32 v34, 0
	v_cmp_ne_u32_e32 vcc, 0, v4
	s_and_saveexec_b64 s[36:37], vcc
	s_cbranch_execz .LBB6_5662
; %bb.5655:                             ;   in Loop: Header=BB6_4406 Depth=4
	v_bfe_u32 v12, v4, 23, 8
	v_and_b32_e32 v5, 0x7fffff, v4
	v_cmp_gt_u32_e64 s[28:29], s97, v12
	v_sub_u32_e32 v4, 0x79, v12
	v_cmp_eq_u32_e32 vcc, 0, v12
	v_cndmask_b32_e64 v4, 0, v4, s[28:29]
	v_mov_b32_e32 v9, 0x78
	v_cndmask_b32_e32 v13, v4, v9, vcc
	v_or_b32_e32 v8, 0x800000, v5
	v_add_u32_e32 v4, 20, v13
	v_cndmask_b32_e32 v50, v8, v5, vcc
	v_lshlrev_b64 v[4:5], v4, -1
	v_add_u32_e32 v8, 19, v13
	v_lshlrev_b64 v[8:9], v8, 1
	v_bfi_b32 v5, v5, 0, 0
	v_bfi_b32 v4, v4, 0, v50
	v_cmp_eq_u64_e64 s[28:29], v[4:5], v[8:9]
	v_lshrrev_b64 v[8:9], v13, v[50:51]
	v_mov_b32_e32 v4, v8
	v_mov_b32_e32 v5, v9
	s_and_saveexec_b64 s[38:39], s[28:29]
; %bb.5656:                             ;   in Loop: Header=BB6_4406 Depth=4
	v_bfe_u32 v4, v8, 20, 1
	v_add_co_u32_e64 v4, s[28:29], v8, v4
	v_add_co_u32_e64 v4, s[28:29], -1, v4
; %bb.5657:                             ;   in Loop: Header=BB6_4406 Depth=4
	s_or_b64 exec, exec, s[38:39]
	v_add_u32_e32 v5, 0xffffff81, v12
	v_mov_b32_e32 v9, 0xffffff82
	v_cndmask_b32_e32 v5, v5, v9, vcc
	v_lshrrev_b32_e32 v9, 23, v8
	v_add3_u32 v12, v13, v5, v9
	v_add_u32_e32 v5, 6, v12
	v_and_b32_e32 v4, 0xfffff, v4
	v_add_u32_e32 v50, v4, v8
	v_cmp_ne_u32_e32 vcc, 0, v5
                                        ; implicit-def: $vgpr8_vgpr9
                                        ; implicit-def: $vgpr4
	s_and_saveexec_b64 s[28:29], vcc
	s_xor_b64 s[28:29], exec, s[28:29]
; %bb.5658:                             ;   in Loop: Header=BB6_4406 Depth=4
	v_cmp_lt_u64_e32 vcc, s[88:89], v[50:51]
	v_add_u32_e32 v4, 7, v12
	v_cndmask_b32_e32 v4, v5, v4, vcc
	v_cndmask_b32_e64 v5, 0, 1, vcc
	v_lshrrev_b64 v[8:9], v5, v[50:51]
; %bb.5659:                             ;   in Loop: Header=BB6_4406 Depth=4
	s_andn2_saveexec_b64 s[28:29], s[28:29]
; %bb.5660:                             ;   in Loop: Header=BB6_4406 Depth=4
	v_mov_b32_e32 v8, v50
	v_bfe_u32 v4, v50, 23, 1
	v_mov_b32_e32 v9, v51
; %bb.5661:                             ;   in Loop: Header=BB6_4406 Depth=4
	s_or_b64 exec, exec, s[28:29]
	v_lshrrev_b64 v[8:9], 20, v[8:9]
	v_cmp_gt_i32_e32 vcc, 16, v4
	v_cndmask_b32_e32 v9, 0, v9, vcc
	v_cndmask_b32_e32 v8, 7, v8, vcc
	v_cmp_eq_u32_e32 vcc, 0, v4
	v_min_i32_e32 v4, 15, v4
	v_cmp_eq_u64_e64 s[28:29], 0, v[8:9]
	v_lshlrev_b32_e32 v4, 3, v4
	v_and_b32_e32 v4, 0xf8, v4
	v_and_or_b32 v4, v8, 7, v4
	s_and_b64 s[28:29], vcc, s[28:29]
	v_cndmask_b32_e64 v4, v4, 0, s[28:29]
	v_or_b32_e32 v34, v4, v6
.LBB6_5662:                             ;   in Loop: Header=BB6_4406 Depth=4
	s_or_b64 exec, exec, s[36:37]
                                        ; implicit-def: $vgpr6
.LBB6_5663:                             ;   in Loop: Header=BB6_4406 Depth=4
	s_andn2_saveexec_b64 s[28:29], s[34:35]
; %bb.5664:                             ;   in Loop: Header=BB6_4406 Depth=4
	v_or_b32_e32 v34, 0x7e, v6
; %bb.5665:                             ;   in Loop: Header=BB6_4406 Depth=4
	s_or_b64 exec, exec, s[28:29]
                                        ; implicit-def: $vgpr4
.LBB6_5666:                             ;   in Loop: Header=BB6_4406 Depth=4
	s_andn2_saveexec_b64 s[28:29], s[30:31]
; %bb.5667:                             ;   in Loop: Header=BB6_4406 Depth=4
	v_or_b32_sdwa v34, v4, s86 dst_sel:DWORD dst_unused:UNUSED_PAD src0_sel:BYTE_3 src1_sel:DWORD
; %bb.5668:                             ;   in Loop: Header=BB6_4406 Depth=4
	s_or_b64 exec, exec, s[28:29]
	v_lshrrev_b16_e32 v8, 8, v10
	v_cmp_ne_u16_e32 vcc, 0, v8
	v_mov_b32_e32 v4, 0
	s_and_saveexec_b64 s[28:29], vcc
	s_cbranch_execz .LBB6_5674
; %bb.5669:                             ;   in Loop: Header=BB6_4406 Depth=4
	v_cmp_ne_u16_e32 vcc, s96, v8
	v_bfrev_b32_e32 v4, 1
	s_and_saveexec_b64 s[30:31], vcc
	s_cbranch_execz .LBB6_5673
; %bb.5670:                             ;   in Loop: Header=BB6_4406 Depth=4
	v_and_b32_e32 v5, 0x7f, v8
	v_cmp_ne_u32_e32 vcc, s86, v5
	v_mov_b32_e32 v4, 0x7f800001
	s_and_saveexec_b64 s[34:35], vcc
	s_cbranch_execz .LBB6_5672
; %bb.5671:                             ;   in Loop: Header=BB6_4406 Depth=4
	v_and_b32_e32 v6, 7, v8
	v_ffbh_u32_e32 v4, v6
	v_min_u32_e32 v12, 32, v4
	v_lshrrev_b32_e32 v9, 3, v5
	v_subrev_u32_e32 v4, 28, v12
	v_cmp_gt_u32_e32 vcc, 8, v5
	v_lshlrev_b64 v[4:5], v4, v[8:9]
	v_sub_u32_e32 v5, 29, v12
	v_and_b32_e32 v4, 7, v4
	v_cndmask_b32_e32 v5, v9, v5, vcc
	v_cndmask_b32_e32 v4, v6, v4, vcc
	v_lshlrev_b32_e32 v6, 16, v10
	v_bfrev_b32_e32 v8, 60
	v_lshlrev_b32_e32 v4, 20, v4
	v_and_b32_e32 v6, 0x80000000, v6
	v_lshl_add_u32 v5, v5, 23, v8
	v_or3_b32 v4, v6, v5, v4
.LBB6_5672:                             ;   in Loop: Header=BB6_4406 Depth=4
	s_or_b64 exec, exec, s[34:35]
.LBB6_5673:                             ;   in Loop: Header=BB6_4406 Depth=4
	s_or_b64 exec, exec, s[30:31]
.LBB6_5674:                             ;   in Loop: Header=BB6_4406 Depth=4
	s_or_b64 exec, exec, s[28:29]
	v_mul_f32_e32 v4, v14, v4
	v_and_b32_e32 v50, 0x7f800000, v4
	v_cmp_ne_u64_e32 vcc, s[76:77], v[50:51]
                                        ; implicit-def: $vgpr5
                                        ; kill: killed $vgpr5
	s_and_saveexec_b64 s[28:29], vcc
	s_xor_b64 s[30:31], exec, s[28:29]
	s_cbranch_execz .LBB6_5688
; %bb.5675:                             ;   in Loop: Header=BB6_4406 Depth=4
	v_and_b32_e32 v50, 0x7fffffff, v4
	v_cmp_gt_u64_e32 vcc, s[78:79], v[50:51]
	v_and_b32_sdwa v6, v4, s96 dst_sel:DWORD dst_unused:UNUSED_PAD src0_sel:BYTE_3 src1_sel:DWORD
                                        ; implicit-def: $vgpr5
                                        ; kill: killed $vgpr5
	s_and_saveexec_b64 s[28:29], vcc
	s_xor_b64 s[34:35], exec, s[28:29]
	s_cbranch_execz .LBB6_5685
; %bb.5676:                             ;   in Loop: Header=BB6_4406 Depth=4
	v_mov_b32_e32 v5, 0
	v_cmp_ne_u32_e32 vcc, 0, v4
	buffer_store_dword v5, off, s[0:3], s33 offset:112 ; 4-byte Folded Spill
	s_and_saveexec_b64 s[36:37], vcc
	s_cbranch_execz .LBB6_5684
; %bb.5677:                             ;   in Loop: Header=BB6_4406 Depth=4
	v_bfe_u32 v12, v4, 23, 8
	v_and_b32_e32 v5, 0x7fffff, v4
	v_cmp_gt_u32_e64 s[28:29], s97, v12
	v_sub_u32_e32 v4, 0x79, v12
	v_cmp_eq_u32_e32 vcc, 0, v12
	v_cndmask_b32_e64 v4, 0, v4, s[28:29]
	v_mov_b32_e32 v9, 0x78
	v_cndmask_b32_e32 v13, v4, v9, vcc
	v_or_b32_e32 v8, 0x800000, v5
	v_add_u32_e32 v4, 20, v13
	v_cndmask_b32_e32 v50, v8, v5, vcc
	v_lshlrev_b64 v[4:5], v4, -1
	v_add_u32_e32 v8, 19, v13
	v_lshlrev_b64 v[8:9], v8, 1
	v_bfi_b32 v5, v5, 0, 0
	v_bfi_b32 v4, v4, 0, v50
	v_cmp_eq_u64_e64 s[28:29], v[4:5], v[8:9]
	v_lshrrev_b64 v[8:9], v13, v[50:51]
	v_mov_b32_e32 v4, v8
	v_mov_b32_e32 v5, v9
	s_and_saveexec_b64 s[38:39], s[28:29]
; %bb.5678:                             ;   in Loop: Header=BB6_4406 Depth=4
	v_bfe_u32 v4, v8, 20, 1
	v_add_co_u32_e64 v4, s[28:29], v8, v4
	v_add_co_u32_e64 v4, s[28:29], -1, v4
; %bb.5679:                             ;   in Loop: Header=BB6_4406 Depth=4
	s_or_b64 exec, exec, s[38:39]
	v_add_u32_e32 v5, 0xffffff81, v12
	v_mov_b32_e32 v9, 0xffffff82
	v_cndmask_b32_e32 v5, v5, v9, vcc
	v_lshrrev_b32_e32 v9, 23, v8
	v_add3_u32 v12, v13, v5, v9
	v_add_u32_e32 v5, 6, v12
	v_and_b32_e32 v4, 0xfffff, v4
	v_add_u32_e32 v50, v4, v8
	v_cmp_ne_u32_e32 vcc, 0, v5
                                        ; implicit-def: $vgpr8_vgpr9
                                        ; implicit-def: $vgpr4
	s_and_saveexec_b64 s[28:29], vcc
	s_xor_b64 s[28:29], exec, s[28:29]
; %bb.5680:                             ;   in Loop: Header=BB6_4406 Depth=4
	v_cmp_lt_u64_e32 vcc, s[88:89], v[50:51]
	v_add_u32_e32 v4, 7, v12
	v_cndmask_b32_e32 v4, v5, v4, vcc
	v_cndmask_b32_e64 v5, 0, 1, vcc
	v_lshrrev_b64 v[8:9], v5, v[50:51]
; %bb.5681:                             ;   in Loop: Header=BB6_4406 Depth=4
	s_andn2_saveexec_b64 s[28:29], s[28:29]
; %bb.5682:                             ;   in Loop: Header=BB6_4406 Depth=4
	v_mov_b32_e32 v8, v50
	v_bfe_u32 v4, v50, 23, 1
	v_mov_b32_e32 v9, v51
; %bb.5683:                             ;   in Loop: Header=BB6_4406 Depth=4
	s_or_b64 exec, exec, s[28:29]
	v_lshrrev_b64 v[8:9], 20, v[8:9]
	v_cmp_gt_i32_e32 vcc, 16, v4
	v_cndmask_b32_e32 v9, 0, v9, vcc
	v_cndmask_b32_e32 v8, 7, v8, vcc
	v_cmp_eq_u32_e32 vcc, 0, v4
	v_min_i32_e32 v4, 15, v4
	v_cmp_eq_u64_e64 s[28:29], 0, v[8:9]
	v_lshlrev_b32_e32 v4, 3, v4
	v_and_b32_e32 v4, 0xf8, v4
	v_and_or_b32 v4, v8, 7, v4
	s_and_b64 s[28:29], vcc, s[28:29]
	v_cndmask_b32_e64 v4, v4, 0, s[28:29]
	v_or_b32_e32 v4, v4, v6
	buffer_store_dword v4, off, s[0:3], s33 offset:112 ; 4-byte Folded Spill
.LBB6_5684:                             ;   in Loop: Header=BB6_4406 Depth=4
	s_or_b64 exec, exec, s[36:37]
                                        ; implicit-def: $vgpr6
.LBB6_5685:                             ;   in Loop: Header=BB6_4406 Depth=4
	s_andn2_saveexec_b64 s[28:29], s[34:35]
	s_cbranch_execz .LBB6_5687
; %bb.5686:                             ;   in Loop: Header=BB6_4406 Depth=4
	v_or_b32_e32 v4, 0x7e, v6
	buffer_store_dword v4, off, s[0:3], s33 offset:112 ; 4-byte Folded Spill
.LBB6_5687:                             ;   in Loop: Header=BB6_4406 Depth=4
	s_or_b64 exec, exec, s[28:29]
                                        ; implicit-def: $vgpr4
.LBB6_5688:                             ;   in Loop: Header=BB6_4406 Depth=4
	s_andn2_saveexec_b64 s[28:29], s[30:31]
	s_cbranch_execz .LBB6_5690
; %bb.5689:                             ;   in Loop: Header=BB6_4406 Depth=4
	v_or_b32_sdwa v4, v4, s86 dst_sel:DWORD dst_unused:UNUSED_PAD src0_sel:BYTE_3 src1_sel:DWORD
	buffer_store_dword v4, off, s[0:3], s33 offset:112 ; 4-byte Folded Spill
.LBB6_5690:                             ;   in Loop: Header=BB6_4406 Depth=4
	s_or_b64 exec, exec, s[28:29]
	v_lshrrev_b32_e32 v8, 16, v10
	v_cmp_ne_u16_sdwa vcc, v8, v51 src0_sel:BYTE_0 src1_sel:DWORD
	v_mov_b32_e32 v4, 0
	s_and_saveexec_b64 s[28:29], vcc
	s_cbranch_execz .LBB6_5696
; %bb.5691:                             ;   in Loop: Header=BB6_4406 Depth=4
	v_cmp_ne_u16_sdwa vcc, v8, s96 src0_sel:BYTE_0 src1_sel:DWORD
	v_bfrev_b32_e32 v4, 1
	s_and_saveexec_b64 s[30:31], vcc
	s_cbranch_execz .LBB6_5695
; %bb.5692:                             ;   in Loop: Header=BB6_4406 Depth=4
	v_bfe_u32 v5, v10, 16, 7
	v_cmp_ne_u32_e32 vcc, s86, v5
	v_mov_b32_e32 v4, 0x7f800001
	s_and_saveexec_b64 s[34:35], vcc
	s_cbranch_execz .LBB6_5694
; %bb.5693:                             ;   in Loop: Header=BB6_4406 Depth=4
	v_and_b32_e32 v6, 7, v8
	v_ffbh_u32_e32 v4, v6
	v_min_u32_e32 v12, 32, v4
	v_lshrrev_b32_e32 v9, 3, v5
	v_subrev_u32_e32 v4, 28, v12
	v_cmp_gt_u32_e32 vcc, 8, v5
	v_lshlrev_b64 v[4:5], v4, v[8:9]
	v_sub_u32_e32 v5, 29, v12
	v_and_b32_e32 v4, 7, v4
	v_cndmask_b32_e32 v5, v9, v5, vcc
	v_cndmask_b32_e32 v4, v6, v4, vcc
	v_lshlrev_b32_e32 v6, 24, v8
	v_bfrev_b32_e32 v8, 60
	v_lshlrev_b32_e32 v4, 20, v4
	v_and_b32_e32 v6, 0x80000000, v6
	v_lshl_add_u32 v5, v5, 23, v8
	v_or3_b32 v4, v6, v5, v4
.LBB6_5694:                             ;   in Loop: Header=BB6_4406 Depth=4
	s_or_b64 exec, exec, s[34:35]
.LBB6_5695:                             ;   in Loop: Header=BB6_4406 Depth=4
	s_or_b64 exec, exec, s[30:31]
.LBB6_5696:                             ;   in Loop: Header=BB6_4406 Depth=4
	s_or_b64 exec, exec, s[28:29]
	v_mul_f32_e32 v4, v14, v4
	v_and_b32_e32 v50, 0x7f800000, v4
	v_cmp_ne_u64_e32 vcc, s[76:77], v[50:51]
                                        ; implicit-def: $vgpr5
                                        ; kill: killed $vgpr5
	s_and_saveexec_b64 s[28:29], vcc
	s_xor_b64 s[30:31], exec, s[28:29]
	s_cbranch_execz .LBB6_5710
; %bb.5697:                             ;   in Loop: Header=BB6_4406 Depth=4
	v_and_b32_e32 v50, 0x7fffffff, v4
	v_cmp_gt_u64_e32 vcc, s[78:79], v[50:51]
	v_and_b32_sdwa v6, v4, s96 dst_sel:DWORD dst_unused:UNUSED_PAD src0_sel:BYTE_3 src1_sel:DWORD
                                        ; implicit-def: $vgpr5
                                        ; kill: killed $vgpr5
	s_and_saveexec_b64 s[28:29], vcc
	s_xor_b64 s[34:35], exec, s[28:29]
	s_cbranch_execz .LBB6_5707
; %bb.5698:                             ;   in Loop: Header=BB6_4406 Depth=4
	v_mov_b32_e32 v5, 0
	v_cmp_ne_u32_e32 vcc, 0, v4
	buffer_store_dword v5, off, s[0:3], s33 offset:128 ; 4-byte Folded Spill
	s_and_saveexec_b64 s[36:37], vcc
	s_cbranch_execz .LBB6_5706
; %bb.5699:                             ;   in Loop: Header=BB6_4406 Depth=4
	v_bfe_u32 v12, v4, 23, 8
	v_and_b32_e32 v5, 0x7fffff, v4
	v_cmp_gt_u32_e64 s[28:29], s97, v12
	v_sub_u32_e32 v4, 0x79, v12
	v_cmp_eq_u32_e32 vcc, 0, v12
	v_cndmask_b32_e64 v4, 0, v4, s[28:29]
	v_mov_b32_e32 v9, 0x78
	v_cndmask_b32_e32 v13, v4, v9, vcc
	v_or_b32_e32 v8, 0x800000, v5
	v_add_u32_e32 v4, 20, v13
	v_cndmask_b32_e32 v50, v8, v5, vcc
	v_lshlrev_b64 v[4:5], v4, -1
	v_add_u32_e32 v8, 19, v13
	v_lshlrev_b64 v[8:9], v8, 1
	v_bfi_b32 v5, v5, 0, 0
	v_bfi_b32 v4, v4, 0, v50
	v_cmp_eq_u64_e64 s[28:29], v[4:5], v[8:9]
	v_lshrrev_b64 v[8:9], v13, v[50:51]
	v_mov_b32_e32 v4, v8
	v_mov_b32_e32 v5, v9
	s_and_saveexec_b64 s[38:39], s[28:29]
; %bb.5700:                             ;   in Loop: Header=BB6_4406 Depth=4
	v_bfe_u32 v4, v8, 20, 1
	v_add_co_u32_e64 v4, s[28:29], v8, v4
	v_add_co_u32_e64 v4, s[28:29], -1, v4
; %bb.5701:                             ;   in Loop: Header=BB6_4406 Depth=4
	s_or_b64 exec, exec, s[38:39]
	v_add_u32_e32 v5, 0xffffff81, v12
	v_mov_b32_e32 v9, 0xffffff82
	v_cndmask_b32_e32 v5, v5, v9, vcc
	v_lshrrev_b32_e32 v9, 23, v8
	v_add3_u32 v12, v13, v5, v9
	v_add_u32_e32 v5, 6, v12
	v_and_b32_e32 v4, 0xfffff, v4
	v_add_u32_e32 v50, v4, v8
	v_cmp_ne_u32_e32 vcc, 0, v5
                                        ; implicit-def: $vgpr8_vgpr9
                                        ; implicit-def: $vgpr4
	s_and_saveexec_b64 s[28:29], vcc
	s_xor_b64 s[28:29], exec, s[28:29]
; %bb.5702:                             ;   in Loop: Header=BB6_4406 Depth=4
	v_cmp_lt_u64_e32 vcc, s[88:89], v[50:51]
	v_add_u32_e32 v4, 7, v12
	v_cndmask_b32_e32 v4, v5, v4, vcc
	v_cndmask_b32_e64 v5, 0, 1, vcc
	v_lshrrev_b64 v[8:9], v5, v[50:51]
; %bb.5703:                             ;   in Loop: Header=BB6_4406 Depth=4
	s_andn2_saveexec_b64 s[28:29], s[28:29]
; %bb.5704:                             ;   in Loop: Header=BB6_4406 Depth=4
	v_mov_b32_e32 v8, v50
	v_bfe_u32 v4, v50, 23, 1
	v_mov_b32_e32 v9, v51
; %bb.5705:                             ;   in Loop: Header=BB6_4406 Depth=4
	s_or_b64 exec, exec, s[28:29]
	v_lshrrev_b64 v[8:9], 20, v[8:9]
	v_cmp_gt_i32_e32 vcc, 16, v4
	v_cndmask_b32_e32 v9, 0, v9, vcc
	v_cndmask_b32_e32 v8, 7, v8, vcc
	v_cmp_eq_u32_e32 vcc, 0, v4
	v_min_i32_e32 v4, 15, v4
	v_cmp_eq_u64_e64 s[28:29], 0, v[8:9]
	v_lshlrev_b32_e32 v4, 3, v4
	v_and_b32_e32 v4, 0xf8, v4
	v_and_or_b32 v4, v8, 7, v4
	s_and_b64 s[28:29], vcc, s[28:29]
	v_cndmask_b32_e64 v4, v4, 0, s[28:29]
	v_or_b32_e32 v4, v4, v6
	buffer_store_dword v4, off, s[0:3], s33 offset:128 ; 4-byte Folded Spill
.LBB6_5706:                             ;   in Loop: Header=BB6_4406 Depth=4
	s_or_b64 exec, exec, s[36:37]
                                        ; implicit-def: $vgpr6
.LBB6_5707:                             ;   in Loop: Header=BB6_4406 Depth=4
	s_andn2_saveexec_b64 s[28:29], s[34:35]
	s_cbranch_execz .LBB6_5709
; %bb.5708:                             ;   in Loop: Header=BB6_4406 Depth=4
	v_or_b32_e32 v4, 0x7e, v6
	buffer_store_dword v4, off, s[0:3], s33 offset:128 ; 4-byte Folded Spill
.LBB6_5709:                             ;   in Loop: Header=BB6_4406 Depth=4
	s_or_b64 exec, exec, s[28:29]
                                        ; implicit-def: $vgpr4
.LBB6_5710:                             ;   in Loop: Header=BB6_4406 Depth=4
	s_andn2_saveexec_b64 s[28:29], s[30:31]
	s_cbranch_execz .LBB6_5712
; %bb.5711:                             ;   in Loop: Header=BB6_4406 Depth=4
	v_or_b32_sdwa v4, v4, s86 dst_sel:DWORD dst_unused:UNUSED_PAD src0_sel:BYTE_3 src1_sel:DWORD
	buffer_store_dword v4, off, s[0:3], s33 offset:128 ; 4-byte Folded Spill
.LBB6_5712:                             ;   in Loop: Header=BB6_4406 Depth=4
	s_or_b64 exec, exec, s[28:29]
	v_cmp_lt_u32_e32 vcc, s57, v10
	v_mov_b32_e32 v4, 0
	s_and_saveexec_b64 s[28:29], vcc
	s_cbranch_execz .LBB6_5718
; %bb.5713:                             ;   in Loop: Header=BB6_4406 Depth=4
	v_lshrrev_b32_e32 v8, 24, v10
	v_cmp_ne_u32_e32 vcc, s96, v8
	v_bfrev_b32_e32 v4, 1
	s_and_saveexec_b64 s[30:31], vcc
	s_cbranch_execz .LBB6_5717
; %bb.5714:                             ;   in Loop: Header=BB6_4406 Depth=4
	v_bfe_u32 v5, v10, 24, 7
	v_cmp_ne_u32_e32 vcc, s86, v5
	v_mov_b32_e32 v4, 0x7f800001
	s_and_saveexec_b64 s[34:35], vcc
	s_cbranch_execz .LBB6_5716
; %bb.5715:                             ;   in Loop: Header=BB6_4406 Depth=4
	v_and_b32_e32 v6, 7, v8
	v_ffbh_u32_e32 v4, v6
	v_min_u32_e32 v12, 32, v4
	v_lshrrev_b32_e32 v9, 3, v5
	v_subrev_u32_e32 v4, 28, v12
	v_cmp_gt_u32_e32 vcc, 8, v5
	v_lshlrev_b64 v[4:5], v4, v[8:9]
	v_sub_u32_e32 v5, 29, v12
	v_and_b32_e32 v4, 7, v4
	v_cndmask_b32_e32 v5, v9, v5, vcc
	v_cndmask_b32_e32 v4, v6, v4, vcc
	v_lshlrev_b32_e32 v6, 24, v8
	v_bfrev_b32_e32 v8, 60
	v_lshlrev_b32_e32 v4, 20, v4
	v_and_b32_e32 v6, 0x80000000, v6
	v_lshl_add_u32 v5, v5, 23, v8
	v_or3_b32 v4, v6, v5, v4
.LBB6_5716:                             ;   in Loop: Header=BB6_4406 Depth=4
	s_or_b64 exec, exec, s[34:35]
.LBB6_5717:                             ;   in Loop: Header=BB6_4406 Depth=4
	s_or_b64 exec, exec, s[30:31]
.LBB6_5718:                             ;   in Loop: Header=BB6_4406 Depth=4
	s_or_b64 exec, exec, s[28:29]
	v_mul_f32_e32 v4, v14, v4
	v_and_b32_e32 v50, 0x7f800000, v4
	v_cmp_ne_u64_e32 vcc, s[76:77], v[50:51]
                                        ; implicit-def: $vgpr5
                                        ; kill: killed $vgpr5
	s_and_saveexec_b64 s[28:29], vcc
	s_xor_b64 s[30:31], exec, s[28:29]
	s_cbranch_execz .LBB6_5732
; %bb.5719:                             ;   in Loop: Header=BB6_4406 Depth=4
	v_and_b32_e32 v50, 0x7fffffff, v4
	v_cmp_gt_u64_e32 vcc, s[78:79], v[50:51]
	v_and_b32_sdwa v6, v4, s96 dst_sel:DWORD dst_unused:UNUSED_PAD src0_sel:BYTE_3 src1_sel:DWORD
                                        ; implicit-def: $vgpr5
                                        ; kill: killed $vgpr5
	s_and_saveexec_b64 s[28:29], vcc
	s_xor_b64 s[34:35], exec, s[28:29]
	s_cbranch_execz .LBB6_5729
; %bb.5720:                             ;   in Loop: Header=BB6_4406 Depth=4
	v_mov_b32_e32 v5, 0
	v_cmp_ne_u32_e32 vcc, 0, v4
	buffer_store_dword v5, off, s[0:3], s33 offset:140 ; 4-byte Folded Spill
	s_and_saveexec_b64 s[36:37], vcc
	s_cbranch_execz .LBB6_5728
; %bb.5721:                             ;   in Loop: Header=BB6_4406 Depth=4
	v_bfe_u32 v12, v4, 23, 8
	v_and_b32_e32 v5, 0x7fffff, v4
	v_cmp_gt_u32_e64 s[28:29], s97, v12
	v_sub_u32_e32 v4, 0x79, v12
	v_cmp_eq_u32_e32 vcc, 0, v12
	v_cndmask_b32_e64 v4, 0, v4, s[28:29]
	v_mov_b32_e32 v9, 0x78
	v_cndmask_b32_e32 v13, v4, v9, vcc
	v_or_b32_e32 v8, 0x800000, v5
	v_add_u32_e32 v4, 20, v13
	v_cndmask_b32_e32 v50, v8, v5, vcc
	v_lshlrev_b64 v[4:5], v4, -1
	v_add_u32_e32 v8, 19, v13
	v_lshlrev_b64 v[8:9], v8, 1
	v_bfi_b32 v5, v5, 0, 0
	v_bfi_b32 v4, v4, 0, v50
	v_cmp_eq_u64_e64 s[28:29], v[4:5], v[8:9]
	v_lshrrev_b64 v[8:9], v13, v[50:51]
	v_mov_b32_e32 v4, v8
	v_mov_b32_e32 v5, v9
	s_and_saveexec_b64 s[38:39], s[28:29]
; %bb.5722:                             ;   in Loop: Header=BB6_4406 Depth=4
	v_bfe_u32 v4, v8, 20, 1
	v_add_co_u32_e64 v4, s[28:29], v8, v4
	v_add_co_u32_e64 v4, s[28:29], -1, v4
; %bb.5723:                             ;   in Loop: Header=BB6_4406 Depth=4
	s_or_b64 exec, exec, s[38:39]
	v_add_u32_e32 v5, 0xffffff81, v12
	v_mov_b32_e32 v9, 0xffffff82
	v_cndmask_b32_e32 v5, v5, v9, vcc
	v_lshrrev_b32_e32 v9, 23, v8
	v_add3_u32 v12, v13, v5, v9
	v_add_u32_e32 v5, 6, v12
	v_and_b32_e32 v4, 0xfffff, v4
	v_add_u32_e32 v50, v4, v8
	v_cmp_ne_u32_e32 vcc, 0, v5
                                        ; implicit-def: $vgpr8_vgpr9
                                        ; implicit-def: $vgpr4
	s_and_saveexec_b64 s[28:29], vcc
	s_xor_b64 s[28:29], exec, s[28:29]
; %bb.5724:                             ;   in Loop: Header=BB6_4406 Depth=4
	v_cmp_lt_u64_e32 vcc, s[88:89], v[50:51]
	v_add_u32_e32 v4, 7, v12
	v_cndmask_b32_e32 v4, v5, v4, vcc
	v_cndmask_b32_e64 v5, 0, 1, vcc
	v_lshrrev_b64 v[8:9], v5, v[50:51]
; %bb.5725:                             ;   in Loop: Header=BB6_4406 Depth=4
	s_andn2_saveexec_b64 s[28:29], s[28:29]
; %bb.5726:                             ;   in Loop: Header=BB6_4406 Depth=4
	v_mov_b32_e32 v8, v50
	v_bfe_u32 v4, v50, 23, 1
	v_mov_b32_e32 v9, v51
; %bb.5727:                             ;   in Loop: Header=BB6_4406 Depth=4
	s_or_b64 exec, exec, s[28:29]
	v_lshrrev_b64 v[8:9], 20, v[8:9]
	v_cmp_gt_i32_e32 vcc, 16, v4
	v_cndmask_b32_e32 v9, 0, v9, vcc
	v_cndmask_b32_e32 v8, 7, v8, vcc
	v_cmp_eq_u32_e32 vcc, 0, v4
	v_min_i32_e32 v4, 15, v4
	v_cmp_eq_u64_e64 s[28:29], 0, v[8:9]
	v_lshlrev_b32_e32 v4, 3, v4
	v_and_b32_e32 v4, 0xf8, v4
	v_and_or_b32 v4, v8, 7, v4
	s_and_b64 s[28:29], vcc, s[28:29]
	v_cndmask_b32_e64 v4, v4, 0, s[28:29]
	v_or_b32_e32 v4, v4, v6
	buffer_store_dword v4, off, s[0:3], s33 offset:140 ; 4-byte Folded Spill
.LBB6_5728:                             ;   in Loop: Header=BB6_4406 Depth=4
	s_or_b64 exec, exec, s[36:37]
                                        ; implicit-def: $vgpr6
.LBB6_5729:                             ;   in Loop: Header=BB6_4406 Depth=4
	s_andn2_saveexec_b64 s[28:29], s[34:35]
	s_cbranch_execz .LBB6_5731
; %bb.5730:                             ;   in Loop: Header=BB6_4406 Depth=4
	v_or_b32_e32 v4, 0x7e, v6
	buffer_store_dword v4, off, s[0:3], s33 offset:140 ; 4-byte Folded Spill
.LBB6_5731:                             ;   in Loop: Header=BB6_4406 Depth=4
	s_or_b64 exec, exec, s[28:29]
                                        ; implicit-def: $vgpr4
.LBB6_5732:                             ;   in Loop: Header=BB6_4406 Depth=4
	s_andn2_saveexec_b64 s[28:29], s[30:31]
	s_cbranch_execz .LBB6_5734
; %bb.5733:                             ;   in Loop: Header=BB6_4406 Depth=4
	v_or_b32_sdwa v4, v4, s86 dst_sel:DWORD dst_unused:UNUSED_PAD src0_sel:BYTE_3 src1_sel:DWORD
	buffer_store_dword v4, off, s[0:3], s33 offset:140 ; 4-byte Folded Spill
.LBB6_5734:                             ;   in Loop: Header=BB6_4406 Depth=4
	s_or_b64 exec, exec, s[28:29]
	v_mov_b32_e32 v50, v11
	v_cmp_ne_u16_sdwa vcc, v11, v51 src0_sel:BYTE_0 src1_sel:DWORD
	v_mov_b32_e32 v4, 0
	s_and_saveexec_b64 s[28:29], vcc
	s_cbranch_execz .LBB6_5740
; %bb.5735:                             ;   in Loop: Header=BB6_4406 Depth=4
	v_cmp_ne_u16_sdwa vcc, v11, s96 src0_sel:BYTE_0 src1_sel:DWORD
	v_bfrev_b32_e32 v4, 1
	s_and_saveexec_b64 s[30:31], vcc
	s_cbranch_execz .LBB6_5739
; %bb.5736:                             ;   in Loop: Header=BB6_4406 Depth=4
	v_and_b32_e32 v5, 0x7f, v11
	v_cmp_ne_u32_e32 vcc, s86, v5
	v_mov_b32_e32 v4, 0x7f800001
	s_and_saveexec_b64 s[34:35], vcc
	s_cbranch_execz .LBB6_5738
; %bb.5737:                             ;   in Loop: Header=BB6_4406 Depth=4
	v_and_b32_e32 v4, 7, v11
	v_ffbh_u32_e32 v4, v4
	v_min_u32_e32 v4, 32, v4
	v_lshrrev_b32_e32 v6, 3, v5
	v_cmp_gt_u32_e32 vcc, 8, v5
	v_subrev_u32_e32 v5, 28, v4
	v_sub_u32_e32 v4, 29, v4
	v_cndmask_b32_e32 v6, v6, v4, vcc
	v_cndmask_b32_e32 v4, 0, v5, vcc
	v_lshlrev_b64 v[4:5], v4, v[50:51]
	v_lshlrev_b32_e32 v5, 24, v50
	v_lshlrev_b32_e32 v4, 20, v4
	v_bfrev_b32_e32 v8, 60
	v_and_b32_e32 v4, 0x700000, v4
	v_and_b32_e32 v5, 0x80000000, v5
	v_lshl_add_u32 v6, v6, 23, v8
	v_or3_b32 v4, v5, v6, v4
.LBB6_5738:                             ;   in Loop: Header=BB6_4406 Depth=4
	s_or_b64 exec, exec, s[34:35]
.LBB6_5739:                             ;   in Loop: Header=BB6_4406 Depth=4
	s_or_b64 exec, exec, s[30:31]
.LBB6_5740:                             ;   in Loop: Header=BB6_4406 Depth=4
	s_or_b64 exec, exec, s[28:29]
	v_mul_f32_e32 v4, v14, v4
	v_and_b32_e32 v5, 0x7f800000, v4
	v_mov_b32_e32 v6, v51
	v_cmp_ne_u64_e32 vcc, s[76:77], v[5:6]
                                        ; implicit-def: $vgpr6
	s_and_saveexec_b64 s[28:29], vcc
	s_xor_b64 s[30:31], exec, s[28:29]
	s_cbranch_execz .LBB6_5754
; %bb.5741:                             ;   in Loop: Header=BB6_4406 Depth=4
	v_and_b32_e32 v5, 0x7fffffff, v4
	v_mov_b32_e32 v6, v51
	v_cmp_gt_u64_e32 vcc, s[78:79], v[5:6]
	v_and_b32_sdwa v12, v4, s96 dst_sel:DWORD dst_unused:UNUSED_PAD src0_sel:BYTE_3 src1_sel:DWORD
                                        ; implicit-def: $vgpr6
	s_and_saveexec_b64 s[28:29], vcc
	s_xor_b64 s[34:35], exec, s[28:29]
	s_cbranch_execz .LBB6_5751
; %bb.5742:                             ;   in Loop: Header=BB6_4406 Depth=4
	v_mov_b32_e32 v6, 0
	v_cmp_ne_u32_e32 vcc, 0, v4
	s_and_saveexec_b64 s[36:37], vcc
	s_cbranch_execz .LBB6_5750
; %bb.5743:                             ;   in Loop: Header=BB6_4406 Depth=4
	v_bfe_u32 v6, v4, 23, 8
	v_and_b32_e32 v5, 0x7fffff, v4
	v_cmp_gt_u32_e64 s[28:29], s97, v6
	v_sub_u32_e32 v4, 0x79, v6
	v_cmp_eq_u32_e32 vcc, 0, v6
	v_cndmask_b32_e64 v4, 0, v4, s[28:29]
	v_mov_b32_e32 v9, 0x78
	v_or_b32_e32 v8, 0x800000, v5
	v_cndmask_b32_e32 v13, v4, v9, vcc
	v_cndmask_b32_e32 v4, v8, v5, vcc
	v_add_u32_e32 v8, 20, v13
	v_lshlrev_b64 v[8:9], v8, -1
	v_add_u32_e32 v15, 19, v13
	v_lshlrev_b64 v[15:16], v15, 1
	v_mov_b32_e32 v5, v51
	v_bfi_b32 v9, v9, 0, 0
	v_bfi_b32 v8, v8, 0, v4
	v_cmp_eq_u64_e64 s[28:29], v[8:9], v[15:16]
	v_lshrrev_b64 v[8:9], v13, v[4:5]
	v_mov_b32_e32 v4, v8
	v_mov_b32_e32 v5, v9
	s_and_saveexec_b64 s[38:39], s[28:29]
; %bb.5744:                             ;   in Loop: Header=BB6_4406 Depth=4
	v_bfe_u32 v4, v8, 20, 1
	v_add_co_u32_e64 v4, s[28:29], v8, v4
	v_add_co_u32_e64 v4, s[28:29], -1, v4
; %bb.5745:                             ;   in Loop: Header=BB6_4406 Depth=4
	s_or_b64 exec, exec, s[38:39]
	v_add_u32_e32 v5, 0xffffff81, v6
	v_mov_b32_e32 v6, 0xffffff82
	v_cndmask_b32_e32 v5, v5, v6, vcc
	v_lshrrev_b32_e32 v6, 23, v8
	v_add3_u32 v6, v13, v5, v6
	v_add_u32_e32 v5, 6, v6
	v_and_b32_e32 v4, 0xfffff, v4
	v_add_u32_e32 v8, v4, v8
	v_mov_b32_e32 v9, v51
	v_cmp_ne_u32_e32 vcc, 0, v5
                                        ; implicit-def: $vgpr4
	s_and_saveexec_b64 s[28:29], vcc
	s_xor_b64 s[28:29], exec, s[28:29]
; %bb.5746:                             ;   in Loop: Header=BB6_4406 Depth=4
	v_cmp_lt_u64_e32 vcc, s[88:89], v[8:9]
	v_add_u32_e32 v4, 7, v6
	v_cndmask_b32_e32 v4, v5, v4, vcc
	v_cndmask_b32_e64 v5, 0, 1, vcc
	v_lshrrev_b64 v[8:9], v5, v[8:9]
; %bb.5747:                             ;   in Loop: Header=BB6_4406 Depth=4
	s_andn2_saveexec_b64 s[28:29], s[28:29]
; %bb.5748:                             ;   in Loop: Header=BB6_4406 Depth=4
	v_bfe_u32 v4, v8, 23, 1
; %bb.5749:                             ;   in Loop: Header=BB6_4406 Depth=4
	s_or_b64 exec, exec, s[28:29]
	v_lshrrev_b64 v[5:6], 20, v[8:9]
	v_cmp_gt_i32_e32 vcc, 16, v4
	v_cndmask_b32_e32 v6, 0, v6, vcc
	v_cndmask_b32_e32 v5, 7, v5, vcc
	v_cmp_eq_u32_e32 vcc, 0, v4
	v_min_i32_e32 v4, 15, v4
	v_cmp_eq_u64_e64 s[28:29], 0, v[5:6]
	v_lshlrev_b32_e32 v4, 3, v4
	v_and_b32_e32 v4, 0xf8, v4
	v_and_or_b32 v4, v5, 7, v4
	s_and_b64 s[28:29], vcc, s[28:29]
	v_cndmask_b32_e64 v4, v4, 0, s[28:29]
	v_or_b32_e32 v6, v4, v12
.LBB6_5750:                             ;   in Loop: Header=BB6_4406 Depth=4
	s_or_b64 exec, exec, s[36:37]
                                        ; implicit-def: $vgpr12
.LBB6_5751:                             ;   in Loop: Header=BB6_4406 Depth=4
	s_andn2_saveexec_b64 s[28:29], s[34:35]
; %bb.5752:                             ;   in Loop: Header=BB6_4406 Depth=4
	v_or_b32_e32 v6, 0x7e, v12
; %bb.5753:                             ;   in Loop: Header=BB6_4406 Depth=4
	s_or_b64 exec, exec, s[28:29]
                                        ; implicit-def: $vgpr4
.LBB6_5754:                             ;   in Loop: Header=BB6_4406 Depth=4
	s_andn2_saveexec_b64 s[28:29], s[30:31]
; %bb.5755:                             ;   in Loop: Header=BB6_4406 Depth=4
	v_or_b32_sdwa v6, v4, s86 dst_sel:DWORD dst_unused:UNUSED_PAD src0_sel:BYTE_3 src1_sel:DWORD
; %bb.5756:                             ;   in Loop: Header=BB6_4406 Depth=4
	s_or_b64 exec, exec, s[28:29]
	v_lshrrev_b16_e32 v8, 8, v50
	v_cmp_ne_u16_e32 vcc, 0, v8
	v_mov_b32_e32 v4, 0
	s_and_saveexec_b64 s[28:29], vcc
	s_cbranch_execz .LBB6_5762
; %bb.5757:                             ;   in Loop: Header=BB6_4406 Depth=4
	v_cmp_ne_u16_e32 vcc, s96, v8
	v_bfrev_b32_e32 v4, 1
	s_and_saveexec_b64 s[30:31], vcc
	s_cbranch_execz .LBB6_5761
; %bb.5758:                             ;   in Loop: Header=BB6_4406 Depth=4
	v_and_b32_e32 v5, 0x7f, v8
	v_cmp_ne_u32_e32 vcc, s86, v5
	v_mov_b32_e32 v4, 0x7f800001
	s_and_saveexec_b64 s[34:35], vcc
	s_cbranch_execz .LBB6_5760
; %bb.5759:                             ;   in Loop: Header=BB6_4406 Depth=4
	v_and_b32_e32 v9, 7, v8
	v_ffbh_u32_e32 v4, v9
	v_min_u32_e32 v13, 32, v4
	v_subrev_u32_e32 v4, 28, v13
	v_lshrrev_b32_e32 v12, 3, v5
	v_cmp_gt_u32_e32 vcc, 8, v5
	v_lshlrev_b64 v[4:5], v4, v[8:9]
	v_sub_u32_e32 v5, 29, v13
	v_and_b32_e32 v4, 7, v4
	v_cndmask_b32_e32 v5, v12, v5, vcc
	v_cndmask_b32_e32 v4, v9, v4, vcc
	v_lshlrev_b32_e32 v8, 16, v50
	v_bfrev_b32_e32 v9, 60
	v_lshlrev_b32_e32 v4, 20, v4
	v_and_b32_e32 v8, 0x80000000, v8
	v_lshl_add_u32 v5, v5, 23, v9
	v_or3_b32 v4, v8, v5, v4
.LBB6_5760:                             ;   in Loop: Header=BB6_4406 Depth=4
	s_or_b64 exec, exec, s[34:35]
.LBB6_5761:                             ;   in Loop: Header=BB6_4406 Depth=4
	s_or_b64 exec, exec, s[30:31]
.LBB6_5762:                             ;   in Loop: Header=BB6_4406 Depth=4
	s_or_b64 exec, exec, s[28:29]
	v_mul_f32_e32 v4, v14, v4
	v_and_b32_e32 v50, 0x7f800000, v4
	v_cmp_ne_u64_e32 vcc, s[76:77], v[50:51]
                                        ; implicit-def: $vgpr5
                                        ; kill: killed $vgpr5
	s_and_saveexec_b64 s[28:29], vcc
	s_xor_b64 s[30:31], exec, s[28:29]
	s_cbranch_execz .LBB6_5776
; %bb.5763:                             ;   in Loop: Header=BB6_4406 Depth=4
	v_and_b32_e32 v50, 0x7fffffff, v4
	v_cmp_gt_u64_e32 vcc, s[78:79], v[50:51]
	v_and_b32_sdwa v12, v4, s96 dst_sel:DWORD dst_unused:UNUSED_PAD src0_sel:BYTE_3 src1_sel:DWORD
                                        ; implicit-def: $vgpr5
                                        ; kill: killed $vgpr5
	s_and_saveexec_b64 s[28:29], vcc
	s_xor_b64 s[34:35], exec, s[28:29]
	s_cbranch_execz .LBB6_5773
; %bb.5764:                             ;   in Loop: Header=BB6_4406 Depth=4
	v_mov_b32_e32 v5, 0
	v_cmp_ne_u32_e32 vcc, 0, v4
	buffer_store_dword v5, off, s[0:3], s33 offset:104 ; 4-byte Folded Spill
	s_and_saveexec_b64 s[36:37], vcc
	s_cbranch_execz .LBB6_5772
; %bb.5765:                             ;   in Loop: Header=BB6_4406 Depth=4
	v_bfe_u32 v13, v4, 23, 8
	v_and_b32_e32 v5, 0x7fffff, v4
	v_cmp_gt_u32_e64 s[28:29], s97, v13
	v_sub_u32_e32 v4, 0x79, v13
	v_cmp_eq_u32_e32 vcc, 0, v13
	v_cndmask_b32_e64 v4, 0, v4, s[28:29]
	v_mov_b32_e32 v9, 0x78
	v_cndmask_b32_e32 v15, v4, v9, vcc
	v_or_b32_e32 v8, 0x800000, v5
	v_add_u32_e32 v4, 20, v15
	v_cndmask_b32_e32 v50, v8, v5, vcc
	v_lshlrev_b64 v[4:5], v4, -1
	v_add_u32_e32 v8, 19, v15
	v_lshlrev_b64 v[8:9], v8, 1
	v_bfi_b32 v5, v5, 0, 0
	v_bfi_b32 v4, v4, 0, v50
	v_cmp_eq_u64_e64 s[28:29], v[4:5], v[8:9]
	v_lshrrev_b64 v[8:9], v15, v[50:51]
	v_mov_b32_e32 v4, v8
	v_mov_b32_e32 v5, v9
	s_and_saveexec_b64 s[38:39], s[28:29]
; %bb.5766:                             ;   in Loop: Header=BB6_4406 Depth=4
	v_bfe_u32 v4, v8, 20, 1
	v_add_co_u32_e64 v4, s[28:29], v8, v4
	v_add_co_u32_e64 v4, s[28:29], -1, v4
; %bb.5767:                             ;   in Loop: Header=BB6_4406 Depth=4
	s_or_b64 exec, exec, s[38:39]
	v_add_u32_e32 v5, 0xffffff81, v13
	v_mov_b32_e32 v9, 0xffffff82
	v_cndmask_b32_e32 v5, v5, v9, vcc
	v_lshrrev_b32_e32 v9, 23, v8
	v_add3_u32 v13, v15, v5, v9
	v_add_u32_e32 v5, 6, v13
	v_and_b32_e32 v4, 0xfffff, v4
	v_add_u32_e32 v50, v4, v8
	v_cmp_ne_u32_e32 vcc, 0, v5
                                        ; implicit-def: $vgpr8_vgpr9
                                        ; implicit-def: $vgpr4
	s_and_saveexec_b64 s[28:29], vcc
	s_xor_b64 s[28:29], exec, s[28:29]
; %bb.5768:                             ;   in Loop: Header=BB6_4406 Depth=4
	v_cmp_lt_u64_e32 vcc, s[88:89], v[50:51]
	v_add_u32_e32 v4, 7, v13
	v_cndmask_b32_e32 v4, v5, v4, vcc
	v_cndmask_b32_e64 v5, 0, 1, vcc
	v_lshrrev_b64 v[8:9], v5, v[50:51]
; %bb.5769:                             ;   in Loop: Header=BB6_4406 Depth=4
	s_andn2_saveexec_b64 s[28:29], s[28:29]
; %bb.5770:                             ;   in Loop: Header=BB6_4406 Depth=4
	v_mov_b32_e32 v8, v50
	v_bfe_u32 v4, v50, 23, 1
	v_mov_b32_e32 v9, v51
; %bb.5771:                             ;   in Loop: Header=BB6_4406 Depth=4
	s_or_b64 exec, exec, s[28:29]
	v_lshrrev_b64 v[8:9], 20, v[8:9]
	v_cmp_gt_i32_e32 vcc, 16, v4
	v_cndmask_b32_e32 v9, 0, v9, vcc
	v_cndmask_b32_e32 v8, 7, v8, vcc
	v_cmp_eq_u32_e32 vcc, 0, v4
	v_min_i32_e32 v4, 15, v4
	v_cmp_eq_u64_e64 s[28:29], 0, v[8:9]
	v_lshlrev_b32_e32 v4, 3, v4
	v_and_b32_e32 v4, 0xf8, v4
	v_and_or_b32 v4, v8, 7, v4
	s_and_b64 s[28:29], vcc, s[28:29]
	v_cndmask_b32_e64 v4, v4, 0, s[28:29]
	v_or_b32_e32 v4, v4, v12
	buffer_store_dword v4, off, s[0:3], s33 offset:104 ; 4-byte Folded Spill
.LBB6_5772:                             ;   in Loop: Header=BB6_4406 Depth=4
	s_or_b64 exec, exec, s[36:37]
                                        ; implicit-def: $vgpr12
.LBB6_5773:                             ;   in Loop: Header=BB6_4406 Depth=4
	s_andn2_saveexec_b64 s[28:29], s[34:35]
	s_cbranch_execz .LBB6_5775
; %bb.5774:                             ;   in Loop: Header=BB6_4406 Depth=4
	v_or_b32_e32 v4, 0x7e, v12
	buffer_store_dword v4, off, s[0:3], s33 offset:104 ; 4-byte Folded Spill
.LBB6_5775:                             ;   in Loop: Header=BB6_4406 Depth=4
	s_or_b64 exec, exec, s[28:29]
                                        ; implicit-def: $vgpr4
.LBB6_5776:                             ;   in Loop: Header=BB6_4406 Depth=4
	s_andn2_saveexec_b64 s[28:29], s[30:31]
	s_cbranch_execz .LBB6_5778
; %bb.5777:                             ;   in Loop: Header=BB6_4406 Depth=4
	v_or_b32_sdwa v4, v4, s86 dst_sel:DWORD dst_unused:UNUSED_PAD src0_sel:BYTE_3 src1_sel:DWORD
	buffer_store_dword v4, off, s[0:3], s33 offset:104 ; 4-byte Folded Spill
.LBB6_5778:                             ;   in Loop: Header=BB6_4406 Depth=4
	s_or_b64 exec, exec, s[28:29]
	v_lshrrev_b32_e32 v8, 16, v11
	v_cmp_ne_u16_sdwa vcc, v8, v51 src0_sel:BYTE_0 src1_sel:DWORD
	v_mov_b32_e32 v4, 0
	s_and_saveexec_b64 s[28:29], vcc
	s_cbranch_execz .LBB6_5784
; %bb.5779:                             ;   in Loop: Header=BB6_4406 Depth=4
	v_cmp_ne_u16_sdwa vcc, v8, s96 src0_sel:BYTE_0 src1_sel:DWORD
	v_bfrev_b32_e32 v4, 1
	s_and_saveexec_b64 s[30:31], vcc
	s_cbranch_execz .LBB6_5783
; %bb.5780:                             ;   in Loop: Header=BB6_4406 Depth=4
	v_bfe_u32 v5, v11, 16, 7
	v_cmp_ne_u32_e32 vcc, s86, v5
	v_mov_b32_e32 v4, 0x7f800001
	s_and_saveexec_b64 s[34:35], vcc
	s_cbranch_execz .LBB6_5782
; %bb.5781:                             ;   in Loop: Header=BB6_4406 Depth=4
	v_and_b32_e32 v9, 7, v8
	v_ffbh_u32_e32 v4, v9
	v_min_u32_e32 v13, 32, v4
	v_subrev_u32_e32 v4, 28, v13
	v_lshrrev_b32_e32 v12, 3, v5
	v_cmp_gt_u32_e32 vcc, 8, v5
	v_lshlrev_b64 v[4:5], v4, v[8:9]
	v_sub_u32_e32 v5, 29, v13
	v_and_b32_e32 v4, 7, v4
	v_cndmask_b32_e32 v5, v12, v5, vcc
	v_cndmask_b32_e32 v4, v9, v4, vcc
	v_lshlrev_b32_e32 v8, 24, v8
	v_bfrev_b32_e32 v9, 60
	v_lshlrev_b32_e32 v4, 20, v4
	v_and_b32_e32 v8, 0x80000000, v8
	v_lshl_add_u32 v5, v5, 23, v9
	v_or3_b32 v4, v8, v5, v4
.LBB6_5782:                             ;   in Loop: Header=BB6_4406 Depth=4
	s_or_b64 exec, exec, s[34:35]
.LBB6_5783:                             ;   in Loop: Header=BB6_4406 Depth=4
	s_or_b64 exec, exec, s[30:31]
.LBB6_5784:                             ;   in Loop: Header=BB6_4406 Depth=4
	s_or_b64 exec, exec, s[28:29]
	v_mul_f32_e32 v4, v14, v4
	v_and_b32_e32 v50, 0x7f800000, v4
	v_cmp_ne_u64_e32 vcc, s[76:77], v[50:51]
                                        ; implicit-def: $vgpr5
                                        ; kill: killed $vgpr5
	s_and_saveexec_b64 s[28:29], vcc
	s_xor_b64 s[30:31], exec, s[28:29]
	s_cbranch_execz .LBB6_5798
; %bb.5785:                             ;   in Loop: Header=BB6_4406 Depth=4
	v_and_b32_e32 v50, 0x7fffffff, v4
	v_cmp_gt_u64_e32 vcc, s[78:79], v[50:51]
	v_and_b32_sdwa v12, v4, s96 dst_sel:DWORD dst_unused:UNUSED_PAD src0_sel:BYTE_3 src1_sel:DWORD
                                        ; implicit-def: $vgpr5
                                        ; kill: killed $vgpr5
	s_and_saveexec_b64 s[28:29], vcc
	s_xor_b64 s[34:35], exec, s[28:29]
	s_cbranch_execz .LBB6_5795
; %bb.5786:                             ;   in Loop: Header=BB6_4406 Depth=4
	v_mov_b32_e32 v5, 0
	v_cmp_ne_u32_e32 vcc, 0, v4
	buffer_store_dword v5, off, s[0:3], s33 offset:116 ; 4-byte Folded Spill
	s_and_saveexec_b64 s[36:37], vcc
	s_cbranch_execz .LBB6_5794
; %bb.5787:                             ;   in Loop: Header=BB6_4406 Depth=4
	v_bfe_u32 v13, v4, 23, 8
	v_and_b32_e32 v5, 0x7fffff, v4
	v_cmp_gt_u32_e64 s[28:29], s97, v13
	v_sub_u32_e32 v4, 0x79, v13
	v_cmp_eq_u32_e32 vcc, 0, v13
	v_cndmask_b32_e64 v4, 0, v4, s[28:29]
	v_mov_b32_e32 v9, 0x78
	v_cndmask_b32_e32 v15, v4, v9, vcc
	v_or_b32_e32 v8, 0x800000, v5
	v_add_u32_e32 v4, 20, v15
	v_cndmask_b32_e32 v50, v8, v5, vcc
	v_lshlrev_b64 v[4:5], v4, -1
	v_add_u32_e32 v8, 19, v15
	v_lshlrev_b64 v[8:9], v8, 1
	v_bfi_b32 v5, v5, 0, 0
	v_bfi_b32 v4, v4, 0, v50
	v_cmp_eq_u64_e64 s[28:29], v[4:5], v[8:9]
	v_lshrrev_b64 v[8:9], v15, v[50:51]
	v_mov_b32_e32 v4, v8
	v_mov_b32_e32 v5, v9
	s_and_saveexec_b64 s[38:39], s[28:29]
; %bb.5788:                             ;   in Loop: Header=BB6_4406 Depth=4
	v_bfe_u32 v4, v8, 20, 1
	v_add_co_u32_e64 v4, s[28:29], v8, v4
	v_add_co_u32_e64 v4, s[28:29], -1, v4
; %bb.5789:                             ;   in Loop: Header=BB6_4406 Depth=4
	s_or_b64 exec, exec, s[38:39]
	v_add_u32_e32 v5, 0xffffff81, v13
	v_mov_b32_e32 v9, 0xffffff82
	v_cndmask_b32_e32 v5, v5, v9, vcc
	v_lshrrev_b32_e32 v9, 23, v8
	v_add3_u32 v13, v15, v5, v9
	v_add_u32_e32 v5, 6, v13
	v_and_b32_e32 v4, 0xfffff, v4
	v_add_u32_e32 v50, v4, v8
	v_cmp_ne_u32_e32 vcc, 0, v5
                                        ; implicit-def: $vgpr8_vgpr9
                                        ; implicit-def: $vgpr4
	s_and_saveexec_b64 s[28:29], vcc
	s_xor_b64 s[28:29], exec, s[28:29]
; %bb.5790:                             ;   in Loop: Header=BB6_4406 Depth=4
	v_cmp_lt_u64_e32 vcc, s[88:89], v[50:51]
	v_add_u32_e32 v4, 7, v13
	v_cndmask_b32_e32 v4, v5, v4, vcc
	v_cndmask_b32_e64 v5, 0, 1, vcc
	v_lshrrev_b64 v[8:9], v5, v[50:51]
; %bb.5791:                             ;   in Loop: Header=BB6_4406 Depth=4
	s_andn2_saveexec_b64 s[28:29], s[28:29]
; %bb.5792:                             ;   in Loop: Header=BB6_4406 Depth=4
	v_mov_b32_e32 v8, v50
	v_bfe_u32 v4, v50, 23, 1
	v_mov_b32_e32 v9, v51
; %bb.5793:                             ;   in Loop: Header=BB6_4406 Depth=4
	s_or_b64 exec, exec, s[28:29]
	v_lshrrev_b64 v[8:9], 20, v[8:9]
	v_cmp_gt_i32_e32 vcc, 16, v4
	v_cndmask_b32_e32 v9, 0, v9, vcc
	v_cndmask_b32_e32 v8, 7, v8, vcc
	v_cmp_eq_u32_e32 vcc, 0, v4
	v_min_i32_e32 v4, 15, v4
	v_cmp_eq_u64_e64 s[28:29], 0, v[8:9]
	v_lshlrev_b32_e32 v4, 3, v4
	v_and_b32_e32 v4, 0xf8, v4
	v_and_or_b32 v4, v8, 7, v4
	s_and_b64 s[28:29], vcc, s[28:29]
	v_cndmask_b32_e64 v4, v4, 0, s[28:29]
	v_or_b32_e32 v4, v4, v12
	buffer_store_dword v4, off, s[0:3], s33 offset:116 ; 4-byte Folded Spill
.LBB6_5794:                             ;   in Loop: Header=BB6_4406 Depth=4
	s_or_b64 exec, exec, s[36:37]
                                        ; implicit-def: $vgpr12
.LBB6_5795:                             ;   in Loop: Header=BB6_4406 Depth=4
	s_andn2_saveexec_b64 s[28:29], s[34:35]
	s_cbranch_execz .LBB6_5797
; %bb.5796:                             ;   in Loop: Header=BB6_4406 Depth=4
	v_or_b32_e32 v4, 0x7e, v12
	buffer_store_dword v4, off, s[0:3], s33 offset:116 ; 4-byte Folded Spill
.LBB6_5797:                             ;   in Loop: Header=BB6_4406 Depth=4
	s_or_b64 exec, exec, s[28:29]
                                        ; implicit-def: $vgpr4
.LBB6_5798:                             ;   in Loop: Header=BB6_4406 Depth=4
	s_andn2_saveexec_b64 s[28:29], s[30:31]
	s_cbranch_execz .LBB6_5800
; %bb.5799:                             ;   in Loop: Header=BB6_4406 Depth=4
	v_or_b32_sdwa v4, v4, s86 dst_sel:DWORD dst_unused:UNUSED_PAD src0_sel:BYTE_3 src1_sel:DWORD
	buffer_store_dword v4, off, s[0:3], s33 offset:116 ; 4-byte Folded Spill
.LBB6_5800:                             ;   in Loop: Header=BB6_4406 Depth=4
	s_or_b64 exec, exec, s[28:29]
	v_cmp_lt_u64_e32 vcc, s[56:57], v[10:11]
	v_mov_b32_e32 v4, 0
	s_and_saveexec_b64 s[28:29], vcc
	s_cbranch_execz .LBB6_5806
; %bb.5801:                             ;   in Loop: Header=BB6_4406 Depth=4
	v_lshrrev_b32_e32 v8, 24, v11
	v_cmp_ne_u32_e32 vcc, s96, v8
	v_bfrev_b32_e32 v4, 1
	s_and_saveexec_b64 s[30:31], vcc
	s_cbranch_execz .LBB6_5805
; %bb.5802:                             ;   in Loop: Header=BB6_4406 Depth=4
	v_bfe_u32 v5, v11, 24, 7
	v_cmp_ne_u32_e32 vcc, s86, v5
	v_mov_b32_e32 v4, 0x7f800001
	s_and_saveexec_b64 s[34:35], vcc
	s_cbranch_execz .LBB6_5804
; %bb.5803:                             ;   in Loop: Header=BB6_4406 Depth=4
	v_and_b32_e32 v9, 7, v8
	v_ffbh_u32_e32 v4, v9
	v_min_u32_e32 v11, 32, v4
	v_subrev_u32_e32 v4, 28, v11
	v_lshrrev_b32_e32 v10, 3, v5
	v_cmp_gt_u32_e32 vcc, 8, v5
	v_lshlrev_b64 v[4:5], v4, v[8:9]
	v_sub_u32_e32 v5, 29, v11
	v_and_b32_e32 v4, 7, v4
	v_cndmask_b32_e32 v5, v10, v5, vcc
	v_cndmask_b32_e32 v4, v9, v4, vcc
	v_lshlrev_b32_e32 v8, 24, v8
	v_bfrev_b32_e32 v9, 60
	v_lshlrev_b32_e32 v4, 20, v4
	v_and_b32_e32 v8, 0x80000000, v8
	v_lshl_add_u32 v5, v5, 23, v9
	v_or3_b32 v4, v8, v5, v4
.LBB6_5804:                             ;   in Loop: Header=BB6_4406 Depth=4
	s_or_b64 exec, exec, s[34:35]
.LBB6_5805:                             ;   in Loop: Header=BB6_4406 Depth=4
	s_or_b64 exec, exec, s[30:31]
.LBB6_5806:                             ;   in Loop: Header=BB6_4406 Depth=4
	s_or_b64 exec, exec, s[28:29]
	v_mul_f32_e32 v4, v14, v4
	v_and_b32_e32 v50, 0x7f800000, v4
	v_cmp_ne_u64_e32 vcc, s[76:77], v[50:51]
                                        ; implicit-def: $vgpr5
                                        ; kill: killed $vgpr5
	s_and_saveexec_b64 s[28:29], vcc
	s_xor_b64 s[30:31], exec, s[28:29]
	s_cbranch_execz .LBB6_5820
; %bb.5807:                             ;   in Loop: Header=BB6_4406 Depth=4
	v_and_b32_e32 v50, 0x7fffffff, v4
	v_cmp_gt_u64_e32 vcc, s[78:79], v[50:51]
	v_and_b32_sdwa v10, v4, s96 dst_sel:DWORD dst_unused:UNUSED_PAD src0_sel:BYTE_3 src1_sel:DWORD
                                        ; implicit-def: $vgpr5
                                        ; kill: killed $vgpr5
	s_and_saveexec_b64 s[28:29], vcc
	s_xor_b64 s[34:35], exec, s[28:29]
	s_cbranch_execz .LBB6_5817
; %bb.5808:                             ;   in Loop: Header=BB6_4406 Depth=4
	v_mov_b32_e32 v5, 0
	v_cmp_ne_u32_e32 vcc, 0, v4
	buffer_store_dword v5, off, s[0:3], s33 offset:132 ; 4-byte Folded Spill
	s_and_saveexec_b64 s[36:37], vcc
	s_cbranch_execz .LBB6_5816
; %bb.5809:                             ;   in Loop: Header=BB6_4406 Depth=4
	v_bfe_u32 v11, v4, 23, 8
	v_and_b32_e32 v5, 0x7fffff, v4
	v_cmp_gt_u32_e64 s[28:29], s97, v11
	v_sub_u32_e32 v4, 0x79, v11
	v_cmp_eq_u32_e32 vcc, 0, v11
	v_cndmask_b32_e64 v4, 0, v4, s[28:29]
	v_mov_b32_e32 v9, 0x78
	v_cndmask_b32_e32 v12, v4, v9, vcc
	v_or_b32_e32 v8, 0x800000, v5
	v_add_u32_e32 v4, 20, v12
	v_cndmask_b32_e32 v50, v8, v5, vcc
	v_lshlrev_b64 v[4:5], v4, -1
	v_add_u32_e32 v8, 19, v12
	v_lshlrev_b64 v[8:9], v8, 1
	v_bfi_b32 v5, v5, 0, 0
	v_bfi_b32 v4, v4, 0, v50
	v_cmp_eq_u64_e64 s[28:29], v[4:5], v[8:9]
	v_lshrrev_b64 v[8:9], v12, v[50:51]
	v_mov_b32_e32 v4, v8
	v_mov_b32_e32 v5, v9
	s_and_saveexec_b64 s[38:39], s[28:29]
; %bb.5810:                             ;   in Loop: Header=BB6_4406 Depth=4
	v_bfe_u32 v4, v8, 20, 1
	v_add_co_u32_e64 v4, s[28:29], v8, v4
	v_add_co_u32_e64 v4, s[28:29], -1, v4
; %bb.5811:                             ;   in Loop: Header=BB6_4406 Depth=4
	s_or_b64 exec, exec, s[38:39]
	v_add_u32_e32 v5, 0xffffff81, v11
	v_mov_b32_e32 v9, 0xffffff82
	v_cndmask_b32_e32 v5, v5, v9, vcc
	v_lshrrev_b32_e32 v9, 23, v8
	v_add3_u32 v11, v12, v5, v9
	v_add_u32_e32 v5, 6, v11
	v_and_b32_e32 v4, 0xfffff, v4
	v_add_u32_e32 v50, v4, v8
	v_cmp_ne_u32_e32 vcc, 0, v5
                                        ; implicit-def: $vgpr8_vgpr9
                                        ; implicit-def: $vgpr4
	s_and_saveexec_b64 s[28:29], vcc
	s_xor_b64 s[28:29], exec, s[28:29]
; %bb.5812:                             ;   in Loop: Header=BB6_4406 Depth=4
	v_cmp_lt_u64_e32 vcc, s[88:89], v[50:51]
	v_add_u32_e32 v4, 7, v11
	v_cndmask_b32_e32 v4, v5, v4, vcc
	v_cndmask_b32_e64 v5, 0, 1, vcc
	v_lshrrev_b64 v[8:9], v5, v[50:51]
; %bb.5813:                             ;   in Loop: Header=BB6_4406 Depth=4
	s_andn2_saveexec_b64 s[28:29], s[28:29]
; %bb.5814:                             ;   in Loop: Header=BB6_4406 Depth=4
	v_mov_b32_e32 v8, v50
	v_bfe_u32 v4, v50, 23, 1
	v_mov_b32_e32 v9, v51
; %bb.5815:                             ;   in Loop: Header=BB6_4406 Depth=4
	s_or_b64 exec, exec, s[28:29]
	v_lshrrev_b64 v[8:9], 20, v[8:9]
	v_cmp_gt_i32_e32 vcc, 16, v4
	v_cndmask_b32_e32 v9, 0, v9, vcc
	v_cndmask_b32_e32 v8, 7, v8, vcc
	v_cmp_eq_u32_e32 vcc, 0, v4
	v_min_i32_e32 v4, 15, v4
	v_cmp_eq_u64_e64 s[28:29], 0, v[8:9]
	v_lshlrev_b32_e32 v4, 3, v4
	v_and_b32_e32 v4, 0xf8, v4
	v_and_or_b32 v4, v8, 7, v4
	s_and_b64 s[28:29], vcc, s[28:29]
	v_cndmask_b32_e64 v4, v4, 0, s[28:29]
	v_or_b32_e32 v4, v4, v10
	buffer_store_dword v4, off, s[0:3], s33 offset:132 ; 4-byte Folded Spill
.LBB6_5816:                             ;   in Loop: Header=BB6_4406 Depth=4
	s_or_b64 exec, exec, s[36:37]
                                        ; implicit-def: $vgpr10
.LBB6_5817:                             ;   in Loop: Header=BB6_4406 Depth=4
	s_andn2_saveexec_b64 s[28:29], s[34:35]
	s_cbranch_execz .LBB6_5819
; %bb.5818:                             ;   in Loop: Header=BB6_4406 Depth=4
	v_or_b32_e32 v4, 0x7e, v10
	buffer_store_dword v4, off, s[0:3], s33 offset:132 ; 4-byte Folded Spill
.LBB6_5819:                             ;   in Loop: Header=BB6_4406 Depth=4
	s_or_b64 exec, exec, s[28:29]
                                        ; implicit-def: $vgpr4
.LBB6_5820:                             ;   in Loop: Header=BB6_4406 Depth=4
	s_andn2_saveexec_b64 s[28:29], s[30:31]
	s_cbranch_execz .LBB6_5822
; %bb.5821:                             ;   in Loop: Header=BB6_4406 Depth=4
	v_or_b32_sdwa v4, v4, s86 dst_sel:DWORD dst_unused:UNUSED_PAD src0_sel:BYTE_3 src1_sel:DWORD
	buffer_store_dword v4, off, s[0:3], s33 offset:132 ; 4-byte Folded Spill
.LBB6_5822:                             ;   in Loop: Header=BB6_4406 Depth=4
	s_or_b64 exec, exec, s[28:29]
	global_load_dwordx4 v[20:23], v[60:61], off glc slc
	global_load_dwordx4 v[16:19], v[60:61], off offset:1024 glc slc
	global_load_dwordx4 v[12:15], v[60:61], off offset:2048 glc slc
	;; [unrolled: 1-line block ×3, first 2 shown]
	v_lshl_or_b32 v49, v25, 8, v24
	v_lshlrev_b32_e32 v4, 16, v52
	v_lshlrev_b32_e32 v5, 24, v48
	v_or3_b32 v50, v4, v5, v49
	v_cmp_ne_u32_e32 vcc, 0, v24
	v_mov_b32_e32 v4, 0
	v_mov_b32_e32 v5, 0
	s_and_saveexec_b64 s[28:29], vcc
	s_cbranch_execz .LBB6_5828
; %bb.5823:                             ;   in Loop: Header=BB6_4406 Depth=4
	v_cmp_ne_u32_e32 vcc, s96, v24
	v_bfrev_b32_e32 v5, 1
	s_and_saveexec_b64 s[30:31], vcc
	s_cbranch_execz .LBB6_5827
; %bb.5824:                             ;   in Loop: Header=BB6_4406 Depth=4
	v_and_b32_e32 v25, 0x7f, v24
	v_cmp_ne_u32_e32 vcc, s86, v25
	v_mov_b32_e32 v5, 0x7f800001
	s_and_saveexec_b64 s[34:35], vcc
	s_cbranch_execz .LBB6_5826
; %bb.5825:                             ;   in Loop: Header=BB6_4406 Depth=4
	v_and_b32_e32 v5, 7, v24
	v_ffbh_u32_e32 v5, v5
	v_min_u32_e32 v5, 32, v5
	v_lshrrev_b32_e32 v24, 3, v25
	v_cmp_gt_u32_e32 vcc, 8, v25
	v_subrev_u32_e32 v25, 28, v5
	v_sub_u32_e32 v5, 29, v5
	v_cndmask_b32_e32 v5, v24, v5, vcc
	v_cndmask_b32_e32 v24, 0, v25, vcc
	v_lshlrev_b64 v[24:25], v24, v[50:51]
	v_lshlrev_b32_e32 v25, 24, v50
	v_lshlrev_b32_e32 v24, 20, v24
	v_bfrev_b32_e32 v32, 60
	v_and_b32_e32 v24, 0x700000, v24
	v_and_b32_e32 v25, 0x80000000, v25
	v_lshl_add_u32 v5, v5, 23, v32
	v_or3_b32 v5, v25, v5, v24
.LBB6_5826:                             ;   in Loop: Header=BB6_4406 Depth=4
	s_or_b64 exec, exec, s[34:35]
.LBB6_5827:                             ;   in Loop: Header=BB6_4406 Depth=4
	s_or_b64 exec, exec, s[30:31]
.LBB6_5828:                             ;   in Loop: Header=BB6_4406 Depth=4
	s_or_b64 exec, exec, s[28:29]
	s_waitcnt vmcnt(3)
	v_cmp_ne_u16_sdwa vcc, v20, v51 src0_sel:BYTE_0 src1_sel:DWORD
	s_and_saveexec_b64 s[28:29], vcc
	s_cbranch_execz .LBB6_5834
; %bb.5829:                             ;   in Loop: Header=BB6_4406 Depth=4
	v_cmp_ne_u16_sdwa vcc, v20, s96 src0_sel:BYTE_0 src1_sel:DWORD
	v_bfrev_b32_e32 v4, 1
	s_and_saveexec_b64 s[30:31], vcc
	s_cbranch_execz .LBB6_5833
; %bb.5830:                             ;   in Loop: Header=BB6_4406 Depth=4
	v_and_b32_e32 v24, 0x7f, v20
	v_cmp_ne_u32_e32 vcc, s86, v24
	v_mov_b32_e32 v4, 0x7f800001
	s_and_saveexec_b64 s[34:35], vcc
	s_cbranch_execz .LBB6_5832
; %bb.5831:                             ;   in Loop: Header=BB6_4406 Depth=4
	v_and_b32_e32 v4, 7, v20
	v_ffbh_u32_e32 v4, v4
	v_min_u32_e32 v4, 32, v4
	v_lshrrev_b32_e32 v25, 3, v24
	v_cmp_gt_u32_e32 vcc, 8, v24
	v_subrev_u32_e32 v24, 28, v4
	v_sub_u32_e32 v4, 29, v4
	v_cndmask_b32_e32 v24, 0, v24, vcc
	v_cndmask_b32_e32 v4, v25, v4, vcc
	v_lshlrev_b64 v[24:25], v24, v[20:21]
	v_lshlrev_b32_e32 v25, 24, v20
	v_lshlrev_b32_e32 v24, 20, v24
	v_bfrev_b32_e32 v32, 60
	v_and_b32_e32 v24, 0x700000, v24
	v_and_b32_e32 v25, 0x80000000, v25
	v_lshl_add_u32 v4, v4, 23, v32
	v_or3_b32 v4, v25, v4, v24
.LBB6_5832:                             ;   in Loop: Header=BB6_4406 Depth=4
	s_or_b64 exec, exec, s[34:35]
.LBB6_5833:                             ;   in Loop: Header=BB6_4406 Depth=4
	s_or_b64 exec, exec, s[30:31]
.LBB6_5834:                             ;   in Loop: Header=BB6_4406 Depth=4
	s_or_b64 exec, exec, s[28:29]
	v_add_f32_e32 v4, v5, v4
	v_and_b32_e32 v24, 0x7f800000, v4
	v_mov_b32_e32 v25, v51
	v_cmp_ne_u64_e32 vcc, s[76:77], v[24:25]
                                        ; implicit-def: $vgpr5
                                        ; kill: killed $vgpr5
	s_and_saveexec_b64 s[28:29], vcc
	s_xor_b64 s[30:31], exec, s[28:29]
	s_cbranch_execz .LBB6_5848
; %bb.5835:                             ;   in Loop: Header=BB6_4406 Depth=4
	v_and_b32_e32 v24, 0x7fffffff, v4
	v_mov_b32_e32 v25, v51
	v_cmp_gt_u64_e32 vcc, s[78:79], v[24:25]
	v_and_b32_sdwa v48, v4, s96 dst_sel:DWORD dst_unused:UNUSED_PAD src0_sel:BYTE_3 src1_sel:DWORD
                                        ; implicit-def: $vgpr5
                                        ; kill: killed $vgpr5
	s_and_saveexec_b64 s[28:29], vcc
	s_xor_b64 s[34:35], exec, s[28:29]
	s_cbranch_execz .LBB6_5845
; %bb.5836:                             ;   in Loop: Header=BB6_4406 Depth=4
	v_mov_b32_e32 v5, 0
	v_cmp_ne_u32_e32 vcc, 0, v4
	buffer_store_dword v5, off, s[0:3], s33 offset:96 ; 4-byte Folded Spill
	s_and_saveexec_b64 s[36:37], vcc
	s_cbranch_execz .LBB6_5844
; %bb.5837:                             ;   in Loop: Header=BB6_4406 Depth=4
	v_bfe_u32 v52, v4, 23, 8
	v_and_b32_e32 v5, 0x7fffff, v4
	v_cmp_gt_u32_e64 s[28:29], s97, v52
	v_sub_u32_e32 v4, 0x79, v52
	v_cmp_eq_u32_e32 vcc, 0, v52
	v_cndmask_b32_e64 v4, 0, v4, s[28:29]
	v_mov_b32_e32 v25, 0x78
	v_or_b32_e32 v24, 0x800000, v5
	v_cndmask_b32_e32 v32, v4, v25, vcc
	v_cndmask_b32_e32 v4, v24, v5, vcc
	v_add_u32_e32 v24, 20, v32
	v_mov_b32_e32 v53, v39
	v_mov_b32_e32 v39, v41
	v_lshlrev_b64 v[24:25], v24, -1
	v_add_u32_e32 v41, 19, v32
	v_mov_b32_e32 v0, v42
	v_lshlrev_b64 v[41:42], v41, 1
	v_mov_b32_e32 v5, v51
	v_bfi_b32 v25, v25, 0, 0
	v_bfi_b32 v24, v24, 0, v4
	v_cmp_eq_u64_e64 s[28:29], v[24:25], v[41:42]
	v_lshrrev_b64 v[24:25], v32, v[4:5]
	v_mov_b32_e32 v4, v24
	v_mov_b32_e32 v5, v25
	s_and_saveexec_b64 s[38:39], s[28:29]
; %bb.5838:                             ;   in Loop: Header=BB6_4406 Depth=4
	v_bfe_u32 v4, v24, 20, 1
	v_add_co_u32_e64 v4, s[28:29], v24, v4
	v_add_co_u32_e64 v4, s[28:29], -1, v4
; %bb.5839:                             ;   in Loop: Header=BB6_4406 Depth=4
	s_or_b64 exec, exec, s[38:39]
	v_add_u32_e32 v5, 0xffffff81, v52
	v_mov_b32_e32 v25, 0xffffff82
	v_cndmask_b32_e32 v5, v5, v25, vcc
	v_lshrrev_b32_e32 v25, 23, v24
	v_add3_u32 v32, v32, v5, v25
	v_add_u32_e32 v5, 6, v32
	v_and_b32_e32 v4, 0xfffff, v4
	v_add_u32_e32 v24, v4, v24
	v_mov_b32_e32 v25, v51
	v_cmp_ne_u32_e32 vcc, 0, v5
                                        ; implicit-def: $vgpr4
	s_and_saveexec_b64 s[28:29], vcc
	s_xor_b64 s[28:29], exec, s[28:29]
; %bb.5840:                             ;   in Loop: Header=BB6_4406 Depth=4
	v_cmp_lt_u64_e32 vcc, s[88:89], v[24:25]
	v_add_u32_e32 v4, 7, v32
	v_cndmask_b32_e32 v4, v5, v4, vcc
	v_cndmask_b32_e64 v5, 0, 1, vcc
	v_lshrrev_b64 v[24:25], v5, v[24:25]
; %bb.5841:                             ;   in Loop: Header=BB6_4406 Depth=4
	s_or_saveexec_b64 s[28:29], s[28:29]
	v_mov_b32_e32 v41, v39
	v_mov_b32_e32 v39, v53
	v_mov_b32_e32 v42, v0
	s_xor_b64 exec, exec, s[28:29]
; %bb.5842:                             ;   in Loop: Header=BB6_4406 Depth=4
	v_bfe_u32 v4, v24, 23, 1
; %bb.5843:                             ;   in Loop: Header=BB6_4406 Depth=4
	s_or_b64 exec, exec, s[28:29]
	v_lshrrev_b64 v[24:25], 20, v[24:25]
	v_cmp_gt_i32_e32 vcc, 16, v4
	v_cndmask_b32_e32 v25, 0, v25, vcc
	v_cndmask_b32_e32 v24, 7, v24, vcc
	v_cmp_eq_u32_e32 vcc, 0, v4
	v_min_i32_e32 v4, 15, v4
	v_cmp_eq_u64_e64 s[28:29], 0, v[24:25]
	v_lshlrev_b32_e32 v4, 3, v4
	v_and_b32_e32 v4, 0xf8, v4
	v_and_or_b32 v4, v24, 7, v4
	s_and_b64 s[28:29], vcc, s[28:29]
	v_cndmask_b32_e64 v4, v4, 0, s[28:29]
	v_or_b32_e32 v4, v4, v48
	buffer_store_dword v4, off, s[0:3], s33 offset:96 ; 4-byte Folded Spill
.LBB6_5844:                             ;   in Loop: Header=BB6_4406 Depth=4
	s_or_b64 exec, exec, s[36:37]
                                        ; implicit-def: $vgpr48
.LBB6_5845:                             ;   in Loop: Header=BB6_4406 Depth=4
	s_andn2_saveexec_b64 s[28:29], s[34:35]
	s_cbranch_execz .LBB6_5847
; %bb.5846:                             ;   in Loop: Header=BB6_4406 Depth=4
	v_or_b32_e32 v4, 0x7e, v48
	buffer_store_dword v4, off, s[0:3], s33 offset:96 ; 4-byte Folded Spill
.LBB6_5847:                             ;   in Loop: Header=BB6_4406 Depth=4
	s_or_b64 exec, exec, s[28:29]
                                        ; implicit-def: $vgpr4
.LBB6_5848:                             ;   in Loop: Header=BB6_4406 Depth=4
	s_andn2_saveexec_b64 s[28:29], s[30:31]
	s_cbranch_execz .LBB6_5850
; %bb.5849:                             ;   in Loop: Header=BB6_4406 Depth=4
	v_or_b32_sdwa v4, v4, s86 dst_sel:DWORD dst_unused:UNUSED_PAD src0_sel:BYTE_3 src1_sel:DWORD
	buffer_store_dword v4, off, s[0:3], s33 offset:96 ; 4-byte Folded Spill
.LBB6_5850:                             ;   in Loop: Header=BB6_4406 Depth=4
	s_or_b64 exec, exec, s[28:29]
	v_lshrrev_b16_e32 v24, 8, v49
	v_cmp_ne_u16_e32 vcc, 0, v24
	v_mov_b32_e32 v4, 0
	v_mov_b32_e32 v5, 0
	s_and_saveexec_b64 s[28:29], vcc
	s_cbranch_execz .LBB6_5856
; %bb.5851:                             ;   in Loop: Header=BB6_4406 Depth=4
	v_cmp_ne_u16_e32 vcc, s96, v24
	v_bfrev_b32_e32 v5, 1
	s_and_saveexec_b64 s[30:31], vcc
	s_cbranch_execz .LBB6_5855
; %bb.5852:                             ;   in Loop: Header=BB6_4406 Depth=4
	v_and_b32_e32 v25, 0x7f, v24
	v_cmp_ne_u32_e32 vcc, s86, v25
	v_mov_b32_e32 v5, 0x7f800001
	s_and_saveexec_b64 s[34:35], vcc
	s_cbranch_execz .LBB6_5854
; %bb.5853:                             ;   in Loop: Header=BB6_4406 Depth=4
	v_and_b32_e32 v5, 7, v24
	v_lshrrev_b32_e32 v32, 3, v25
	v_cmp_gt_u32_e32 vcc, 8, v25
	v_ffbh_u32_e32 v25, v5
	v_min_u32_e32 v48, 32, v25
	v_subrev_u32_e32 v25, 28, v48
	v_lshlrev_b64 v[24:25], v25, v[24:25]
	v_sub_u32_e32 v25, 29, v48
	v_and_b32_e32 v24, 7, v24
	v_cndmask_b32_e32 v25, v32, v25, vcc
	v_cndmask_b32_e32 v5, v5, v24, vcc
	v_lshlrev_b32_e32 v24, 16, v49
	v_bfrev_b32_e32 v32, 60
	v_lshlrev_b32_e32 v5, 20, v5
	v_and_b32_e32 v24, 0x80000000, v24
	v_lshl_add_u32 v25, v25, 23, v32
	v_or3_b32 v5, v24, v25, v5
.LBB6_5854:                             ;   in Loop: Header=BB6_4406 Depth=4
	s_or_b64 exec, exec, s[34:35]
.LBB6_5855:                             ;   in Loop: Header=BB6_4406 Depth=4
	s_or_b64 exec, exec, s[30:31]
.LBB6_5856:                             ;   in Loop: Header=BB6_4406 Depth=4
	s_or_b64 exec, exec, s[28:29]
	v_lshrrev_b16_e32 v24, 8, v20
	v_cmp_ne_u16_e32 vcc, 0, v24
	s_and_saveexec_b64 s[28:29], vcc
	s_cbranch_execz .LBB6_5862
; %bb.5857:                             ;   in Loop: Header=BB6_4406 Depth=4
	v_cmp_ne_u16_e32 vcc, s96, v24
	v_bfrev_b32_e32 v4, 1
	s_and_saveexec_b64 s[30:31], vcc
	s_cbranch_execz .LBB6_5861
; %bb.5858:                             ;   in Loop: Header=BB6_4406 Depth=4
	v_and_b32_e32 v25, 0x7f, v24
	v_cmp_ne_u32_e32 vcc, s86, v25
	v_mov_b32_e32 v4, 0x7f800001
	s_and_saveexec_b64 s[34:35], vcc
	s_cbranch_execz .LBB6_5860
; %bb.5859:                             ;   in Loop: Header=BB6_4406 Depth=4
	v_and_b32_e32 v4, 7, v24
	v_lshrrev_b32_e32 v32, 3, v25
	v_cmp_gt_u32_e32 vcc, 8, v25
	v_ffbh_u32_e32 v25, v4
	v_min_u32_e32 v48, 32, v25
	v_subrev_u32_e32 v25, 28, v48
	v_lshlrev_b64 v[24:25], v25, v[24:25]
	v_sub_u32_e32 v25, 29, v48
	v_and_b32_e32 v24, 7, v24
	v_cndmask_b32_e32 v25, v32, v25, vcc
	v_cndmask_b32_e32 v4, v4, v24, vcc
	v_lshlrev_b32_e32 v24, 16, v20
	v_bfrev_b32_e32 v32, 60
	v_lshlrev_b32_e32 v4, 20, v4
	v_and_b32_e32 v24, 0x80000000, v24
	v_lshl_add_u32 v25, v25, 23, v32
	v_or3_b32 v4, v24, v25, v4
.LBB6_5860:                             ;   in Loop: Header=BB6_4406 Depth=4
	s_or_b64 exec, exec, s[34:35]
.LBB6_5861:                             ;   in Loop: Header=BB6_4406 Depth=4
	s_or_b64 exec, exec, s[30:31]
.LBB6_5862:                             ;   in Loop: Header=BB6_4406 Depth=4
	s_or_b64 exec, exec, s[28:29]
	v_add_f32_e32 v4, v5, v4
	v_and_b32_e32 v24, 0x7f800000, v4
	v_mov_b32_e32 v25, v51
	v_cmp_ne_u64_e32 vcc, s[76:77], v[24:25]
                                        ; implicit-def: $vgpr5
                                        ; kill: killed $vgpr5
	s_and_saveexec_b64 s[28:29], vcc
	s_xor_b64 s[30:31], exec, s[28:29]
	s_cbranch_execz .LBB6_5876
; %bb.5863:                             ;   in Loop: Header=BB6_4406 Depth=4
	v_and_b32_e32 v24, 0x7fffffff, v4
	v_mov_b32_e32 v25, v51
	v_cmp_gt_u64_e32 vcc, s[78:79], v[24:25]
	v_and_b32_sdwa v48, v4, s96 dst_sel:DWORD dst_unused:UNUSED_PAD src0_sel:BYTE_3 src1_sel:DWORD
                                        ; implicit-def: $vgpr5
                                        ; kill: killed $vgpr5
	s_and_saveexec_b64 s[28:29], vcc
	s_xor_b64 s[34:35], exec, s[28:29]
	s_cbranch_execz .LBB6_5873
; %bb.5864:                             ;   in Loop: Header=BB6_4406 Depth=4
	v_mov_b32_e32 v5, 0
	v_cmp_ne_u32_e32 vcc, 0, v4
	buffer_store_dword v5, off, s[0:3], s33 offset:100 ; 4-byte Folded Spill
	s_and_saveexec_b64 s[36:37], vcc
	s_cbranch_execz .LBB6_5872
; %bb.5865:                             ;   in Loop: Header=BB6_4406 Depth=4
	v_bfe_u32 v49, v4, 23, 8
	v_and_b32_e32 v5, 0x7fffff, v4
	v_cmp_gt_u32_e64 s[28:29], s97, v49
	v_sub_u32_e32 v4, 0x79, v49
	v_cmp_eq_u32_e32 vcc, 0, v49
	v_cndmask_b32_e64 v4, 0, v4, s[28:29]
	v_mov_b32_e32 v25, 0x78
	v_or_b32_e32 v24, 0x800000, v5
	v_cndmask_b32_e32 v32, v4, v25, vcc
	v_cndmask_b32_e32 v4, v24, v5, vcc
	v_add_u32_e32 v24, 20, v32
	v_lshlrev_b64 v[24:25], v24, -1
	v_add_u32_e32 v52, 19, v32
	v_mov_b32_e32 v0, v42
	v_mov_b32_e32 v53, v39
	;; [unrolled: 1-line block ×3, first 2 shown]
	v_lshlrev_b64 v[41:42], v52, 1
	v_mov_b32_e32 v5, v51
	v_bfi_b32 v25, v25, 0, 0
	v_bfi_b32 v24, v24, 0, v4
	v_cmp_eq_u64_e64 s[28:29], v[24:25], v[41:42]
	v_lshrrev_b64 v[24:25], v32, v[4:5]
	v_mov_b32_e32 v4, v24
	v_mov_b32_e32 v5, v25
	s_and_saveexec_b64 s[38:39], s[28:29]
; %bb.5866:                             ;   in Loop: Header=BB6_4406 Depth=4
	v_bfe_u32 v4, v24, 20, 1
	v_add_co_u32_e64 v4, s[28:29], v24, v4
	v_add_co_u32_e64 v4, s[28:29], -1, v4
; %bb.5867:                             ;   in Loop: Header=BB6_4406 Depth=4
	s_or_b64 exec, exec, s[38:39]
	v_add_u32_e32 v5, 0xffffff81, v49
	v_mov_b32_e32 v25, 0xffffff82
	v_cndmask_b32_e32 v5, v5, v25, vcc
	v_lshrrev_b32_e32 v25, 23, v24
	v_add3_u32 v32, v32, v5, v25
	v_add_u32_e32 v5, 6, v32
	v_and_b32_e32 v4, 0xfffff, v4
	v_add_u32_e32 v24, v4, v24
	v_mov_b32_e32 v25, v51
	v_cmp_ne_u32_e32 vcc, 0, v5
                                        ; implicit-def: $vgpr4
	s_and_saveexec_b64 s[28:29], vcc
	s_xor_b64 s[28:29], exec, s[28:29]
; %bb.5868:                             ;   in Loop: Header=BB6_4406 Depth=4
	v_cmp_lt_u64_e32 vcc, s[88:89], v[24:25]
	v_add_u32_e32 v4, 7, v32
	v_cndmask_b32_e32 v4, v5, v4, vcc
	v_cndmask_b32_e64 v5, 0, 1, vcc
	v_lshrrev_b64 v[24:25], v5, v[24:25]
; %bb.5869:                             ;   in Loop: Header=BB6_4406 Depth=4
	s_or_saveexec_b64 s[28:29], s[28:29]
	v_mov_b32_e32 v41, v39
	v_mov_b32_e32 v39, v53
	;; [unrolled: 1-line block ×3, first 2 shown]
	s_xor_b64 exec, exec, s[28:29]
; %bb.5870:                             ;   in Loop: Header=BB6_4406 Depth=4
	v_bfe_u32 v4, v24, 23, 1
; %bb.5871:                             ;   in Loop: Header=BB6_4406 Depth=4
	s_or_b64 exec, exec, s[28:29]
	v_lshrrev_b64 v[24:25], 20, v[24:25]
	v_cmp_gt_i32_e32 vcc, 16, v4
	v_cndmask_b32_e32 v25, 0, v25, vcc
	v_cndmask_b32_e32 v24, 7, v24, vcc
	v_cmp_eq_u32_e32 vcc, 0, v4
	v_min_i32_e32 v4, 15, v4
	v_cmp_eq_u64_e64 s[28:29], 0, v[24:25]
	v_lshlrev_b32_e32 v4, 3, v4
	v_and_b32_e32 v4, 0xf8, v4
	v_and_or_b32 v4, v24, 7, v4
	s_and_b64 s[28:29], vcc, s[28:29]
	v_cndmask_b32_e64 v4, v4, 0, s[28:29]
	v_or_b32_e32 v4, v4, v48
	buffer_store_dword v4, off, s[0:3], s33 offset:100 ; 4-byte Folded Spill
.LBB6_5872:                             ;   in Loop: Header=BB6_4406 Depth=4
	s_or_b64 exec, exec, s[36:37]
                                        ; implicit-def: $vgpr48
.LBB6_5873:                             ;   in Loop: Header=BB6_4406 Depth=4
	s_andn2_saveexec_b64 s[28:29], s[34:35]
	s_cbranch_execz .LBB6_5875
; %bb.5874:                             ;   in Loop: Header=BB6_4406 Depth=4
	v_or_b32_e32 v4, 0x7e, v48
	buffer_store_dword v4, off, s[0:3], s33 offset:100 ; 4-byte Folded Spill
.LBB6_5875:                             ;   in Loop: Header=BB6_4406 Depth=4
	s_or_b64 exec, exec, s[28:29]
                                        ; implicit-def: $vgpr4
.LBB6_5876:                             ;   in Loop: Header=BB6_4406 Depth=4
	s_andn2_saveexec_b64 s[28:29], s[30:31]
	s_cbranch_execz .LBB6_5878
; %bb.5877:                             ;   in Loop: Header=BB6_4406 Depth=4
	v_or_b32_sdwa v4, v4, s86 dst_sel:DWORD dst_unused:UNUSED_PAD src0_sel:BYTE_3 src1_sel:DWORD
	buffer_store_dword v4, off, s[0:3], s33 offset:100 ; 4-byte Folded Spill
.LBB6_5878:                             ;   in Loop: Header=BB6_4406 Depth=4
	s_or_b64 exec, exec, s[28:29]
	v_lshrrev_b32_e32 v24, 16, v50
	v_cmp_ne_u16_sdwa vcc, v24, v51 src0_sel:BYTE_0 src1_sel:DWORD
	v_mov_b32_e32 v4, 0
	v_mov_b32_e32 v5, 0
	s_and_saveexec_b64 s[28:29], vcc
	s_cbranch_execz .LBB6_5884
; %bb.5879:                             ;   in Loop: Header=BB6_4406 Depth=4
	v_cmp_ne_u16_sdwa vcc, v24, s96 src0_sel:BYTE_0 src1_sel:DWORD
	v_bfrev_b32_e32 v5, 1
	s_and_saveexec_b64 s[30:31], vcc
	s_cbranch_execz .LBB6_5883
; %bb.5880:                             ;   in Loop: Header=BB6_4406 Depth=4
	v_bfe_u32 v25, v50, 16, 7
	v_cmp_ne_u32_e32 vcc, s86, v25
	v_mov_b32_e32 v5, 0x7f800001
	s_and_saveexec_b64 s[34:35], vcc
	s_cbranch_execz .LBB6_5882
; %bb.5881:                             ;   in Loop: Header=BB6_4406 Depth=4
	v_and_b32_e32 v5, 7, v24
	v_lshrrev_b32_e32 v32, 3, v25
	v_cmp_gt_u32_e32 vcc, 8, v25
	v_ffbh_u32_e32 v25, v5
	v_min_u32_e32 v25, 32, v25
	v_subrev_u32_e32 v48, 28, v25
	v_lshlrev_b64 v[48:49], v48, v[24:25]
	v_sub_u32_e32 v25, 29, v25
	v_and_b32_e32 v48, 7, v48
	v_cndmask_b32_e32 v25, v32, v25, vcc
	v_cndmask_b32_e32 v5, v5, v48, vcc
	v_lshlrev_b32_e32 v24, 24, v24
	v_bfrev_b32_e32 v32, 60
	v_lshlrev_b32_e32 v5, 20, v5
	v_and_b32_e32 v24, 0x80000000, v24
	v_lshl_add_u32 v25, v25, 23, v32
	v_or3_b32 v5, v24, v25, v5
.LBB6_5882:                             ;   in Loop: Header=BB6_4406 Depth=4
	s_or_b64 exec, exec, s[34:35]
.LBB6_5883:                             ;   in Loop: Header=BB6_4406 Depth=4
	s_or_b64 exec, exec, s[30:31]
.LBB6_5884:                             ;   in Loop: Header=BB6_4406 Depth=4
	s_or_b64 exec, exec, s[28:29]
	v_lshrrev_b32_e32 v24, 16, v20
	v_cmp_ne_u16_sdwa vcc, v24, v51 src0_sel:BYTE_0 src1_sel:DWORD
	s_and_saveexec_b64 s[28:29], vcc
	s_cbranch_execz .LBB6_5890
; %bb.5885:                             ;   in Loop: Header=BB6_4406 Depth=4
	v_cmp_ne_u16_sdwa vcc, v24, s96 src0_sel:BYTE_0 src1_sel:DWORD
	v_bfrev_b32_e32 v4, 1
	s_and_saveexec_b64 s[30:31], vcc
	s_cbranch_execz .LBB6_5889
; %bb.5886:                             ;   in Loop: Header=BB6_4406 Depth=4
	v_bfe_u32 v25, v20, 16, 7
	v_cmp_ne_u32_e32 vcc, s86, v25
	v_mov_b32_e32 v4, 0x7f800001
	s_and_saveexec_b64 s[34:35], vcc
	s_cbranch_execz .LBB6_5888
; %bb.5887:                             ;   in Loop: Header=BB6_4406 Depth=4
	v_and_b32_e32 v4, 7, v24
	v_lshrrev_b32_e32 v32, 3, v25
	v_cmp_gt_u32_e32 vcc, 8, v25
	v_ffbh_u32_e32 v25, v4
	v_min_u32_e32 v48, 32, v25
	v_subrev_u32_e32 v25, 28, v48
	v_lshlrev_b64 v[24:25], v25, v[24:25]
	v_sub_u32_e32 v25, 29, v48
	v_and_b32_e32 v24, 7, v24
	v_cndmask_b32_e32 v25, v32, v25, vcc
	v_cndmask_b32_e32 v4, v4, v24, vcc
	v_lshlrev_b32_e32 v24, 8, v20
	v_bfrev_b32_e32 v32, 60
	v_lshlrev_b32_e32 v4, 20, v4
	v_and_b32_e32 v24, 0x80000000, v24
	v_lshl_add_u32 v25, v25, 23, v32
	v_or3_b32 v4, v24, v25, v4
.LBB6_5888:                             ;   in Loop: Header=BB6_4406 Depth=4
	s_or_b64 exec, exec, s[34:35]
.LBB6_5889:                             ;   in Loop: Header=BB6_4406 Depth=4
	s_or_b64 exec, exec, s[30:31]
.LBB6_5890:                             ;   in Loop: Header=BB6_4406 Depth=4
	s_or_b64 exec, exec, s[28:29]
	v_add_f32_e32 v4, v5, v4
	v_and_b32_e32 v24, 0x7f800000, v4
	v_mov_b32_e32 v25, v51
	v_cmp_ne_u64_e32 vcc, s[76:77], v[24:25]
                                        ; implicit-def: $vgpr5
                                        ; kill: killed $vgpr5
	s_and_saveexec_b64 s[28:29], vcc
	s_xor_b64 s[30:31], exec, s[28:29]
	s_cbranch_execz .LBB6_5904
; %bb.5891:                             ;   in Loop: Header=BB6_4406 Depth=4
	v_and_b32_e32 v24, 0x7fffffff, v4
	v_mov_b32_e32 v25, v51
	v_cmp_gt_u64_e32 vcc, s[78:79], v[24:25]
	v_and_b32_sdwa v48, v4, s96 dst_sel:DWORD dst_unused:UNUSED_PAD src0_sel:BYTE_3 src1_sel:DWORD
                                        ; implicit-def: $vgpr5
                                        ; kill: killed $vgpr5
	s_and_saveexec_b64 s[28:29], vcc
	s_xor_b64 s[34:35], exec, s[28:29]
	s_cbranch_execz .LBB6_5901
; %bb.5892:                             ;   in Loop: Header=BB6_4406 Depth=4
	v_mov_b32_e32 v5, 0
	v_cmp_ne_u32_e32 vcc, 0, v4
	buffer_store_dword v5, off, s[0:3], s33 offset:108 ; 4-byte Folded Spill
	s_and_saveexec_b64 s[36:37], vcc
	s_cbranch_execz .LBB6_5900
; %bb.5893:                             ;   in Loop: Header=BB6_4406 Depth=4
	v_bfe_u32 v49, v4, 23, 8
	v_and_b32_e32 v5, 0x7fffff, v4
	v_cmp_gt_u32_e64 s[28:29], s97, v49
	v_sub_u32_e32 v4, 0x79, v49
	v_cmp_eq_u32_e32 vcc, 0, v49
	v_cndmask_b32_e64 v4, 0, v4, s[28:29]
	v_mov_b32_e32 v25, 0x78
	v_or_b32_e32 v24, 0x800000, v5
	v_cndmask_b32_e32 v32, v4, v25, vcc
	v_cndmask_b32_e32 v4, v24, v5, vcc
	v_add_u32_e32 v24, 20, v32
	v_lshlrev_b64 v[24:25], v24, -1
	v_add_u32_e32 v52, 19, v32
	v_mov_b32_e32 v0, v42
	v_mov_b32_e32 v53, v39
	;; [unrolled: 1-line block ×3, first 2 shown]
	v_lshlrev_b64 v[41:42], v52, 1
	v_mov_b32_e32 v5, v51
	v_bfi_b32 v25, v25, 0, 0
	v_bfi_b32 v24, v24, 0, v4
	v_cmp_eq_u64_e64 s[28:29], v[24:25], v[41:42]
	v_lshrrev_b64 v[24:25], v32, v[4:5]
	v_mov_b32_e32 v4, v24
	v_mov_b32_e32 v5, v25
	s_and_saveexec_b64 s[38:39], s[28:29]
; %bb.5894:                             ;   in Loop: Header=BB6_4406 Depth=4
	v_bfe_u32 v4, v24, 20, 1
	v_add_co_u32_e64 v4, s[28:29], v24, v4
	v_add_co_u32_e64 v4, s[28:29], -1, v4
; %bb.5895:                             ;   in Loop: Header=BB6_4406 Depth=4
	s_or_b64 exec, exec, s[38:39]
	v_add_u32_e32 v5, 0xffffff81, v49
	v_mov_b32_e32 v25, 0xffffff82
	v_cndmask_b32_e32 v5, v5, v25, vcc
	v_lshrrev_b32_e32 v25, 23, v24
	v_add3_u32 v32, v32, v5, v25
	v_add_u32_e32 v5, 6, v32
	v_and_b32_e32 v4, 0xfffff, v4
	v_add_u32_e32 v24, v4, v24
	v_mov_b32_e32 v25, v51
	v_cmp_ne_u32_e32 vcc, 0, v5
                                        ; implicit-def: $vgpr4
	s_and_saveexec_b64 s[28:29], vcc
	s_xor_b64 s[28:29], exec, s[28:29]
; %bb.5896:                             ;   in Loop: Header=BB6_4406 Depth=4
	v_cmp_lt_u64_e32 vcc, s[88:89], v[24:25]
	v_add_u32_e32 v4, 7, v32
	v_cndmask_b32_e32 v4, v5, v4, vcc
	v_cndmask_b32_e64 v5, 0, 1, vcc
	v_lshrrev_b64 v[24:25], v5, v[24:25]
; %bb.5897:                             ;   in Loop: Header=BB6_4406 Depth=4
	s_or_saveexec_b64 s[28:29], s[28:29]
	v_mov_b32_e32 v41, v39
	v_mov_b32_e32 v39, v53
	;; [unrolled: 1-line block ×3, first 2 shown]
	s_xor_b64 exec, exec, s[28:29]
; %bb.5898:                             ;   in Loop: Header=BB6_4406 Depth=4
	v_bfe_u32 v4, v24, 23, 1
; %bb.5899:                             ;   in Loop: Header=BB6_4406 Depth=4
	s_or_b64 exec, exec, s[28:29]
	v_lshrrev_b64 v[24:25], 20, v[24:25]
	v_cmp_gt_i32_e32 vcc, 16, v4
	v_cndmask_b32_e32 v25, 0, v25, vcc
	v_cndmask_b32_e32 v24, 7, v24, vcc
	v_cmp_eq_u32_e32 vcc, 0, v4
	v_min_i32_e32 v4, 15, v4
	v_cmp_eq_u64_e64 s[28:29], 0, v[24:25]
	v_lshlrev_b32_e32 v4, 3, v4
	v_and_b32_e32 v4, 0xf8, v4
	v_and_or_b32 v4, v24, 7, v4
	s_and_b64 s[28:29], vcc, s[28:29]
	v_cndmask_b32_e64 v4, v4, 0, s[28:29]
	v_or_b32_e32 v4, v4, v48
	buffer_store_dword v4, off, s[0:3], s33 offset:108 ; 4-byte Folded Spill
.LBB6_5900:                             ;   in Loop: Header=BB6_4406 Depth=4
	s_or_b64 exec, exec, s[36:37]
                                        ; implicit-def: $vgpr48
.LBB6_5901:                             ;   in Loop: Header=BB6_4406 Depth=4
	s_andn2_saveexec_b64 s[28:29], s[34:35]
	s_cbranch_execz .LBB6_5903
; %bb.5902:                             ;   in Loop: Header=BB6_4406 Depth=4
	v_or_b32_e32 v4, 0x7e, v48
	buffer_store_dword v4, off, s[0:3], s33 offset:108 ; 4-byte Folded Spill
.LBB6_5903:                             ;   in Loop: Header=BB6_4406 Depth=4
	s_or_b64 exec, exec, s[28:29]
                                        ; implicit-def: $vgpr4
.LBB6_5904:                             ;   in Loop: Header=BB6_4406 Depth=4
	s_andn2_saveexec_b64 s[28:29], s[30:31]
	s_cbranch_execz .LBB6_5906
; %bb.5905:                             ;   in Loop: Header=BB6_4406 Depth=4
	v_or_b32_sdwa v4, v4, s86 dst_sel:DWORD dst_unused:UNUSED_PAD src0_sel:BYTE_3 src1_sel:DWORD
	buffer_store_dword v4, off, s[0:3], s33 offset:108 ; 4-byte Folded Spill
.LBB6_5906:                             ;   in Loop: Header=BB6_4406 Depth=4
	s_or_b64 exec, exec, s[28:29]
	v_cmp_lt_u32_e32 vcc, s57, v50
	v_mov_b32_e32 v4, 0
	v_mov_b32_e32 v5, 0
	s_and_saveexec_b64 s[28:29], vcc
	s_cbranch_execz .LBB6_5912
; %bb.5907:                             ;   in Loop: Header=BB6_4406 Depth=4
	v_lshrrev_b32_e32 v24, 24, v50
	v_cmp_ne_u32_sdwa vcc, v50, s96 src0_sel:BYTE_3 src1_sel:DWORD
	v_bfrev_b32_e32 v5, 1
	s_and_saveexec_b64 s[30:31], vcc
	s_cbranch_execz .LBB6_5911
; %bb.5908:                             ;   in Loop: Header=BB6_4406 Depth=4
	v_bfe_u32 v25, v50, 24, 7
	v_cmp_ne_u32_e32 vcc, s86, v25
	v_mov_b32_e32 v5, 0x7f800001
	s_and_saveexec_b64 s[34:35], vcc
	s_cbranch_execz .LBB6_5910
; %bb.5909:                             ;   in Loop: Header=BB6_4406 Depth=4
	v_and_b32_e32 v5, 7, v24
	v_lshrrev_b32_e32 v32, 3, v25
	v_cmp_gt_u32_e32 vcc, 8, v25
	v_ffbh_u32_e32 v25, v5
	v_min_u32_e32 v48, 32, v25
	v_subrev_u32_e32 v25, 28, v48
	v_lshlrev_b64 v[24:25], v25, v[24:25]
	v_sub_u32_e32 v25, 29, v48
	v_and_b32_e32 v24, 7, v24
	v_cndmask_b32_e32 v5, v5, v24, vcc
	v_mov_b32_e32 v24, 24
	v_cndmask_b32_e32 v25, v32, v25, vcc
	v_lshlrev_b32_sdwa v24, v24, v50 dst_sel:DWORD dst_unused:UNUSED_PAD src0_sel:DWORD src1_sel:BYTE_3
	v_bfrev_b32_e32 v32, 60
	v_lshlrev_b32_e32 v5, 20, v5
	v_and_b32_e32 v24, 0x80000000, v24
	v_lshl_add_u32 v25, v25, 23, v32
	v_or3_b32 v5, v24, v25, v5
.LBB6_5910:                             ;   in Loop: Header=BB6_4406 Depth=4
	s_or_b64 exec, exec, s[34:35]
.LBB6_5911:                             ;   in Loop: Header=BB6_4406 Depth=4
	s_or_b64 exec, exec, s[30:31]
.LBB6_5912:                             ;   in Loop: Header=BB6_4406 Depth=4
	s_or_b64 exec, exec, s[28:29]
	v_cmp_lt_u32_e32 vcc, s57, v20
	s_and_saveexec_b64 s[28:29], vcc
	s_cbranch_execz .LBB6_5918
; %bb.5913:                             ;   in Loop: Header=BB6_4406 Depth=4
	v_lshrrev_b32_e32 v24, 24, v20
	v_cmp_ne_u32_e32 vcc, s96, v24
	v_bfrev_b32_e32 v4, 1
	s_and_saveexec_b64 s[30:31], vcc
	s_cbranch_execz .LBB6_5917
; %bb.5914:                             ;   in Loop: Header=BB6_4406 Depth=4
	v_bfe_u32 v25, v20, 24, 7
	v_cmp_ne_u32_e32 vcc, s86, v25
	v_mov_b32_e32 v4, 0x7f800001
	s_and_saveexec_b64 s[34:35], vcc
	s_cbranch_execz .LBB6_5916
; %bb.5915:                             ;   in Loop: Header=BB6_4406 Depth=4
	v_and_b32_e32 v4, 7, v24
	v_lshrrev_b32_e32 v32, 3, v25
	v_cmp_gt_u32_e32 vcc, 8, v25
	v_ffbh_u32_e32 v25, v4
	v_min_u32_e32 v25, 32, v25
	v_subrev_u32_e32 v48, 28, v25
	v_lshlrev_b64 v[48:49], v48, v[24:25]
	v_sub_u32_e32 v25, 29, v25
	v_and_b32_e32 v48, 7, v48
	v_cndmask_b32_e32 v25, v32, v25, vcc
	v_cndmask_b32_e32 v4, v4, v48, vcc
	v_lshlrev_b32_e32 v24, 24, v24
	v_bfrev_b32_e32 v32, 60
	v_lshlrev_b32_e32 v4, 20, v4
	v_and_b32_e32 v24, 0x80000000, v24
	v_lshl_add_u32 v25, v25, 23, v32
	v_or3_b32 v4, v24, v25, v4
.LBB6_5916:                             ;   in Loop: Header=BB6_4406 Depth=4
	s_or_b64 exec, exec, s[34:35]
.LBB6_5917:                             ;   in Loop: Header=BB6_4406 Depth=4
	s_or_b64 exec, exec, s[30:31]
.LBB6_5918:                             ;   in Loop: Header=BB6_4406 Depth=4
	s_or_b64 exec, exec, s[28:29]
	v_add_f32_e32 v4, v5, v4
	v_and_b32_e32 v50, 0x7f800000, v4
	v_cmp_ne_u64_e32 vcc, s[76:77], v[50:51]
                                        ; implicit-def: $vgpr5
                                        ; kill: killed $vgpr5
	s_and_saveexec_b64 s[28:29], vcc
	s_xor_b64 s[30:31], exec, s[28:29]
	s_cbranch_execz .LBB6_5932
; %bb.5919:                             ;   in Loop: Header=BB6_4406 Depth=4
	v_and_b32_e32 v50, 0x7fffffff, v4
	v_cmp_gt_u64_e32 vcc, s[78:79], v[50:51]
	v_and_b32_sdwa v48, v4, s96 dst_sel:DWORD dst_unused:UNUSED_PAD src0_sel:BYTE_3 src1_sel:DWORD
                                        ; implicit-def: $vgpr5
                                        ; kill: killed $vgpr5
	s_and_saveexec_b64 s[28:29], vcc
	s_xor_b64 s[34:35], exec, s[28:29]
	s_cbranch_execz .LBB6_5929
; %bb.5920:                             ;   in Loop: Header=BB6_4406 Depth=4
	v_mov_b32_e32 v5, 0
	v_cmp_ne_u32_e32 vcc, 0, v4
	buffer_store_dword v5, off, s[0:3], s33 offset:124 ; 4-byte Folded Spill
	s_and_saveexec_b64 s[36:37], vcc
	s_cbranch_execz .LBB6_5928
; %bb.5921:                             ;   in Loop: Header=BB6_4406 Depth=4
	v_bfe_u32 v49, v4, 23, 8
	v_and_b32_e32 v5, 0x7fffff, v4
	v_cmp_gt_u32_e64 s[28:29], s97, v49
	v_sub_u32_e32 v4, 0x79, v49
	v_cmp_eq_u32_e32 vcc, 0, v49
	v_cndmask_b32_e64 v4, 0, v4, s[28:29]
	v_mov_b32_e32 v25, 0x78
	v_cndmask_b32_e32 v32, v4, v25, vcc
	v_or_b32_e32 v24, 0x800000, v5
	v_add_u32_e32 v4, 20, v32
	v_cndmask_b32_e32 v50, v24, v5, vcc
	v_lshlrev_b64 v[4:5], v4, -1
	v_add_u32_e32 v24, 19, v32
	v_lshlrev_b64 v[24:25], v24, 1
	v_bfi_b32 v5, v5, 0, 0
	v_bfi_b32 v4, v4, 0, v50
	v_cmp_eq_u64_e64 s[28:29], v[4:5], v[24:25]
	v_lshrrev_b64 v[24:25], v32, v[50:51]
	v_mov_b32_e32 v4, v24
	v_mov_b32_e32 v5, v25
	s_and_saveexec_b64 s[38:39], s[28:29]
; %bb.5922:                             ;   in Loop: Header=BB6_4406 Depth=4
	v_bfe_u32 v4, v24, 20, 1
	v_add_co_u32_e64 v4, s[28:29], v24, v4
	v_add_co_u32_e64 v4, s[28:29], -1, v4
; %bb.5923:                             ;   in Loop: Header=BB6_4406 Depth=4
	s_or_b64 exec, exec, s[38:39]
	v_add_u32_e32 v5, 0xffffff81, v49
	v_mov_b32_e32 v25, 0xffffff82
	v_cndmask_b32_e32 v5, v5, v25, vcc
	v_lshrrev_b32_e32 v25, 23, v24
	v_add3_u32 v32, v32, v5, v25
	v_add_u32_e32 v5, 6, v32
	v_and_b32_e32 v4, 0xfffff, v4
	v_add_u32_e32 v50, v4, v24
	v_cmp_ne_u32_e32 vcc, 0, v5
                                        ; implicit-def: $vgpr24_vgpr25
                                        ; implicit-def: $vgpr4
	s_and_saveexec_b64 s[28:29], vcc
	s_xor_b64 s[28:29], exec, s[28:29]
; %bb.5924:                             ;   in Loop: Header=BB6_4406 Depth=4
	v_cmp_lt_u64_e32 vcc, s[88:89], v[50:51]
	v_add_u32_e32 v4, 7, v32
	v_cndmask_b32_e32 v4, v5, v4, vcc
	v_cndmask_b32_e64 v5, 0, 1, vcc
	v_lshrrev_b64 v[24:25], v5, v[50:51]
; %bb.5925:                             ;   in Loop: Header=BB6_4406 Depth=4
	s_andn2_saveexec_b64 s[28:29], s[28:29]
; %bb.5926:                             ;   in Loop: Header=BB6_4406 Depth=4
	v_mov_b32_e32 v24, v50
	v_bfe_u32 v4, v50, 23, 1
	v_mov_b32_e32 v25, v51
; %bb.5927:                             ;   in Loop: Header=BB6_4406 Depth=4
	s_or_b64 exec, exec, s[28:29]
	v_lshrrev_b64 v[24:25], 20, v[24:25]
	v_cmp_gt_i32_e32 vcc, 16, v4
	v_cndmask_b32_e32 v25, 0, v25, vcc
	v_cndmask_b32_e32 v24, 7, v24, vcc
	v_cmp_eq_u32_e32 vcc, 0, v4
	v_min_i32_e32 v4, 15, v4
	v_cmp_eq_u64_e64 s[28:29], 0, v[24:25]
	v_lshlrev_b32_e32 v4, 3, v4
	v_and_b32_e32 v4, 0xf8, v4
	v_and_or_b32 v4, v24, 7, v4
	s_and_b64 s[28:29], vcc, s[28:29]
	v_cndmask_b32_e64 v4, v4, 0, s[28:29]
	v_or_b32_e32 v4, v4, v48
	buffer_store_dword v4, off, s[0:3], s33 offset:124 ; 4-byte Folded Spill
.LBB6_5928:                             ;   in Loop: Header=BB6_4406 Depth=4
	s_or_b64 exec, exec, s[36:37]
                                        ; implicit-def: $vgpr48
.LBB6_5929:                             ;   in Loop: Header=BB6_4406 Depth=4
	s_andn2_saveexec_b64 s[28:29], s[34:35]
	s_cbranch_execz .LBB6_5931
; %bb.5930:                             ;   in Loop: Header=BB6_4406 Depth=4
	v_or_b32_e32 v4, 0x7e, v48
	buffer_store_dword v4, off, s[0:3], s33 offset:124 ; 4-byte Folded Spill
.LBB6_5931:                             ;   in Loop: Header=BB6_4406 Depth=4
	s_or_b64 exec, exec, s[28:29]
                                        ; implicit-def: $vgpr4
.LBB6_5932:                             ;   in Loop: Header=BB6_4406 Depth=4
	s_andn2_saveexec_b64 s[28:29], s[30:31]
	s_cbranch_execz .LBB6_5934
; %bb.5933:                             ;   in Loop: Header=BB6_4406 Depth=4
	v_or_b32_sdwa v4, v4, s86 dst_sel:DWORD dst_unused:UNUSED_PAD src0_sel:BYTE_3 src1_sel:DWORD
	buffer_store_dword v4, off, s[0:3], s33 offset:124 ; 4-byte Folded Spill
.LBB6_5934:                             ;   in Loop: Header=BB6_4406 Depth=4
	s_or_b64 exec, exec, s[28:29]
	v_lshl_or_b32 v48, v47, 8, v38
	v_lshlrev_b32_e32 v4, 16, v56
	v_lshlrev_b32_e32 v5, 24, v59
	v_or3_b32 v50, v4, v5, v48
	v_cmp_ne_u32_e32 vcc, 0, v38
	v_mov_b32_e32 v5, 0
	v_mov_b32_e32 v4, 0
	s_and_saveexec_b64 s[28:29], vcc
	s_cbranch_execz .LBB6_5940
; %bb.5935:                             ;   in Loop: Header=BB6_4406 Depth=4
	v_cmp_ne_u32_e32 vcc, s96, v38
	v_bfrev_b32_e32 v4, 1
	s_and_saveexec_b64 s[30:31], vcc
	s_cbranch_execz .LBB6_5939
; %bb.5936:                             ;   in Loop: Header=BB6_4406 Depth=4
	v_and_b32_e32 v24, 0x7f, v38
	v_cmp_ne_u32_e32 vcc, s86, v24
	v_mov_b32_e32 v4, 0x7f800001
	s_and_saveexec_b64 s[34:35], vcc
	s_cbranch_execz .LBB6_5938
; %bb.5937:                             ;   in Loop: Header=BB6_4406 Depth=4
	v_and_b32_e32 v4, 7, v38
	v_ffbh_u32_e32 v4, v4
	v_min_u32_e32 v4, 32, v4
	v_lshrrev_b32_e32 v25, 3, v24
	v_cmp_gt_u32_e32 vcc, 8, v24
	v_subrev_u32_e32 v24, 28, v4
	v_sub_u32_e32 v4, 29, v4
	v_cndmask_b32_e32 v24, 0, v24, vcc
	v_cndmask_b32_e32 v4, v25, v4, vcc
	v_lshlrev_b64 v[24:25], v24, v[50:51]
	v_lshlrev_b32_e32 v25, 24, v50
	v_lshlrev_b32_e32 v24, 20, v24
	v_bfrev_b32_e32 v32, 60
	v_and_b32_e32 v24, 0x700000, v24
	v_and_b32_e32 v25, 0x80000000, v25
	v_lshl_add_u32 v4, v4, 23, v32
	v_or3_b32 v4, v25, v4, v24
.LBB6_5938:                             ;   in Loop: Header=BB6_4406 Depth=4
	s_or_b64 exec, exec, s[34:35]
.LBB6_5939:                             ;   in Loop: Header=BB6_4406 Depth=4
	s_or_b64 exec, exec, s[30:31]
.LBB6_5940:                             ;   in Loop: Header=BB6_4406 Depth=4
	s_or_b64 exec, exec, s[28:29]
	v_cmp_ne_u16_sdwa vcc, v21, v51 src0_sel:BYTE_0 src1_sel:DWORD
	s_and_saveexec_b64 s[28:29], vcc
	s_cbranch_execz .LBB6_5946
; %bb.5941:                             ;   in Loop: Header=BB6_4406 Depth=4
	v_cmp_ne_u16_sdwa vcc, v21, s96 src0_sel:BYTE_0 src1_sel:DWORD
	v_bfrev_b32_e32 v5, 1
	s_and_saveexec_b64 s[30:31], vcc
	s_cbranch_execz .LBB6_5945
; %bb.5942:                             ;   in Loop: Header=BB6_4406 Depth=4
	v_and_b32_e32 v24, 0x7f, v21
	v_cmp_ne_u32_e32 vcc, s86, v24
	v_mov_b32_e32 v5, 0x7f800001
	s_and_saveexec_b64 s[34:35], vcc
	s_cbranch_execz .LBB6_5944
; %bb.5943:                             ;   in Loop: Header=BB6_4406 Depth=4
	v_and_b32_e32 v5, 7, v21
	v_ffbh_u32_e32 v5, v5
	v_min_u32_e32 v5, 32, v5
	v_lshrrev_b32_e32 v25, 3, v24
	v_cmp_gt_u32_e32 vcc, 8, v24
	v_subrev_u32_e32 v24, 28, v5
	v_mov_b32_e32 v32, v41
	v_mov_b32_e32 v41, v21
	;; [unrolled: 1-line block ×4, first 2 shown]
	v_sub_u32_e32 v5, 29, v5
	v_cndmask_b32_e32 v24, 0, v24, vcc
	v_cndmask_b32_e32 v5, v25, v5, vcc
	v_lshlrev_b64 v[24:25], v24, v[41:42]
	v_lshlrev_b32_e32 v25, 24, v41
	v_lshlrev_b32_e32 v24, 20, v24
	v_mov_b32_e32 v41, v32
	v_bfrev_b32_e32 v32, 60
	v_and_b32_e32 v24, 0x700000, v24
	v_and_b32_e32 v25, 0x80000000, v25
	v_lshl_add_u32 v5, v5, 23, v32
	v_mov_b32_e32 v42, v0
	v_or3_b32 v5, v25, v5, v24
.LBB6_5944:                             ;   in Loop: Header=BB6_4406 Depth=4
	s_or_b64 exec, exec, s[34:35]
.LBB6_5945:                             ;   in Loop: Header=BB6_4406 Depth=4
	s_or_b64 exec, exec, s[30:31]
.LBB6_5946:                             ;   in Loop: Header=BB6_4406 Depth=4
	s_or_b64 exec, exec, s[28:29]
	v_add_f32_e32 v4, v4, v5
	v_and_b32_e32 v24, 0x7f800000, v4
	v_mov_b32_e32 v25, v51
	v_cmp_ne_u64_e32 vcc, s[76:77], v[24:25]
                                        ; implicit-def: $vgpr5
                                        ; kill: killed $vgpr5
	s_and_saveexec_b64 s[28:29], vcc
	s_xor_b64 s[30:31], exec, s[28:29]
	s_cbranch_execz .LBB6_5960
; %bb.5947:                             ;   in Loop: Header=BB6_4406 Depth=4
	v_and_b32_e32 v24, 0x7fffffff, v4
	v_mov_b32_e32 v25, v51
	v_cmp_gt_u64_e32 vcc, s[78:79], v[24:25]
	v_and_b32_sdwa v38, v4, s96 dst_sel:DWORD dst_unused:UNUSED_PAD src0_sel:BYTE_3 src1_sel:DWORD
                                        ; implicit-def: $vgpr5
                                        ; kill: killed $vgpr5
	s_and_saveexec_b64 s[28:29], vcc
	s_xor_b64 s[34:35], exec, s[28:29]
	s_cbranch_execz .LBB6_5957
; %bb.5948:                             ;   in Loop: Header=BB6_4406 Depth=4
	v_mov_b32_e32 v5, 0
	v_cmp_ne_u32_e32 vcc, 0, v4
	buffer_store_dword v5, off, s[0:3], s33 offset:144 ; 4-byte Folded Spill
	s_and_saveexec_b64 s[36:37], vcc
	s_cbranch_execz .LBB6_5956
; %bb.5949:                             ;   in Loop: Header=BB6_4406 Depth=4
	v_bfe_u32 v49, v4, 23, 8
	v_and_b32_e32 v5, 0x7fffff, v4
	v_cmp_gt_u32_e64 s[28:29], s97, v49
	v_sub_u32_e32 v4, 0x79, v49
	v_cmp_eq_u32_e32 vcc, 0, v49
	v_cndmask_b32_e64 v4, 0, v4, s[28:29]
	v_mov_b32_e32 v25, 0x78
	v_or_b32_e32 v24, 0x800000, v5
	v_cndmask_b32_e32 v32, v4, v25, vcc
	v_cndmask_b32_e32 v4, v24, v5, vcc
	v_add_u32_e32 v24, 20, v32
	v_lshlrev_b64 v[24:25], v24, -1
	v_add_u32_e32 v52, 19, v32
	v_mov_b32_e32 v0, v42
	v_mov_b32_e32 v53, v39
	;; [unrolled: 1-line block ×3, first 2 shown]
	v_lshlrev_b64 v[41:42], v52, 1
	v_mov_b32_e32 v5, v51
	v_bfi_b32 v25, v25, 0, 0
	v_bfi_b32 v24, v24, 0, v4
	v_cmp_eq_u64_e64 s[28:29], v[24:25], v[41:42]
	v_lshrrev_b64 v[24:25], v32, v[4:5]
	v_mov_b32_e32 v4, v24
	v_mov_b32_e32 v5, v25
	s_and_saveexec_b64 s[38:39], s[28:29]
; %bb.5950:                             ;   in Loop: Header=BB6_4406 Depth=4
	v_bfe_u32 v4, v24, 20, 1
	v_add_co_u32_e64 v4, s[28:29], v24, v4
	v_add_co_u32_e64 v4, s[28:29], -1, v4
; %bb.5951:                             ;   in Loop: Header=BB6_4406 Depth=4
	s_or_b64 exec, exec, s[38:39]
	v_add_u32_e32 v5, 0xffffff81, v49
	v_mov_b32_e32 v25, 0xffffff82
	v_cndmask_b32_e32 v5, v5, v25, vcc
	v_lshrrev_b32_e32 v25, 23, v24
	v_add3_u32 v32, v32, v5, v25
	v_add_u32_e32 v5, 6, v32
	v_and_b32_e32 v4, 0xfffff, v4
	v_add_u32_e32 v24, v4, v24
	v_mov_b32_e32 v25, v51
	v_cmp_ne_u32_e32 vcc, 0, v5
                                        ; implicit-def: $vgpr4
	s_and_saveexec_b64 s[28:29], vcc
	s_xor_b64 s[28:29], exec, s[28:29]
; %bb.5952:                             ;   in Loop: Header=BB6_4406 Depth=4
	v_cmp_lt_u64_e32 vcc, s[88:89], v[24:25]
	v_add_u32_e32 v4, 7, v32
	v_cndmask_b32_e32 v4, v5, v4, vcc
	v_cndmask_b32_e64 v5, 0, 1, vcc
	v_lshrrev_b64 v[24:25], v5, v[24:25]
; %bb.5953:                             ;   in Loop: Header=BB6_4406 Depth=4
	s_or_saveexec_b64 s[28:29], s[28:29]
	v_mov_b32_e32 v41, v39
	v_mov_b32_e32 v39, v53
	;; [unrolled: 1-line block ×3, first 2 shown]
	s_xor_b64 exec, exec, s[28:29]
; %bb.5954:                             ;   in Loop: Header=BB6_4406 Depth=4
	v_bfe_u32 v4, v24, 23, 1
; %bb.5955:                             ;   in Loop: Header=BB6_4406 Depth=4
	s_or_b64 exec, exec, s[28:29]
	v_lshrrev_b64 v[24:25], 20, v[24:25]
	v_cmp_gt_i32_e32 vcc, 16, v4
	v_cndmask_b32_e32 v25, 0, v25, vcc
	v_cndmask_b32_e32 v24, 7, v24, vcc
	v_cmp_eq_u32_e32 vcc, 0, v4
	v_min_i32_e32 v4, 15, v4
	v_cmp_eq_u64_e64 s[28:29], 0, v[24:25]
	v_lshlrev_b32_e32 v4, 3, v4
	v_and_b32_e32 v4, 0xf8, v4
	v_and_or_b32 v4, v24, 7, v4
	s_and_b64 s[28:29], vcc, s[28:29]
	v_cndmask_b32_e64 v4, v4, 0, s[28:29]
	v_or_b32_e32 v4, v4, v38
	buffer_store_dword v4, off, s[0:3], s33 offset:144 ; 4-byte Folded Spill
.LBB6_5956:                             ;   in Loop: Header=BB6_4406 Depth=4
	s_or_b64 exec, exec, s[36:37]
                                        ; implicit-def: $vgpr38
.LBB6_5957:                             ;   in Loop: Header=BB6_4406 Depth=4
	s_andn2_saveexec_b64 s[28:29], s[34:35]
	s_cbranch_execz .LBB6_5959
; %bb.5958:                             ;   in Loop: Header=BB6_4406 Depth=4
	v_or_b32_e32 v4, 0x7e, v38
	buffer_store_dword v4, off, s[0:3], s33 offset:144 ; 4-byte Folded Spill
.LBB6_5959:                             ;   in Loop: Header=BB6_4406 Depth=4
	s_or_b64 exec, exec, s[28:29]
                                        ; implicit-def: $vgpr4
.LBB6_5960:                             ;   in Loop: Header=BB6_4406 Depth=4
	s_andn2_saveexec_b64 s[28:29], s[30:31]
	s_cbranch_execz .LBB6_5962
; %bb.5961:                             ;   in Loop: Header=BB6_4406 Depth=4
	v_or_b32_sdwa v4, v4, s86 dst_sel:DWORD dst_unused:UNUSED_PAD src0_sel:BYTE_3 src1_sel:DWORD
	buffer_store_dword v4, off, s[0:3], s33 offset:144 ; 4-byte Folded Spill
.LBB6_5962:                             ;   in Loop: Header=BB6_4406 Depth=4
	s_or_b64 exec, exec, s[28:29]
	v_lshrrev_b16_e32 v24, 8, v48
	v_cmp_ne_u16_e32 vcc, 0, v24
	v_mov_b32_e32 v4, 0
	v_mov_b32_e32 v5, 0
	s_and_saveexec_b64 s[28:29], vcc
	s_cbranch_execz .LBB6_5968
; %bb.5963:                             ;   in Loop: Header=BB6_4406 Depth=4
	v_cmp_ne_u16_e32 vcc, s96, v24
	v_bfrev_b32_e32 v5, 1
	s_and_saveexec_b64 s[30:31], vcc
	s_cbranch_execz .LBB6_5967
; %bb.5964:                             ;   in Loop: Header=BB6_4406 Depth=4
	v_and_b32_e32 v25, 0x7f, v24
	v_cmp_ne_u32_e32 vcc, s86, v25
	v_mov_b32_e32 v5, 0x7f800001
	s_and_saveexec_b64 s[34:35], vcc
	s_cbranch_execz .LBB6_5966
; %bb.5965:                             ;   in Loop: Header=BB6_4406 Depth=4
	v_and_b32_e32 v5, 7, v24
	v_lshrrev_b32_e32 v32, 3, v25
	v_cmp_gt_u32_e32 vcc, 8, v25
	v_ffbh_u32_e32 v25, v5
	v_min_u32_e32 v38, 32, v25
	v_subrev_u32_e32 v25, 28, v38
	v_lshlrev_b64 v[24:25], v25, v[24:25]
	v_sub_u32_e32 v25, 29, v38
	v_and_b32_e32 v24, 7, v24
	v_cndmask_b32_e32 v25, v32, v25, vcc
	v_cndmask_b32_e32 v5, v5, v24, vcc
	v_lshlrev_b32_e32 v24, 16, v48
	v_bfrev_b32_e32 v32, 60
	v_lshlrev_b32_e32 v5, 20, v5
	v_and_b32_e32 v24, 0x80000000, v24
	v_lshl_add_u32 v25, v25, 23, v32
	v_or3_b32 v5, v24, v25, v5
.LBB6_5966:                             ;   in Loop: Header=BB6_4406 Depth=4
	s_or_b64 exec, exec, s[34:35]
.LBB6_5967:                             ;   in Loop: Header=BB6_4406 Depth=4
	s_or_b64 exec, exec, s[30:31]
.LBB6_5968:                             ;   in Loop: Header=BB6_4406 Depth=4
	s_or_b64 exec, exec, s[28:29]
	v_lshrrev_b16_e32 v24, 8, v21
	v_cmp_ne_u16_e32 vcc, 0, v24
	s_and_saveexec_b64 s[28:29], vcc
	s_cbranch_execz .LBB6_5974
; %bb.5969:                             ;   in Loop: Header=BB6_4406 Depth=4
	v_cmp_ne_u16_e32 vcc, s96, v24
	v_bfrev_b32_e32 v4, 1
	s_and_saveexec_b64 s[30:31], vcc
	s_cbranch_execz .LBB6_5973
; %bb.5970:                             ;   in Loop: Header=BB6_4406 Depth=4
	v_and_b32_e32 v25, 0x7f, v24
	v_cmp_ne_u32_e32 vcc, s86, v25
	v_mov_b32_e32 v4, 0x7f800001
	s_and_saveexec_b64 s[34:35], vcc
	s_cbranch_execz .LBB6_5972
; %bb.5971:                             ;   in Loop: Header=BB6_4406 Depth=4
	v_and_b32_e32 v4, 7, v24
	v_lshrrev_b32_e32 v32, 3, v25
	v_cmp_gt_u32_e32 vcc, 8, v25
	v_ffbh_u32_e32 v25, v4
	v_min_u32_e32 v38, 32, v25
	v_subrev_u32_e32 v25, 28, v38
	v_lshlrev_b64 v[24:25], v25, v[24:25]
	v_sub_u32_e32 v25, 29, v38
	v_and_b32_e32 v24, 7, v24
	v_cndmask_b32_e32 v25, v32, v25, vcc
	v_cndmask_b32_e32 v4, v4, v24, vcc
	v_lshlrev_b32_e32 v24, 16, v21
	v_bfrev_b32_e32 v32, 60
	v_lshlrev_b32_e32 v4, 20, v4
	v_and_b32_e32 v24, 0x80000000, v24
	v_lshl_add_u32 v25, v25, 23, v32
	v_or3_b32 v4, v24, v25, v4
.LBB6_5972:                             ;   in Loop: Header=BB6_4406 Depth=4
	s_or_b64 exec, exec, s[34:35]
.LBB6_5973:                             ;   in Loop: Header=BB6_4406 Depth=4
	s_or_b64 exec, exec, s[30:31]
.LBB6_5974:                             ;   in Loop: Header=BB6_4406 Depth=4
	s_or_b64 exec, exec, s[28:29]
	v_add_f32_e32 v4, v5, v4
	v_and_b32_e32 v24, 0x7f800000, v4
	v_mov_b32_e32 v25, v51
	v_cmp_ne_u64_e32 vcc, s[76:77], v[24:25]
                                        ; implicit-def: $vgpr5
                                        ; kill: killed $vgpr5
	s_and_saveexec_b64 s[28:29], vcc
	s_xor_b64 s[30:31], exec, s[28:29]
	s_cbranch_execz .LBB6_5988
; %bb.5975:                             ;   in Loop: Header=BB6_4406 Depth=4
	v_and_b32_e32 v24, 0x7fffffff, v4
	v_mov_b32_e32 v25, v51
	v_cmp_gt_u64_e32 vcc, s[78:79], v[24:25]
	v_and_b32_sdwa v38, v4, s96 dst_sel:DWORD dst_unused:UNUSED_PAD src0_sel:BYTE_3 src1_sel:DWORD
                                        ; implicit-def: $vgpr5
                                        ; kill: killed $vgpr5
	s_and_saveexec_b64 s[28:29], vcc
	s_xor_b64 s[34:35], exec, s[28:29]
	s_cbranch_execz .LBB6_5985
; %bb.5976:                             ;   in Loop: Header=BB6_4406 Depth=4
	v_mov_b32_e32 v5, 0
	v_cmp_ne_u32_e32 vcc, 0, v4
	buffer_store_dword v5, off, s[0:3], s33 offset:160 ; 4-byte Folded Spill
	s_and_saveexec_b64 s[36:37], vcc
	s_cbranch_execz .LBB6_5984
; %bb.5977:                             ;   in Loop: Header=BB6_4406 Depth=4
	v_bfe_u32 v48, v4, 23, 8
	v_and_b32_e32 v5, 0x7fffff, v4
	v_cmp_gt_u32_e64 s[28:29], s97, v48
	v_sub_u32_e32 v4, 0x79, v48
	v_cmp_eq_u32_e32 vcc, 0, v48
	v_cndmask_b32_e64 v4, 0, v4, s[28:29]
	v_mov_b32_e32 v25, 0x78
	v_or_b32_e32 v24, 0x800000, v5
	v_cndmask_b32_e32 v32, v4, v25, vcc
	v_cndmask_b32_e32 v4, v24, v5, vcc
	v_add_u32_e32 v24, 20, v32
	v_lshlrev_b64 v[24:25], v24, -1
	v_add_u32_e32 v49, 19, v32
	v_mov_b32_e32 v0, v42
	v_mov_b32_e32 v52, v39
	;; [unrolled: 1-line block ×3, first 2 shown]
	v_lshlrev_b64 v[41:42], v49, 1
	v_mov_b32_e32 v5, v51
	v_bfi_b32 v25, v25, 0, 0
	v_bfi_b32 v24, v24, 0, v4
	v_cmp_eq_u64_e64 s[28:29], v[24:25], v[41:42]
	v_lshrrev_b64 v[24:25], v32, v[4:5]
	v_mov_b32_e32 v4, v24
	v_mov_b32_e32 v5, v25
	s_and_saveexec_b64 s[38:39], s[28:29]
; %bb.5978:                             ;   in Loop: Header=BB6_4406 Depth=4
	v_bfe_u32 v4, v24, 20, 1
	v_add_co_u32_e64 v4, s[28:29], v24, v4
	v_add_co_u32_e64 v4, s[28:29], -1, v4
; %bb.5979:                             ;   in Loop: Header=BB6_4406 Depth=4
	s_or_b64 exec, exec, s[38:39]
	v_add_u32_e32 v5, 0xffffff81, v48
	v_mov_b32_e32 v25, 0xffffff82
	v_cndmask_b32_e32 v5, v5, v25, vcc
	v_lshrrev_b32_e32 v25, 23, v24
	v_add3_u32 v32, v32, v5, v25
	v_add_u32_e32 v5, 6, v32
	v_and_b32_e32 v4, 0xfffff, v4
	v_add_u32_e32 v24, v4, v24
	v_mov_b32_e32 v25, v51
	v_cmp_ne_u32_e32 vcc, 0, v5
                                        ; implicit-def: $vgpr4
	s_and_saveexec_b64 s[28:29], vcc
	s_xor_b64 s[28:29], exec, s[28:29]
; %bb.5980:                             ;   in Loop: Header=BB6_4406 Depth=4
	v_cmp_lt_u64_e32 vcc, s[88:89], v[24:25]
	v_add_u32_e32 v4, 7, v32
	v_cndmask_b32_e32 v4, v5, v4, vcc
	v_cndmask_b32_e64 v5, 0, 1, vcc
	v_lshrrev_b64 v[24:25], v5, v[24:25]
; %bb.5981:                             ;   in Loop: Header=BB6_4406 Depth=4
	s_or_saveexec_b64 s[28:29], s[28:29]
	v_mov_b32_e32 v41, v39
	v_mov_b32_e32 v39, v52
	;; [unrolled: 1-line block ×3, first 2 shown]
	s_xor_b64 exec, exec, s[28:29]
; %bb.5982:                             ;   in Loop: Header=BB6_4406 Depth=4
	v_bfe_u32 v4, v24, 23, 1
; %bb.5983:                             ;   in Loop: Header=BB6_4406 Depth=4
	s_or_b64 exec, exec, s[28:29]
	v_lshrrev_b64 v[24:25], 20, v[24:25]
	v_cmp_gt_i32_e32 vcc, 16, v4
	v_cndmask_b32_e32 v25, 0, v25, vcc
	v_cndmask_b32_e32 v24, 7, v24, vcc
	v_cmp_eq_u32_e32 vcc, 0, v4
	v_min_i32_e32 v4, 15, v4
	v_cmp_eq_u64_e64 s[28:29], 0, v[24:25]
	v_lshlrev_b32_e32 v4, 3, v4
	v_and_b32_e32 v4, 0xf8, v4
	v_and_or_b32 v4, v24, 7, v4
	s_and_b64 s[28:29], vcc, s[28:29]
	v_cndmask_b32_e64 v4, v4, 0, s[28:29]
	v_or_b32_e32 v4, v4, v38
	buffer_store_dword v4, off, s[0:3], s33 offset:160 ; 4-byte Folded Spill
.LBB6_5984:                             ;   in Loop: Header=BB6_4406 Depth=4
	s_or_b64 exec, exec, s[36:37]
                                        ; implicit-def: $vgpr38
.LBB6_5985:                             ;   in Loop: Header=BB6_4406 Depth=4
	s_andn2_saveexec_b64 s[28:29], s[34:35]
	s_cbranch_execz .LBB6_5987
; %bb.5986:                             ;   in Loop: Header=BB6_4406 Depth=4
	v_or_b32_e32 v4, 0x7e, v38
	buffer_store_dword v4, off, s[0:3], s33 offset:160 ; 4-byte Folded Spill
.LBB6_5987:                             ;   in Loop: Header=BB6_4406 Depth=4
	s_or_b64 exec, exec, s[28:29]
                                        ; implicit-def: $vgpr4
.LBB6_5988:                             ;   in Loop: Header=BB6_4406 Depth=4
	s_andn2_saveexec_b64 s[28:29], s[30:31]
	s_cbranch_execz .LBB6_5990
; %bb.5989:                             ;   in Loop: Header=BB6_4406 Depth=4
	v_or_b32_sdwa v4, v4, s86 dst_sel:DWORD dst_unused:UNUSED_PAD src0_sel:BYTE_3 src1_sel:DWORD
	buffer_store_dword v4, off, s[0:3], s33 offset:160 ; 4-byte Folded Spill
.LBB6_5990:                             ;   in Loop: Header=BB6_4406 Depth=4
	s_or_b64 exec, exec, s[28:29]
	v_lshrrev_b32_e32 v24, 16, v50
	v_cmp_ne_u16_sdwa vcc, v24, v51 src0_sel:BYTE_0 src1_sel:DWORD
	v_mov_b32_e32 v4, 0
	v_mov_b32_e32 v5, 0
	s_and_saveexec_b64 s[28:29], vcc
	s_cbranch_execz .LBB6_5996
; %bb.5991:                             ;   in Loop: Header=BB6_4406 Depth=4
	v_cmp_ne_u16_sdwa vcc, v24, s96 src0_sel:BYTE_0 src1_sel:DWORD
	v_bfrev_b32_e32 v5, 1
	s_and_saveexec_b64 s[30:31], vcc
	s_cbranch_execz .LBB6_5995
; %bb.5992:                             ;   in Loop: Header=BB6_4406 Depth=4
	v_bfe_u32 v25, v50, 16, 7
	v_cmp_ne_u32_e32 vcc, s86, v25
	v_mov_b32_e32 v5, 0x7f800001
	s_and_saveexec_b64 s[34:35], vcc
	s_cbranch_execz .LBB6_5994
; %bb.5993:                             ;   in Loop: Header=BB6_4406 Depth=4
	v_and_b32_e32 v5, 7, v24
	v_lshrrev_b32_e32 v32, 3, v25
	v_cmp_gt_u32_e32 vcc, 8, v25
	v_ffbh_u32_e32 v25, v5
	v_min_u32_e32 v25, 32, v25
	v_subrev_u32_e32 v38, 28, v25
	v_lshlrev_b64 v[48:49], v38, v[24:25]
	v_sub_u32_e32 v25, 29, v25
	v_and_b32_e32 v38, 7, v48
	v_cndmask_b32_e32 v25, v32, v25, vcc
	v_cndmask_b32_e32 v5, v5, v38, vcc
	v_lshlrev_b32_e32 v24, 24, v24
	v_bfrev_b32_e32 v32, 60
	v_lshlrev_b32_e32 v5, 20, v5
	v_and_b32_e32 v24, 0x80000000, v24
	v_lshl_add_u32 v25, v25, 23, v32
	v_or3_b32 v5, v24, v25, v5
.LBB6_5994:                             ;   in Loop: Header=BB6_4406 Depth=4
	s_or_b64 exec, exec, s[34:35]
.LBB6_5995:                             ;   in Loop: Header=BB6_4406 Depth=4
	s_or_b64 exec, exec, s[30:31]
.LBB6_5996:                             ;   in Loop: Header=BB6_4406 Depth=4
	s_or_b64 exec, exec, s[28:29]
	v_lshrrev_b32_e32 v24, 16, v21
	v_cmp_ne_u16_sdwa vcc, v24, v51 src0_sel:BYTE_0 src1_sel:DWORD
	s_and_saveexec_b64 s[28:29], vcc
	s_cbranch_execz .LBB6_6002
; %bb.5997:                             ;   in Loop: Header=BB6_4406 Depth=4
	v_cmp_ne_u16_sdwa vcc, v24, s96 src0_sel:BYTE_0 src1_sel:DWORD
	v_bfrev_b32_e32 v4, 1
	s_and_saveexec_b64 s[30:31], vcc
	s_cbranch_execz .LBB6_6001
; %bb.5998:                             ;   in Loop: Header=BB6_4406 Depth=4
	v_bfe_u32 v25, v21, 16, 7
	v_cmp_ne_u32_e32 vcc, s86, v25
	v_mov_b32_e32 v4, 0x7f800001
	s_and_saveexec_b64 s[34:35], vcc
	s_cbranch_execz .LBB6_6000
; %bb.5999:                             ;   in Loop: Header=BB6_4406 Depth=4
	v_and_b32_e32 v4, 7, v24
	v_lshrrev_b32_e32 v32, 3, v25
	v_cmp_gt_u32_e32 vcc, 8, v25
	v_ffbh_u32_e32 v25, v4
	v_min_u32_e32 v38, 32, v25
	v_subrev_u32_e32 v25, 28, v38
	v_lshlrev_b64 v[24:25], v25, v[24:25]
	v_sub_u32_e32 v25, 29, v38
	v_and_b32_e32 v24, 7, v24
	v_cndmask_b32_e32 v25, v32, v25, vcc
	v_cndmask_b32_e32 v4, v4, v24, vcc
	v_lshlrev_b32_e32 v24, 8, v21
	v_bfrev_b32_e32 v32, 60
	v_lshlrev_b32_e32 v4, 20, v4
	v_and_b32_e32 v24, 0x80000000, v24
	v_lshl_add_u32 v25, v25, 23, v32
	v_or3_b32 v4, v24, v25, v4
.LBB6_6000:                             ;   in Loop: Header=BB6_4406 Depth=4
	s_or_b64 exec, exec, s[34:35]
.LBB6_6001:                             ;   in Loop: Header=BB6_4406 Depth=4
	s_or_b64 exec, exec, s[30:31]
.LBB6_6002:                             ;   in Loop: Header=BB6_4406 Depth=4
	s_or_b64 exec, exec, s[28:29]
	v_add_f32_e32 v4, v5, v4
	v_and_b32_e32 v24, 0x7f800000, v4
	v_mov_b32_e32 v25, v51
	v_cmp_ne_u64_e32 vcc, s[76:77], v[24:25]
                                        ; implicit-def: $vgpr5
                                        ; kill: killed $vgpr5
	s_and_saveexec_b64 s[28:29], vcc
	s_xor_b64 s[30:31], exec, s[28:29]
	s_cbranch_execz .LBB6_6016
; %bb.6003:                             ;   in Loop: Header=BB6_4406 Depth=4
	v_and_b32_e32 v24, 0x7fffffff, v4
	v_mov_b32_e32 v25, v51
	v_cmp_gt_u64_e32 vcc, s[78:79], v[24:25]
	v_and_b32_sdwa v38, v4, s96 dst_sel:DWORD dst_unused:UNUSED_PAD src0_sel:BYTE_3 src1_sel:DWORD
                                        ; implicit-def: $vgpr5
                                        ; kill: killed $vgpr5
	s_and_saveexec_b64 s[28:29], vcc
	s_xor_b64 s[34:35], exec, s[28:29]
	s_cbranch_execz .LBB6_6013
; %bb.6004:                             ;   in Loop: Header=BB6_4406 Depth=4
	v_mov_b32_e32 v5, 0
	v_cmp_ne_u32_e32 vcc, 0, v4
	buffer_store_dword v5, off, s[0:3], s33 offset:180 ; 4-byte Folded Spill
	s_and_saveexec_b64 s[36:37], vcc
	s_cbranch_execz .LBB6_6012
; %bb.6005:                             ;   in Loop: Header=BB6_4406 Depth=4
	v_bfe_u32 v48, v4, 23, 8
	v_and_b32_e32 v5, 0x7fffff, v4
	v_cmp_gt_u32_e64 s[28:29], s97, v48
	v_sub_u32_e32 v4, 0x79, v48
	v_cmp_eq_u32_e32 vcc, 0, v48
	v_cndmask_b32_e64 v4, 0, v4, s[28:29]
	v_mov_b32_e32 v25, 0x78
	v_or_b32_e32 v24, 0x800000, v5
	v_cndmask_b32_e32 v32, v4, v25, vcc
	v_cndmask_b32_e32 v4, v24, v5, vcc
	v_add_u32_e32 v24, 20, v32
	v_lshlrev_b64 v[24:25], v24, -1
	v_add_u32_e32 v49, 19, v32
	v_mov_b32_e32 v0, v42
	v_mov_b32_e32 v52, v39
	v_mov_b32_e32 v39, v41
	v_lshlrev_b64 v[41:42], v49, 1
	v_mov_b32_e32 v5, v51
	v_bfi_b32 v25, v25, 0, 0
	v_bfi_b32 v24, v24, 0, v4
	v_cmp_eq_u64_e64 s[28:29], v[24:25], v[41:42]
	v_lshrrev_b64 v[24:25], v32, v[4:5]
	v_mov_b32_e32 v4, v24
	v_mov_b32_e32 v5, v25
	s_and_saveexec_b64 s[38:39], s[28:29]
; %bb.6006:                             ;   in Loop: Header=BB6_4406 Depth=4
	v_bfe_u32 v4, v24, 20, 1
	v_add_co_u32_e64 v4, s[28:29], v24, v4
	v_add_co_u32_e64 v4, s[28:29], -1, v4
; %bb.6007:                             ;   in Loop: Header=BB6_4406 Depth=4
	s_or_b64 exec, exec, s[38:39]
	v_add_u32_e32 v5, 0xffffff81, v48
	v_mov_b32_e32 v25, 0xffffff82
	v_cndmask_b32_e32 v5, v5, v25, vcc
	v_lshrrev_b32_e32 v25, 23, v24
	v_add3_u32 v32, v32, v5, v25
	v_add_u32_e32 v5, 6, v32
	v_and_b32_e32 v4, 0xfffff, v4
	v_add_u32_e32 v24, v4, v24
	v_mov_b32_e32 v25, v51
	v_cmp_ne_u32_e32 vcc, 0, v5
                                        ; implicit-def: $vgpr4
	s_and_saveexec_b64 s[28:29], vcc
	s_xor_b64 s[28:29], exec, s[28:29]
; %bb.6008:                             ;   in Loop: Header=BB6_4406 Depth=4
	v_cmp_lt_u64_e32 vcc, s[88:89], v[24:25]
	v_add_u32_e32 v4, 7, v32
	v_cndmask_b32_e32 v4, v5, v4, vcc
	v_cndmask_b32_e64 v5, 0, 1, vcc
	v_lshrrev_b64 v[24:25], v5, v[24:25]
; %bb.6009:                             ;   in Loop: Header=BB6_4406 Depth=4
	s_or_saveexec_b64 s[28:29], s[28:29]
	v_mov_b32_e32 v41, v39
	v_mov_b32_e32 v39, v52
	v_mov_b32_e32 v42, v0
	s_xor_b64 exec, exec, s[28:29]
; %bb.6010:                             ;   in Loop: Header=BB6_4406 Depth=4
	v_bfe_u32 v4, v24, 23, 1
; %bb.6011:                             ;   in Loop: Header=BB6_4406 Depth=4
	s_or_b64 exec, exec, s[28:29]
	v_lshrrev_b64 v[24:25], 20, v[24:25]
	v_cmp_gt_i32_e32 vcc, 16, v4
	v_cndmask_b32_e32 v25, 0, v25, vcc
	v_cndmask_b32_e32 v24, 7, v24, vcc
	v_cmp_eq_u32_e32 vcc, 0, v4
	v_min_i32_e32 v4, 15, v4
	v_cmp_eq_u64_e64 s[28:29], 0, v[24:25]
	v_lshlrev_b32_e32 v4, 3, v4
	v_and_b32_e32 v4, 0xf8, v4
	v_and_or_b32 v4, v24, 7, v4
	s_and_b64 s[28:29], vcc, s[28:29]
	v_cndmask_b32_e64 v4, v4, 0, s[28:29]
	v_or_b32_e32 v4, v4, v38
	buffer_store_dword v4, off, s[0:3], s33 offset:180 ; 4-byte Folded Spill
.LBB6_6012:                             ;   in Loop: Header=BB6_4406 Depth=4
	s_or_b64 exec, exec, s[36:37]
                                        ; implicit-def: $vgpr38
.LBB6_6013:                             ;   in Loop: Header=BB6_4406 Depth=4
	s_andn2_saveexec_b64 s[28:29], s[34:35]
	s_cbranch_execz .LBB6_6015
; %bb.6014:                             ;   in Loop: Header=BB6_4406 Depth=4
	v_or_b32_e32 v4, 0x7e, v38
	buffer_store_dword v4, off, s[0:3], s33 offset:180 ; 4-byte Folded Spill
.LBB6_6015:                             ;   in Loop: Header=BB6_4406 Depth=4
	s_or_b64 exec, exec, s[28:29]
                                        ; implicit-def: $vgpr4
.LBB6_6016:                             ;   in Loop: Header=BB6_4406 Depth=4
	s_andn2_saveexec_b64 s[28:29], s[30:31]
	s_cbranch_execz .LBB6_6018
; %bb.6017:                             ;   in Loop: Header=BB6_4406 Depth=4
	v_or_b32_sdwa v4, v4, s86 dst_sel:DWORD dst_unused:UNUSED_PAD src0_sel:BYTE_3 src1_sel:DWORD
	buffer_store_dword v4, off, s[0:3], s33 offset:180 ; 4-byte Folded Spill
.LBB6_6018:                             ;   in Loop: Header=BB6_4406 Depth=4
	s_or_b64 exec, exec, s[28:29]
	v_cmp_lt_u32_e32 vcc, s57, v50
	v_mov_b32_e32 v4, 0
	v_mov_b32_e32 v5, 0
	s_and_saveexec_b64 s[28:29], vcc
	s_cbranch_execz .LBB6_6024
; %bb.6019:                             ;   in Loop: Header=BB6_4406 Depth=4
	v_lshrrev_b32_e32 v24, 24, v50
	v_cmp_ne_u32_sdwa vcc, v50, s96 src0_sel:BYTE_3 src1_sel:DWORD
	v_bfrev_b32_e32 v5, 1
	s_and_saveexec_b64 s[30:31], vcc
	s_cbranch_execz .LBB6_6023
; %bb.6020:                             ;   in Loop: Header=BB6_4406 Depth=4
	v_bfe_u32 v25, v50, 24, 7
	v_cmp_ne_u32_e32 vcc, s86, v25
	v_mov_b32_e32 v5, 0x7f800001
	s_and_saveexec_b64 s[34:35], vcc
	s_cbranch_execz .LBB6_6022
; %bb.6021:                             ;   in Loop: Header=BB6_4406 Depth=4
	v_and_b32_e32 v5, 7, v24
	v_lshrrev_b32_e32 v32, 3, v25
	v_cmp_gt_u32_e32 vcc, 8, v25
	v_ffbh_u32_e32 v25, v5
	v_min_u32_e32 v38, 32, v25
	v_subrev_u32_e32 v25, 28, v38
	v_lshlrev_b64 v[24:25], v25, v[24:25]
	v_sub_u32_e32 v25, 29, v38
	v_and_b32_e32 v24, 7, v24
	v_cndmask_b32_e32 v5, v5, v24, vcc
	v_mov_b32_e32 v24, 24
	v_cndmask_b32_e32 v25, v32, v25, vcc
	v_lshlrev_b32_sdwa v24, v24, v50 dst_sel:DWORD dst_unused:UNUSED_PAD src0_sel:DWORD src1_sel:BYTE_3
	v_bfrev_b32_e32 v32, 60
	v_lshlrev_b32_e32 v5, 20, v5
	v_and_b32_e32 v24, 0x80000000, v24
	v_lshl_add_u32 v25, v25, 23, v32
	v_or3_b32 v5, v24, v25, v5
.LBB6_6022:                             ;   in Loop: Header=BB6_4406 Depth=4
	s_or_b64 exec, exec, s[34:35]
.LBB6_6023:                             ;   in Loop: Header=BB6_4406 Depth=4
	s_or_b64 exec, exec, s[30:31]
.LBB6_6024:                             ;   in Loop: Header=BB6_4406 Depth=4
	s_or_b64 exec, exec, s[28:29]
	v_cmp_lt_u64_e32 vcc, s[56:57], v[20:21]
	s_and_saveexec_b64 s[28:29], vcc
	s_cbranch_execz .LBB6_6030
; %bb.6025:                             ;   in Loop: Header=BB6_4406 Depth=4
	v_lshrrev_b32_e32 v20, 24, v21
	v_cmp_ne_u32_e32 vcc, s96, v20
	v_bfrev_b32_e32 v4, 1
	s_and_saveexec_b64 s[30:31], vcc
	s_cbranch_execz .LBB6_6029
; %bb.6026:                             ;   in Loop: Header=BB6_4406 Depth=4
	v_bfe_u32 v21, v21, 24, 7
	v_cmp_ne_u32_e32 vcc, s86, v21
	v_mov_b32_e32 v4, 0x7f800001
	s_and_saveexec_b64 s[34:35], vcc
	s_cbranch_execz .LBB6_6028
; %bb.6027:                             ;   in Loop: Header=BB6_4406 Depth=4
	v_and_b32_e32 v4, 7, v20
	v_lshrrev_b32_e32 v32, 3, v21
	v_cmp_gt_u32_e32 vcc, 8, v21
	v_ffbh_u32_e32 v21, v4
	v_min_u32_e32 v21, 32, v21
	v_subrev_u32_e32 v24, 28, v21
	v_lshlrev_b64 v[24:25], v24, v[20:21]
	v_sub_u32_e32 v21, 29, v21
	v_and_b32_e32 v24, 7, v24
	v_cndmask_b32_e32 v21, v32, v21, vcc
	v_cndmask_b32_e32 v4, v4, v24, vcc
	v_lshlrev_b32_e32 v20, 24, v20
	v_bfrev_b32_e32 v24, 60
	v_lshlrev_b32_e32 v4, 20, v4
	v_and_b32_e32 v20, 0x80000000, v20
	v_lshl_add_u32 v21, v21, 23, v24
	v_or3_b32 v4, v20, v21, v4
.LBB6_6028:                             ;   in Loop: Header=BB6_4406 Depth=4
	s_or_b64 exec, exec, s[34:35]
.LBB6_6029:                             ;   in Loop: Header=BB6_4406 Depth=4
	s_or_b64 exec, exec, s[30:31]
.LBB6_6030:                             ;   in Loop: Header=BB6_4406 Depth=4
	s_or_b64 exec, exec, s[28:29]
	v_add_f32_e32 v4, v5, v4
	v_and_b32_e32 v50, 0x7f800000, v4
	v_cmp_ne_u64_e32 vcc, s[76:77], v[50:51]
                                        ; implicit-def: $vgpr5
                                        ; kill: killed $vgpr5
	s_and_saveexec_b64 s[28:29], vcc
	s_xor_b64 s[30:31], exec, s[28:29]
	s_cbranch_execz .LBB6_6044
; %bb.6031:                             ;   in Loop: Header=BB6_4406 Depth=4
	v_and_b32_e32 v50, 0x7fffffff, v4
	v_cmp_gt_u64_e32 vcc, s[78:79], v[50:51]
	v_and_b32_sdwa v24, v4, s96 dst_sel:DWORD dst_unused:UNUSED_PAD src0_sel:BYTE_3 src1_sel:DWORD
                                        ; implicit-def: $vgpr5
                                        ; kill: killed $vgpr5
	s_and_saveexec_b64 s[28:29], vcc
	s_xor_b64 s[34:35], exec, s[28:29]
	s_cbranch_execz .LBB6_6041
; %bb.6032:                             ;   in Loop: Header=BB6_4406 Depth=4
	v_mov_b32_e32 v5, 0
	v_cmp_ne_u32_e32 vcc, 0, v4
	buffer_store_dword v5, off, s[0:3], s33 offset:200 ; 4-byte Folded Spill
	s_and_saveexec_b64 s[36:37], vcc
	s_cbranch_execz .LBB6_6040
; %bb.6033:                             ;   in Loop: Header=BB6_4406 Depth=4
	v_bfe_u32 v25, v4, 23, 8
	v_and_b32_e32 v5, 0x7fffff, v4
	v_cmp_gt_u32_e64 s[28:29], s97, v25
	v_sub_u32_e32 v4, 0x79, v25
	v_cmp_eq_u32_e32 vcc, 0, v25
	v_cndmask_b32_e64 v4, 0, v4, s[28:29]
	v_mov_b32_e32 v21, 0x78
	v_cndmask_b32_e32 v32, v4, v21, vcc
	v_or_b32_e32 v20, 0x800000, v5
	v_add_u32_e32 v4, 20, v32
	v_cndmask_b32_e32 v50, v20, v5, vcc
	v_lshlrev_b64 v[4:5], v4, -1
	v_add_u32_e32 v20, 19, v32
	v_lshlrev_b64 v[20:21], v20, 1
	v_bfi_b32 v5, v5, 0, 0
	v_bfi_b32 v4, v4, 0, v50
	v_cmp_eq_u64_e64 s[28:29], v[4:5], v[20:21]
	v_lshrrev_b64 v[20:21], v32, v[50:51]
	v_mov_b32_e32 v4, v20
	v_mov_b32_e32 v5, v21
	s_and_saveexec_b64 s[38:39], s[28:29]
; %bb.6034:                             ;   in Loop: Header=BB6_4406 Depth=4
	v_bfe_u32 v4, v20, 20, 1
	v_add_co_u32_e64 v4, s[28:29], v20, v4
	v_add_co_u32_e64 v4, s[28:29], -1, v4
; %bb.6035:                             ;   in Loop: Header=BB6_4406 Depth=4
	s_or_b64 exec, exec, s[38:39]
	v_add_u32_e32 v5, 0xffffff81, v25
	v_mov_b32_e32 v21, 0xffffff82
	v_cndmask_b32_e32 v5, v5, v21, vcc
	v_lshrrev_b32_e32 v21, 23, v20
	v_add3_u32 v25, v32, v5, v21
	v_add_u32_e32 v5, 6, v25
	v_and_b32_e32 v4, 0xfffff, v4
	v_add_u32_e32 v50, v4, v20
	v_cmp_ne_u32_e32 vcc, 0, v5
                                        ; implicit-def: $vgpr20_vgpr21
                                        ; implicit-def: $vgpr4
	s_and_saveexec_b64 s[28:29], vcc
	s_xor_b64 s[28:29], exec, s[28:29]
; %bb.6036:                             ;   in Loop: Header=BB6_4406 Depth=4
	v_cmp_lt_u64_e32 vcc, s[88:89], v[50:51]
	v_add_u32_e32 v4, 7, v25
	v_cndmask_b32_e32 v4, v5, v4, vcc
	v_cndmask_b32_e64 v5, 0, 1, vcc
	v_lshrrev_b64 v[20:21], v5, v[50:51]
; %bb.6037:                             ;   in Loop: Header=BB6_4406 Depth=4
	s_andn2_saveexec_b64 s[28:29], s[28:29]
; %bb.6038:                             ;   in Loop: Header=BB6_4406 Depth=4
	v_mov_b32_e32 v20, v50
	v_bfe_u32 v4, v50, 23, 1
	v_mov_b32_e32 v21, v51
; %bb.6039:                             ;   in Loop: Header=BB6_4406 Depth=4
	s_or_b64 exec, exec, s[28:29]
	v_lshrrev_b64 v[20:21], 20, v[20:21]
	v_cmp_gt_i32_e32 vcc, 16, v4
	v_cndmask_b32_e32 v21, 0, v21, vcc
	v_cndmask_b32_e32 v20, 7, v20, vcc
	v_cmp_eq_u32_e32 vcc, 0, v4
	v_min_i32_e32 v4, 15, v4
	v_cmp_eq_u64_e64 s[28:29], 0, v[20:21]
	v_lshlrev_b32_e32 v4, 3, v4
	v_and_b32_e32 v4, 0xf8, v4
	v_and_or_b32 v4, v20, 7, v4
	s_and_b64 s[28:29], vcc, s[28:29]
	v_cndmask_b32_e64 v4, v4, 0, s[28:29]
	v_or_b32_e32 v4, v4, v24
	buffer_store_dword v4, off, s[0:3], s33 offset:200 ; 4-byte Folded Spill
.LBB6_6040:                             ;   in Loop: Header=BB6_4406 Depth=4
	s_or_b64 exec, exec, s[36:37]
                                        ; implicit-def: $vgpr24
.LBB6_6041:                             ;   in Loop: Header=BB6_4406 Depth=4
	s_andn2_saveexec_b64 s[28:29], s[34:35]
	s_cbranch_execz .LBB6_6043
; %bb.6042:                             ;   in Loop: Header=BB6_4406 Depth=4
	v_or_b32_e32 v4, 0x7e, v24
	buffer_store_dword v4, off, s[0:3], s33 offset:200 ; 4-byte Folded Spill
.LBB6_6043:                             ;   in Loop: Header=BB6_4406 Depth=4
	s_or_b64 exec, exec, s[28:29]
                                        ; implicit-def: $vgpr4
.LBB6_6044:                             ;   in Loop: Header=BB6_4406 Depth=4
	s_andn2_saveexec_b64 s[28:29], s[30:31]
	s_cbranch_execz .LBB6_6046
; %bb.6045:                             ;   in Loop: Header=BB6_4406 Depth=4
	v_or_b32_sdwa v4, v4, s86 dst_sel:DWORD dst_unused:UNUSED_PAD src0_sel:BYTE_3 src1_sel:DWORD
	buffer_store_dword v4, off, s[0:3], s33 offset:200 ; 4-byte Folded Spill
.LBB6_6046:                             ;   in Loop: Header=BB6_4406 Depth=4
	s_or_b64 exec, exec, s[28:29]
	v_lshl_or_b32 v24, v33, 8, v3
	v_lshlrev_b32_e32 v4, 16, v54
	v_lshlrev_b32_e32 v5, 24, v43
	v_or3_b32 v50, v4, v5, v24
	v_cmp_ne_u32_e32 vcc, 0, v3
	v_mov_b32_e32 v4, 0
	v_mov_b32_e32 v5, 0
	s_and_saveexec_b64 s[28:29], vcc
	s_cbranch_execz .LBB6_6052
; %bb.6047:                             ;   in Loop: Header=BB6_4406 Depth=4
	v_cmp_ne_u32_e32 vcc, s96, v3
	v_bfrev_b32_e32 v5, 1
	s_and_saveexec_b64 s[30:31], vcc
	s_cbranch_execz .LBB6_6051
; %bb.6048:                             ;   in Loop: Header=BB6_4406 Depth=4
	v_and_b32_e32 v20, 0x7f, v3
	v_cmp_ne_u32_e32 vcc, s86, v20
	v_mov_b32_e32 v5, 0x7f800001
	s_and_saveexec_b64 s[34:35], vcc
	s_cbranch_execz .LBB6_6050
; %bb.6049:                             ;   in Loop: Header=BB6_4406 Depth=4
	v_and_b32_e32 v3, 7, v3
	v_ffbh_u32_e32 v3, v3
	v_min_u32_e32 v3, 32, v3
	v_lshrrev_b32_e32 v5, 3, v20
	v_cmp_gt_u32_e32 vcc, 8, v20
	v_subrev_u32_e32 v20, 28, v3
	v_sub_u32_e32 v3, 29, v3
	v_cndmask_b32_e32 v3, v5, v3, vcc
	v_cndmask_b32_e32 v5, 0, v20, vcc
	v_lshlrev_b64 v[20:21], v5, v[50:51]
	v_bfrev_b32_e32 v21, 60
	v_lshlrev_b32_e32 v5, 20, v20
	v_lshlrev_b32_e32 v20, 24, v50
	v_and_b32_e32 v5, 0x700000, v5
	v_and_b32_e32 v20, 0x80000000, v20
	v_lshl_add_u32 v3, v3, 23, v21
	v_or3_b32 v5, v20, v3, v5
.LBB6_6050:                             ;   in Loop: Header=BB6_4406 Depth=4
	s_or_b64 exec, exec, s[34:35]
.LBB6_6051:                             ;   in Loop: Header=BB6_4406 Depth=4
	s_or_b64 exec, exec, s[30:31]
.LBB6_6052:                             ;   in Loop: Header=BB6_4406 Depth=4
	s_or_b64 exec, exec, s[28:29]
	v_cmp_ne_u16_sdwa vcc, v22, v51 src0_sel:BYTE_0 src1_sel:DWORD
	s_and_saveexec_b64 s[28:29], vcc
	s_cbranch_execz .LBB6_6058
; %bb.6053:                             ;   in Loop: Header=BB6_4406 Depth=4
	v_cmp_ne_u16_sdwa vcc, v22, s96 src0_sel:BYTE_0 src1_sel:DWORD
	v_bfrev_b32_e32 v4, 1
	s_and_saveexec_b64 s[30:31], vcc
	s_cbranch_execz .LBB6_6057
; %bb.6054:                             ;   in Loop: Header=BB6_4406 Depth=4
	v_and_b32_e32 v3, 0x7f, v22
	v_cmp_ne_u32_e32 vcc, s86, v3
	v_mov_b32_e32 v4, 0x7f800001
	s_and_saveexec_b64 s[34:35], vcc
	s_cbranch_execz .LBB6_6056
; %bb.6055:                             ;   in Loop: Header=BB6_4406 Depth=4
	v_and_b32_e32 v4, 7, v22
	v_lshrrev_b32_e32 v20, 3, v3
	v_cmp_gt_u32_e32 vcc, 8, v3
	v_ffbh_u32_e32 v3, v4
	v_min_u32_e32 v3, 32, v3
	v_subrev_u32_e32 v4, 28, v3
	v_sub_u32_e32 v3, 29, v3
	v_cndmask_b32_e32 v20, v20, v3, vcc
	v_cndmask_b32_e32 v3, 0, v4, vcc
	v_lshlrev_b64 v[3:4], v3, v[22:23]
	v_lshlrev_b32_e32 v4, 24, v22
	v_lshlrev_b32_e32 v3, 20, v3
	v_bfrev_b32_e32 v21, 60
	v_and_b32_e32 v3, 0x700000, v3
	v_and_b32_e32 v4, 0x80000000, v4
	v_lshl_add_u32 v20, v20, 23, v21
	v_or3_b32 v4, v4, v20, v3
.LBB6_6056:                             ;   in Loop: Header=BB6_4406 Depth=4
	s_or_b64 exec, exec, s[34:35]
.LBB6_6057:                             ;   in Loop: Header=BB6_4406 Depth=4
	s_or_b64 exec, exec, s[30:31]
.LBB6_6058:                             ;   in Loop: Header=BB6_4406 Depth=4
	s_or_b64 exec, exec, s[28:29]
	v_add_f32_e32 v4, v5, v4
	v_and_b32_e32 v20, 0x7f800000, v4
	v_mov_b32_e32 v21, v51
	v_cmp_ne_u64_e32 vcc, s[76:77], v[20:21]
                                        ; implicit-def: $vgpr0
                                        ; kill: killed $vgpr0
	s_and_saveexec_b64 s[28:29], vcc
	s_xor_b64 s[30:31], exec, s[28:29]
	s_cbranch_execz .LBB6_6072
; %bb.6059:                             ;   in Loop: Header=BB6_4406 Depth=4
	v_and_b32_e32 v20, 0x7fffffff, v4
	v_mov_b32_e32 v21, v51
	v_cmp_gt_u64_e32 vcc, s[78:79], v[20:21]
	v_and_b32_sdwa v3, v4, s96 dst_sel:DWORD dst_unused:UNUSED_PAD src0_sel:BYTE_3 src1_sel:DWORD
                                        ; implicit-def: $vgpr0
                                        ; kill: killed $vgpr0
	s_and_saveexec_b64 s[28:29], vcc
	s_xor_b64 s[34:35], exec, s[28:29]
	s_cbranch_execz .LBB6_6069
; %bb.6060:                             ;   in Loop: Header=BB6_4406 Depth=4
	v_mov_b32_e32 v0, 0
	v_cmp_ne_u32_e32 vcc, 0, v4
	buffer_store_dword v0, off, s[0:3], s33 offset:212 ; 4-byte Folded Spill
	s_and_saveexec_b64 s[36:37], vcc
	s_cbranch_execz .LBB6_6068
; %bb.6061:                             ;   in Loop: Header=BB6_4406 Depth=4
	v_bfe_u32 v25, v4, 23, 8
	v_and_b32_e32 v5, 0x7fffff, v4
	v_cmp_gt_u32_e64 s[28:29], s97, v25
	v_sub_u32_e32 v4, 0x79, v25
	v_cmp_eq_u32_e32 vcc, 0, v25
	v_cndmask_b32_e64 v4, 0, v4, s[28:29]
	v_mov_b32_e32 v21, 0x78
	v_or_b32_e32 v20, 0x800000, v5
	v_cndmask_b32_e32 v32, v4, v21, vcc
	v_cndmask_b32_e32 v4, v20, v5, vcc
	v_add_u32_e32 v20, 20, v32
	v_lshlrev_b64 v[20:21], v20, -1
	v_add_u32_e32 v33, 19, v32
	v_lshlrev_b64 v[48:49], v33, 1
	v_mov_b32_e32 v5, v51
	v_bfi_b32 v21, v21, 0, 0
	v_bfi_b32 v20, v20, 0, v4
	v_cmp_eq_u64_e64 s[28:29], v[20:21], v[48:49]
	v_lshrrev_b64 v[20:21], v32, v[4:5]
	v_mov_b32_e32 v4, v20
	v_mov_b32_e32 v5, v21
	s_and_saveexec_b64 s[38:39], s[28:29]
; %bb.6062:                             ;   in Loop: Header=BB6_4406 Depth=4
	v_bfe_u32 v4, v20, 20, 1
	v_add_co_u32_e64 v4, s[28:29], v20, v4
	v_add_co_u32_e64 v4, s[28:29], -1, v4
; %bb.6063:                             ;   in Loop: Header=BB6_4406 Depth=4
	s_or_b64 exec, exec, s[38:39]
	v_add_u32_e32 v5, 0xffffff81, v25
	v_mov_b32_e32 v21, 0xffffff82
	v_cndmask_b32_e32 v5, v5, v21, vcc
	v_lshrrev_b32_e32 v21, 23, v20
	v_add3_u32 v25, v32, v5, v21
	v_add_u32_e32 v5, 6, v25
	v_and_b32_e32 v4, 0xfffff, v4
	v_add_u32_e32 v20, v4, v20
	v_mov_b32_e32 v21, v51
	v_cmp_ne_u32_e32 vcc, 0, v5
                                        ; implicit-def: $vgpr4
	s_and_saveexec_b64 s[28:29], vcc
	s_xor_b64 s[28:29], exec, s[28:29]
; %bb.6064:                             ;   in Loop: Header=BB6_4406 Depth=4
	v_cmp_lt_u64_e32 vcc, s[88:89], v[20:21]
	v_add_u32_e32 v4, 7, v25
	v_cndmask_b32_e32 v4, v5, v4, vcc
	v_cndmask_b32_e64 v5, 0, 1, vcc
	v_lshrrev_b64 v[20:21], v5, v[20:21]
; %bb.6065:                             ;   in Loop: Header=BB6_4406 Depth=4
	s_andn2_saveexec_b64 s[28:29], s[28:29]
; %bb.6066:                             ;   in Loop: Header=BB6_4406 Depth=4
	v_bfe_u32 v4, v20, 23, 1
; %bb.6067:                             ;   in Loop: Header=BB6_4406 Depth=4
	s_or_b64 exec, exec, s[28:29]
	v_lshrrev_b64 v[20:21], 20, v[20:21]
	v_cmp_gt_i32_e32 vcc, 16, v4
	v_cndmask_b32_e32 v21, 0, v21, vcc
	v_cndmask_b32_e32 v20, 7, v20, vcc
	v_cmp_eq_u32_e32 vcc, 0, v4
	v_min_i32_e32 v4, 15, v4
	v_cmp_eq_u64_e64 s[28:29], 0, v[20:21]
	v_lshlrev_b32_e32 v4, 3, v4
	v_and_b32_e32 v4, 0xf8, v4
	v_and_or_b32 v4, v20, 7, v4
	s_and_b64 s[28:29], vcc, s[28:29]
	v_cndmask_b32_e64 v4, v4, 0, s[28:29]
	v_or_b32_e32 v0, v4, v3
	buffer_store_dword v0, off, s[0:3], s33 offset:212 ; 4-byte Folded Spill
.LBB6_6068:                             ;   in Loop: Header=BB6_4406 Depth=4
	s_or_b64 exec, exec, s[36:37]
                                        ; implicit-def: $vgpr3
.LBB6_6069:                             ;   in Loop: Header=BB6_4406 Depth=4
	s_andn2_saveexec_b64 s[28:29], s[34:35]
	s_cbranch_execz .LBB6_6071
; %bb.6070:                             ;   in Loop: Header=BB6_4406 Depth=4
	v_or_b32_e32 v0, 0x7e, v3
	buffer_store_dword v0, off, s[0:3], s33 offset:212 ; 4-byte Folded Spill
.LBB6_6071:                             ;   in Loop: Header=BB6_4406 Depth=4
	s_or_b64 exec, exec, s[28:29]
                                        ; implicit-def: $vgpr4
.LBB6_6072:                             ;   in Loop: Header=BB6_4406 Depth=4
	s_andn2_saveexec_b64 s[28:29], s[30:31]
	s_cbranch_execz .LBB6_6074
; %bb.6073:                             ;   in Loop: Header=BB6_4406 Depth=4
	v_or_b32_sdwa v0, v4, s86 dst_sel:DWORD dst_unused:UNUSED_PAD src0_sel:BYTE_3 src1_sel:DWORD
	buffer_store_dword v0, off, s[0:3], s33 offset:212 ; 4-byte Folded Spill
.LBB6_6074:                             ;   in Loop: Header=BB6_4406 Depth=4
	s_or_b64 exec, exec, s[28:29]
	v_lshrrev_b16_e32 v20, 8, v24
	v_cmp_ne_u16_e32 vcc, 0, v20
	v_mov_b32_e32 v3, 0
	v_mov_b32_e32 v4, 0
	s_and_saveexec_b64 s[28:29], vcc
	s_cbranch_execz .LBB6_6080
; %bb.6075:                             ;   in Loop: Header=BB6_4406 Depth=4
	v_cmp_ne_u16_e32 vcc, s96, v20
	v_bfrev_b32_e32 v4, 1
	s_and_saveexec_b64 s[30:31], vcc
	s_cbranch_execz .LBB6_6079
; %bb.6076:                             ;   in Loop: Header=BB6_4406 Depth=4
	v_and_b32_e32 v5, 0x7f, v20
	v_cmp_ne_u32_e32 vcc, s86, v5
	v_mov_b32_e32 v4, 0x7f800001
	s_and_saveexec_b64 s[34:35], vcc
	s_cbranch_execz .LBB6_6078
; %bb.6077:                             ;   in Loop: Header=BB6_4406 Depth=4
	v_and_b32_e32 v21, 7, v20
	v_ffbh_u32_e32 v4, v21
	v_min_u32_e32 v32, 32, v4
	v_subrev_u32_e32 v4, 28, v32
	v_lshrrev_b32_e32 v25, 3, v5
	v_cmp_gt_u32_e32 vcc, 8, v5
	v_lshlrev_b64 v[4:5], v4, v[20:21]
	v_sub_u32_e32 v5, 29, v32
	v_and_b32_e32 v4, 7, v4
	v_cndmask_b32_e32 v5, v25, v5, vcc
	v_cndmask_b32_e32 v4, v21, v4, vcc
	v_lshlrev_b32_e32 v20, 16, v24
	v_bfrev_b32_e32 v21, 60
	v_lshlrev_b32_e32 v4, 20, v4
	v_and_b32_e32 v20, 0x80000000, v20
	v_lshl_add_u32 v5, v5, 23, v21
	v_or3_b32 v4, v20, v5, v4
.LBB6_6078:                             ;   in Loop: Header=BB6_4406 Depth=4
	s_or_b64 exec, exec, s[34:35]
.LBB6_6079:                             ;   in Loop: Header=BB6_4406 Depth=4
	s_or_b64 exec, exec, s[30:31]
.LBB6_6080:                             ;   in Loop: Header=BB6_4406 Depth=4
	s_or_b64 exec, exec, s[28:29]
	v_lshrrev_b16_e32 v20, 8, v22
	v_cmp_ne_u16_e32 vcc, 0, v20
	s_and_saveexec_b64 s[28:29], vcc
	s_cbranch_execz .LBB6_6086
; %bb.6081:                             ;   in Loop: Header=BB6_4406 Depth=4
	v_cmp_ne_u16_e32 vcc, s96, v20
	v_bfrev_b32_e32 v3, 1
	s_and_saveexec_b64 s[30:31], vcc
	s_cbranch_execz .LBB6_6085
; %bb.6082:                             ;   in Loop: Header=BB6_4406 Depth=4
	v_and_b32_e32 v5, 0x7f, v20
	v_cmp_ne_u32_e32 vcc, s86, v5
	v_mov_b32_e32 v3, 0x7f800001
	s_and_saveexec_b64 s[34:35], vcc
	s_cbranch_execz .LBB6_6084
; %bb.6083:                             ;   in Loop: Header=BB6_4406 Depth=4
	v_and_b32_e32 v3, 7, v20
	v_lshrrev_b32_e32 v24, 3, v5
	v_cmp_gt_u32_e32 vcc, 8, v5
	v_ffbh_u32_e32 v5, v3
	v_min_u32_e32 v5, 32, v5
	v_subrev_u32_e32 v21, 28, v5
	v_lshlrev_b64 v[20:21], v21, v[20:21]
	v_sub_u32_e32 v5, 29, v5
	v_and_b32_e32 v20, 7, v20
	v_cndmask_b32_e32 v5, v24, v5, vcc
	v_cndmask_b32_e32 v3, v3, v20, vcc
	v_lshlrev_b32_e32 v20, 16, v22
	v_bfrev_b32_e32 v21, 60
	v_lshlrev_b32_e32 v3, 20, v3
	v_and_b32_e32 v20, 0x80000000, v20
	v_lshl_add_u32 v5, v5, 23, v21
	v_or3_b32 v3, v20, v5, v3
.LBB6_6084:                             ;   in Loop: Header=BB6_4406 Depth=4
	s_or_b64 exec, exec, s[34:35]
.LBB6_6085:                             ;   in Loop: Header=BB6_4406 Depth=4
	s_or_b64 exec, exec, s[30:31]
.LBB6_6086:                             ;   in Loop: Header=BB6_4406 Depth=4
	s_or_b64 exec, exec, s[28:29]
	v_add_f32_e32 v4, v4, v3
	v_and_b32_e32 v20, 0x7f800000, v4
	v_mov_b32_e32 v21, v51
	v_cmp_ne_u64_e32 vcc, s[76:77], v[20:21]
                                        ; implicit-def: $vgpr0
                                        ; kill: killed $vgpr0
	s_and_saveexec_b64 s[28:29], vcc
	s_xor_b64 s[30:31], exec, s[28:29]
	s_cbranch_execz .LBB6_6100
; %bb.6087:                             ;   in Loop: Header=BB6_4406 Depth=4
	v_and_b32_e32 v20, 0x7fffffff, v4
	v_mov_b32_e32 v21, v51
	v_cmp_gt_u64_e32 vcc, s[78:79], v[20:21]
	v_and_b32_sdwa v3, v4, s96 dst_sel:DWORD dst_unused:UNUSED_PAD src0_sel:BYTE_3 src1_sel:DWORD
                                        ; implicit-def: $vgpr0
                                        ; kill: killed $vgpr0
	s_and_saveexec_b64 s[28:29], vcc
	s_xor_b64 s[34:35], exec, s[28:29]
	s_cbranch_execz .LBB6_6097
; %bb.6088:                             ;   in Loop: Header=BB6_4406 Depth=4
	v_mov_b32_e32 v0, 0
	v_cmp_ne_u32_e32 vcc, 0, v4
	buffer_store_dword v0, off, s[0:3], s33 offset:232 ; 4-byte Folded Spill
	s_and_saveexec_b64 s[36:37], vcc
	s_cbranch_execz .LBB6_6096
; %bb.6089:                             ;   in Loop: Header=BB6_4406 Depth=4
	v_bfe_u32 v24, v4, 23, 8
	v_and_b32_e32 v5, 0x7fffff, v4
	v_cmp_gt_u32_e64 s[28:29], s97, v24
	v_sub_u32_e32 v4, 0x79, v24
	v_cmp_eq_u32_e32 vcc, 0, v24
	v_cndmask_b32_e64 v4, 0, v4, s[28:29]
	v_mov_b32_e32 v21, 0x78
	v_or_b32_e32 v20, 0x800000, v5
	v_cndmask_b32_e32 v25, v4, v21, vcc
	v_cndmask_b32_e32 v4, v20, v5, vcc
	v_add_u32_e32 v20, 20, v25
	v_lshlrev_b64 v[20:21], v20, -1
	v_add_u32_e32 v32, 19, v25
	v_lshlrev_b64 v[32:33], v32, 1
	v_mov_b32_e32 v5, v51
	v_bfi_b32 v21, v21, 0, 0
	v_bfi_b32 v20, v20, 0, v4
	v_cmp_eq_u64_e64 s[28:29], v[20:21], v[32:33]
	v_lshrrev_b64 v[20:21], v25, v[4:5]
	v_mov_b32_e32 v4, v20
	v_mov_b32_e32 v5, v21
	s_and_saveexec_b64 s[38:39], s[28:29]
; %bb.6090:                             ;   in Loop: Header=BB6_4406 Depth=4
	v_bfe_u32 v4, v20, 20, 1
	v_add_co_u32_e64 v4, s[28:29], v20, v4
	v_add_co_u32_e64 v4, s[28:29], -1, v4
; %bb.6091:                             ;   in Loop: Header=BB6_4406 Depth=4
	s_or_b64 exec, exec, s[38:39]
	v_add_u32_e32 v5, 0xffffff81, v24
	v_mov_b32_e32 v21, 0xffffff82
	v_cndmask_b32_e32 v5, v5, v21, vcc
	v_lshrrev_b32_e32 v21, 23, v20
	v_add3_u32 v24, v25, v5, v21
	v_add_u32_e32 v5, 6, v24
	v_and_b32_e32 v4, 0xfffff, v4
	v_add_u32_e32 v20, v4, v20
	v_mov_b32_e32 v21, v51
	v_cmp_ne_u32_e32 vcc, 0, v5
                                        ; implicit-def: $vgpr4
	s_and_saveexec_b64 s[28:29], vcc
	s_xor_b64 s[28:29], exec, s[28:29]
; %bb.6092:                             ;   in Loop: Header=BB6_4406 Depth=4
	v_cmp_lt_u64_e32 vcc, s[88:89], v[20:21]
	v_add_u32_e32 v4, 7, v24
	v_cndmask_b32_e32 v4, v5, v4, vcc
	v_cndmask_b32_e64 v5, 0, 1, vcc
	v_lshrrev_b64 v[20:21], v5, v[20:21]
; %bb.6093:                             ;   in Loop: Header=BB6_4406 Depth=4
	s_andn2_saveexec_b64 s[28:29], s[28:29]
; %bb.6094:                             ;   in Loop: Header=BB6_4406 Depth=4
	v_bfe_u32 v4, v20, 23, 1
; %bb.6095:                             ;   in Loop: Header=BB6_4406 Depth=4
	s_or_b64 exec, exec, s[28:29]
	v_lshrrev_b64 v[20:21], 20, v[20:21]
	v_cmp_gt_i32_e32 vcc, 16, v4
	v_cndmask_b32_e32 v21, 0, v21, vcc
	v_cndmask_b32_e32 v20, 7, v20, vcc
	v_cmp_eq_u32_e32 vcc, 0, v4
	v_min_i32_e32 v4, 15, v4
	v_cmp_eq_u64_e64 s[28:29], 0, v[20:21]
	v_lshlrev_b32_e32 v4, 3, v4
	v_and_b32_e32 v4, 0xf8, v4
	v_and_or_b32 v4, v20, 7, v4
	s_and_b64 s[28:29], vcc, s[28:29]
	v_cndmask_b32_e64 v4, v4, 0, s[28:29]
	v_or_b32_e32 v0, v4, v3
	buffer_store_dword v0, off, s[0:3], s33 offset:232 ; 4-byte Folded Spill
.LBB6_6096:                             ;   in Loop: Header=BB6_4406 Depth=4
	s_or_b64 exec, exec, s[36:37]
                                        ; implicit-def: $vgpr3
.LBB6_6097:                             ;   in Loop: Header=BB6_4406 Depth=4
	s_andn2_saveexec_b64 s[28:29], s[34:35]
	s_cbranch_execz .LBB6_6099
; %bb.6098:                             ;   in Loop: Header=BB6_4406 Depth=4
	v_or_b32_e32 v0, 0x7e, v3
	buffer_store_dword v0, off, s[0:3], s33 offset:232 ; 4-byte Folded Spill
.LBB6_6099:                             ;   in Loop: Header=BB6_4406 Depth=4
	s_or_b64 exec, exec, s[28:29]
                                        ; implicit-def: $vgpr4
.LBB6_6100:                             ;   in Loop: Header=BB6_4406 Depth=4
	s_andn2_saveexec_b64 s[28:29], s[30:31]
	s_cbranch_execz .LBB6_6102
; %bb.6101:                             ;   in Loop: Header=BB6_4406 Depth=4
	v_or_b32_sdwa v0, v4, s86 dst_sel:DWORD dst_unused:UNUSED_PAD src0_sel:BYTE_3 src1_sel:DWORD
	buffer_store_dword v0, off, s[0:3], s33 offset:232 ; 4-byte Folded Spill
.LBB6_6102:                             ;   in Loop: Header=BB6_4406 Depth=4
	s_or_b64 exec, exec, s[28:29]
	v_lshrrev_b32_e32 v20, 16, v50
	v_cmp_ne_u16_sdwa vcc, v20, v51 src0_sel:BYTE_0 src1_sel:DWORD
	v_mov_b32_e32 v3, 0
	v_mov_b32_e32 v4, 0
	s_and_saveexec_b64 s[28:29], vcc
	s_cbranch_execz .LBB6_6108
; %bb.6103:                             ;   in Loop: Header=BB6_4406 Depth=4
	v_cmp_ne_u16_sdwa vcc, v20, s96 src0_sel:BYTE_0 src1_sel:DWORD
	v_bfrev_b32_e32 v4, 1
	s_and_saveexec_b64 s[30:31], vcc
	s_cbranch_execz .LBB6_6107
; %bb.6104:                             ;   in Loop: Header=BB6_4406 Depth=4
	v_bfe_u32 v5, v50, 16, 7
	v_cmp_ne_u32_e32 vcc, s86, v5
	v_mov_b32_e32 v4, 0x7f800001
	s_and_saveexec_b64 s[34:35], vcc
	s_cbranch_execz .LBB6_6106
; %bb.6105:                             ;   in Loop: Header=BB6_4406 Depth=4
	v_and_b32_e32 v21, 7, v20
	v_ffbh_u32_e32 v4, v21
	v_min_u32_e32 v25, 32, v4
	v_subrev_u32_e32 v4, 28, v25
	v_lshrrev_b32_e32 v24, 3, v5
	v_cmp_gt_u32_e32 vcc, 8, v5
	v_lshlrev_b64 v[4:5], v4, v[20:21]
	v_sub_u32_e32 v5, 29, v25
	v_and_b32_e32 v4, 7, v4
	v_cndmask_b32_e32 v5, v24, v5, vcc
	v_cndmask_b32_e32 v4, v21, v4, vcc
	v_lshlrev_b32_e32 v20, 24, v20
	v_bfrev_b32_e32 v21, 60
	v_lshlrev_b32_e32 v4, 20, v4
	v_and_b32_e32 v20, 0x80000000, v20
	v_lshl_add_u32 v5, v5, 23, v21
	v_or3_b32 v4, v20, v5, v4
.LBB6_6106:                             ;   in Loop: Header=BB6_4406 Depth=4
	s_or_b64 exec, exec, s[34:35]
.LBB6_6107:                             ;   in Loop: Header=BB6_4406 Depth=4
	s_or_b64 exec, exec, s[30:31]
.LBB6_6108:                             ;   in Loop: Header=BB6_4406 Depth=4
	s_or_b64 exec, exec, s[28:29]
	v_lshrrev_b32_e32 v20, 16, v22
	v_cmp_ne_u16_sdwa vcc, v20, v51 src0_sel:BYTE_0 src1_sel:DWORD
	s_and_saveexec_b64 s[28:29], vcc
	s_cbranch_execz .LBB6_6114
; %bb.6109:                             ;   in Loop: Header=BB6_4406 Depth=4
	v_cmp_ne_u16_sdwa vcc, v20, s96 src0_sel:BYTE_0 src1_sel:DWORD
	v_bfrev_b32_e32 v3, 1
	s_and_saveexec_b64 s[30:31], vcc
	s_cbranch_execz .LBB6_6113
; %bb.6110:                             ;   in Loop: Header=BB6_4406 Depth=4
	v_bfe_u32 v5, v22, 16, 7
	v_cmp_ne_u32_e32 vcc, s86, v5
	v_mov_b32_e32 v3, 0x7f800001
	s_and_saveexec_b64 s[34:35], vcc
	s_cbranch_execz .LBB6_6112
; %bb.6111:                             ;   in Loop: Header=BB6_4406 Depth=4
	v_and_b32_e32 v3, 7, v20
	v_lshrrev_b32_e32 v24, 3, v5
	v_cmp_gt_u32_e32 vcc, 8, v5
	v_ffbh_u32_e32 v5, v3
	v_min_u32_e32 v5, 32, v5
	v_subrev_u32_e32 v21, 28, v5
	v_lshlrev_b64 v[20:21], v21, v[20:21]
	v_sub_u32_e32 v5, 29, v5
	v_and_b32_e32 v20, 7, v20
	v_cndmask_b32_e32 v5, v24, v5, vcc
	v_cndmask_b32_e32 v3, v3, v20, vcc
	v_lshlrev_b32_e32 v20, 8, v22
	v_bfrev_b32_e32 v21, 60
	v_lshlrev_b32_e32 v3, 20, v3
	v_and_b32_e32 v20, 0x80000000, v20
	v_lshl_add_u32 v5, v5, 23, v21
	v_or3_b32 v3, v20, v5, v3
.LBB6_6112:                             ;   in Loop: Header=BB6_4406 Depth=4
	s_or_b64 exec, exec, s[34:35]
.LBB6_6113:                             ;   in Loop: Header=BB6_4406 Depth=4
	s_or_b64 exec, exec, s[30:31]
.LBB6_6114:                             ;   in Loop: Header=BB6_4406 Depth=4
	s_or_b64 exec, exec, s[28:29]
	v_add_f32_e32 v4, v4, v3
	v_and_b32_e32 v20, 0x7f800000, v4
	v_mov_b32_e32 v21, v51
	v_cmp_ne_u64_e32 vcc, s[76:77], v[20:21]
                                        ; implicit-def: $vgpr0
                                        ; kill: killed $vgpr0
	s_and_saveexec_b64 s[28:29], vcc
	s_xor_b64 s[30:31], exec, s[28:29]
	s_cbranch_execz .LBB6_6128
; %bb.6115:                             ;   in Loop: Header=BB6_4406 Depth=4
	v_and_b32_e32 v20, 0x7fffffff, v4
	v_mov_b32_e32 v21, v51
	v_cmp_gt_u64_e32 vcc, s[78:79], v[20:21]
	v_and_b32_sdwa v3, v4, s96 dst_sel:DWORD dst_unused:UNUSED_PAD src0_sel:BYTE_3 src1_sel:DWORD
                                        ; implicit-def: $vgpr0
                                        ; kill: killed $vgpr0
	s_and_saveexec_b64 s[28:29], vcc
	s_xor_b64 s[34:35], exec, s[28:29]
	s_cbranch_execz .LBB6_6125
; %bb.6116:                             ;   in Loop: Header=BB6_4406 Depth=4
	v_mov_b32_e32 v0, 0
	v_cmp_ne_u32_e32 vcc, 0, v4
	buffer_store_dword v0, off, s[0:3], s33 offset:256 ; 4-byte Folded Spill
	s_and_saveexec_b64 s[36:37], vcc
	s_cbranch_execz .LBB6_6124
; %bb.6117:                             ;   in Loop: Header=BB6_4406 Depth=4
	v_bfe_u32 v24, v4, 23, 8
	v_and_b32_e32 v5, 0x7fffff, v4
	v_cmp_gt_u32_e64 s[28:29], s97, v24
	v_sub_u32_e32 v4, 0x79, v24
	v_cmp_eq_u32_e32 vcc, 0, v24
	v_cndmask_b32_e64 v4, 0, v4, s[28:29]
	v_mov_b32_e32 v21, 0x78
	v_or_b32_e32 v20, 0x800000, v5
	v_cndmask_b32_e32 v25, v4, v21, vcc
	v_cndmask_b32_e32 v4, v20, v5, vcc
	v_add_u32_e32 v20, 20, v25
	v_lshlrev_b64 v[20:21], v20, -1
	v_add_u32_e32 v32, 19, v25
	v_lshlrev_b64 v[32:33], v32, 1
	v_mov_b32_e32 v5, v51
	v_bfi_b32 v21, v21, 0, 0
	v_bfi_b32 v20, v20, 0, v4
	v_cmp_eq_u64_e64 s[28:29], v[20:21], v[32:33]
	v_lshrrev_b64 v[20:21], v25, v[4:5]
	v_mov_b32_e32 v4, v20
	v_mov_b32_e32 v5, v21
	s_and_saveexec_b64 s[38:39], s[28:29]
; %bb.6118:                             ;   in Loop: Header=BB6_4406 Depth=4
	v_bfe_u32 v4, v20, 20, 1
	v_add_co_u32_e64 v4, s[28:29], v20, v4
	v_add_co_u32_e64 v4, s[28:29], -1, v4
; %bb.6119:                             ;   in Loop: Header=BB6_4406 Depth=4
	s_or_b64 exec, exec, s[38:39]
	v_add_u32_e32 v5, 0xffffff81, v24
	v_mov_b32_e32 v21, 0xffffff82
	v_cndmask_b32_e32 v5, v5, v21, vcc
	v_lshrrev_b32_e32 v21, 23, v20
	v_add3_u32 v24, v25, v5, v21
	v_add_u32_e32 v5, 6, v24
	v_and_b32_e32 v4, 0xfffff, v4
	v_add_u32_e32 v20, v4, v20
	v_mov_b32_e32 v21, v51
	v_cmp_ne_u32_e32 vcc, 0, v5
                                        ; implicit-def: $vgpr4
	s_and_saveexec_b64 s[28:29], vcc
	s_xor_b64 s[28:29], exec, s[28:29]
; %bb.6120:                             ;   in Loop: Header=BB6_4406 Depth=4
	v_cmp_lt_u64_e32 vcc, s[88:89], v[20:21]
	v_add_u32_e32 v4, 7, v24
	v_cndmask_b32_e32 v4, v5, v4, vcc
	v_cndmask_b32_e64 v5, 0, 1, vcc
	v_lshrrev_b64 v[20:21], v5, v[20:21]
; %bb.6121:                             ;   in Loop: Header=BB6_4406 Depth=4
	s_andn2_saveexec_b64 s[28:29], s[28:29]
; %bb.6122:                             ;   in Loop: Header=BB6_4406 Depth=4
	v_bfe_u32 v4, v20, 23, 1
; %bb.6123:                             ;   in Loop: Header=BB6_4406 Depth=4
	s_or_b64 exec, exec, s[28:29]
	v_lshrrev_b64 v[20:21], 20, v[20:21]
	v_cmp_gt_i32_e32 vcc, 16, v4
	v_cndmask_b32_e32 v21, 0, v21, vcc
	v_cndmask_b32_e32 v20, 7, v20, vcc
	v_cmp_eq_u32_e32 vcc, 0, v4
	v_min_i32_e32 v4, 15, v4
	v_cmp_eq_u64_e64 s[28:29], 0, v[20:21]
	v_lshlrev_b32_e32 v4, 3, v4
	v_and_b32_e32 v4, 0xf8, v4
	v_and_or_b32 v4, v20, 7, v4
	s_and_b64 s[28:29], vcc, s[28:29]
	v_cndmask_b32_e64 v4, v4, 0, s[28:29]
	v_or_b32_e32 v0, v4, v3
	buffer_store_dword v0, off, s[0:3], s33 offset:256 ; 4-byte Folded Spill
.LBB6_6124:                             ;   in Loop: Header=BB6_4406 Depth=4
	s_or_b64 exec, exec, s[36:37]
                                        ; implicit-def: $vgpr3
.LBB6_6125:                             ;   in Loop: Header=BB6_4406 Depth=4
	s_andn2_saveexec_b64 s[28:29], s[34:35]
	s_cbranch_execz .LBB6_6127
; %bb.6126:                             ;   in Loop: Header=BB6_4406 Depth=4
	v_or_b32_e32 v0, 0x7e, v3
	buffer_store_dword v0, off, s[0:3], s33 offset:256 ; 4-byte Folded Spill
.LBB6_6127:                             ;   in Loop: Header=BB6_4406 Depth=4
	s_or_b64 exec, exec, s[28:29]
                                        ; implicit-def: $vgpr4
.LBB6_6128:                             ;   in Loop: Header=BB6_4406 Depth=4
	s_andn2_saveexec_b64 s[28:29], s[30:31]
	s_cbranch_execz .LBB6_6130
; %bb.6129:                             ;   in Loop: Header=BB6_4406 Depth=4
	v_or_b32_sdwa v0, v4, s86 dst_sel:DWORD dst_unused:UNUSED_PAD src0_sel:BYTE_3 src1_sel:DWORD
	buffer_store_dword v0, off, s[0:3], s33 offset:256 ; 4-byte Folded Spill
.LBB6_6130:                             ;   in Loop: Header=BB6_4406 Depth=4
	s_or_b64 exec, exec, s[28:29]
	v_cmp_lt_u32_e32 vcc, s57, v50
	v_mov_b32_e32 v3, 0
	v_mov_b32_e32 v4, 0
	s_and_saveexec_b64 s[28:29], vcc
	s_cbranch_execz .LBB6_6136
; %bb.6131:                             ;   in Loop: Header=BB6_4406 Depth=4
	v_lshrrev_b32_e32 v20, 24, v50
	v_cmp_ne_u32_sdwa vcc, v50, s96 src0_sel:BYTE_3 src1_sel:DWORD
	v_bfrev_b32_e32 v4, 1
	s_and_saveexec_b64 s[30:31], vcc
	s_cbranch_execz .LBB6_6135
; %bb.6132:                             ;   in Loop: Header=BB6_4406 Depth=4
	v_bfe_u32 v5, v50, 24, 7
	v_cmp_ne_u32_e32 vcc, s86, v5
	v_mov_b32_e32 v4, 0x7f800001
	s_and_saveexec_b64 s[34:35], vcc
	s_cbranch_execz .LBB6_6134
; %bb.6133:                             ;   in Loop: Header=BB6_4406 Depth=4
	v_and_b32_e32 v21, 7, v20
	v_ffbh_u32_e32 v4, v21
	v_min_u32_e32 v25, 32, v4
	v_subrev_u32_e32 v4, 28, v25
	v_lshrrev_b32_e32 v24, 3, v5
	v_cmp_gt_u32_e32 vcc, 8, v5
	v_lshlrev_b64 v[4:5], v4, v[20:21]
	v_sub_u32_e32 v5, 29, v25
	v_and_b32_e32 v4, 7, v4
	v_mov_b32_e32 v20, 24
	v_cndmask_b32_e32 v5, v24, v5, vcc
	v_cndmask_b32_e32 v4, v21, v4, vcc
	v_lshlrev_b32_sdwa v20, v20, v50 dst_sel:DWORD dst_unused:UNUSED_PAD src0_sel:DWORD src1_sel:BYTE_3
	v_bfrev_b32_e32 v21, 60
	v_lshlrev_b32_e32 v4, 20, v4
	v_and_b32_e32 v20, 0x80000000, v20
	v_lshl_add_u32 v5, v5, 23, v21
	v_or3_b32 v4, v20, v5, v4
.LBB6_6134:                             ;   in Loop: Header=BB6_4406 Depth=4
	s_or_b64 exec, exec, s[34:35]
.LBB6_6135:                             ;   in Loop: Header=BB6_4406 Depth=4
	s_or_b64 exec, exec, s[30:31]
.LBB6_6136:                             ;   in Loop: Header=BB6_4406 Depth=4
	s_or_b64 exec, exec, s[28:29]
	v_cmp_lt_u32_e32 vcc, s57, v22
	s_and_saveexec_b64 s[28:29], vcc
	s_cbranch_execz .LBB6_6142
; %bb.6137:                             ;   in Loop: Header=BB6_4406 Depth=4
	v_lshrrev_b32_e32 v20, 24, v22
	v_cmp_ne_u32_e32 vcc, s96, v20
	v_bfrev_b32_e32 v3, 1
	s_and_saveexec_b64 s[30:31], vcc
	s_cbranch_execz .LBB6_6141
; %bb.6138:                             ;   in Loop: Header=BB6_4406 Depth=4
	v_bfe_u32 v5, v22, 24, 7
	v_cmp_ne_u32_e32 vcc, s86, v5
	v_mov_b32_e32 v3, 0x7f800001
	s_and_saveexec_b64 s[34:35], vcc
	s_cbranch_execz .LBB6_6140
; %bb.6139:                             ;   in Loop: Header=BB6_4406 Depth=4
	v_and_b32_e32 v3, 7, v20
	v_lshrrev_b32_e32 v21, 3, v5
	v_cmp_gt_u32_e32 vcc, 8, v5
	v_ffbh_u32_e32 v5, v3
	v_min_u32_e32 v5, 32, v5
	v_subrev_u32_e32 v24, 28, v5
	v_lshlrev_b64 v[24:25], v24, v[20:21]
	v_sub_u32_e32 v5, 29, v5
	v_and_b32_e32 v24, 7, v24
	v_cndmask_b32_e32 v5, v21, v5, vcc
	v_cndmask_b32_e32 v3, v3, v24, vcc
	v_lshlrev_b32_e32 v20, 24, v20
	v_bfrev_b32_e32 v21, 60
	v_lshlrev_b32_e32 v3, 20, v3
	v_and_b32_e32 v20, 0x80000000, v20
	v_lshl_add_u32 v5, v5, 23, v21
	v_or3_b32 v3, v20, v5, v3
.LBB6_6140:                             ;   in Loop: Header=BB6_4406 Depth=4
	s_or_b64 exec, exec, s[34:35]
.LBB6_6141:                             ;   in Loop: Header=BB6_4406 Depth=4
	s_or_b64 exec, exec, s[30:31]
.LBB6_6142:                             ;   in Loop: Header=BB6_4406 Depth=4
	s_or_b64 exec, exec, s[28:29]
	v_add_f32_e32 v4, v4, v3
	v_and_b32_e32 v50, 0x7f800000, v4
	v_cmp_ne_u64_e32 vcc, s[76:77], v[50:51]
                                        ; implicit-def: $vgpr0
                                        ; kill: killed $vgpr0
	s_and_saveexec_b64 s[28:29], vcc
	s_xor_b64 s[30:31], exec, s[28:29]
	s_cbranch_execz .LBB6_6156
; %bb.6143:                             ;   in Loop: Header=BB6_4406 Depth=4
	v_and_b32_e32 v50, 0x7fffffff, v4
	v_cmp_gt_u64_e32 vcc, s[78:79], v[50:51]
	v_and_b32_sdwa v3, v4, s96 dst_sel:DWORD dst_unused:UNUSED_PAD src0_sel:BYTE_3 src1_sel:DWORD
                                        ; implicit-def: $vgpr0
                                        ; kill: killed $vgpr0
	s_and_saveexec_b64 s[28:29], vcc
	s_xor_b64 s[34:35], exec, s[28:29]
	s_cbranch_execz .LBB6_6153
; %bb.6144:                             ;   in Loop: Header=BB6_4406 Depth=4
	v_mov_b32_e32 v0, 0
	v_cmp_ne_u32_e32 vcc, 0, v4
	buffer_store_dword v0, off, s[0:3], s33 offset:272 ; 4-byte Folded Spill
	s_and_saveexec_b64 s[36:37], vcc
	s_cbranch_execz .LBB6_6152
; %bb.6145:                             ;   in Loop: Header=BB6_4406 Depth=4
	v_bfe_u32 v24, v4, 23, 8
	v_and_b32_e32 v5, 0x7fffff, v4
	v_cmp_gt_u32_e64 s[28:29], s97, v24
	v_sub_u32_e32 v4, 0x79, v24
	v_cmp_eq_u32_e32 vcc, 0, v24
	v_cndmask_b32_e64 v4, 0, v4, s[28:29]
	v_mov_b32_e32 v21, 0x78
	v_cndmask_b32_e32 v25, v4, v21, vcc
	v_or_b32_e32 v20, 0x800000, v5
	v_add_u32_e32 v4, 20, v25
	v_cndmask_b32_e32 v50, v20, v5, vcc
	v_lshlrev_b64 v[4:5], v4, -1
	v_add_u32_e32 v20, 19, v25
	v_lshlrev_b64 v[20:21], v20, 1
	v_bfi_b32 v5, v5, 0, 0
	v_bfi_b32 v4, v4, 0, v50
	v_cmp_eq_u64_e64 s[28:29], v[4:5], v[20:21]
	v_lshrrev_b64 v[20:21], v25, v[50:51]
	v_mov_b32_e32 v4, v20
	v_mov_b32_e32 v5, v21
	s_and_saveexec_b64 s[38:39], s[28:29]
; %bb.6146:                             ;   in Loop: Header=BB6_4406 Depth=4
	v_bfe_u32 v4, v20, 20, 1
	v_add_co_u32_e64 v4, s[28:29], v20, v4
	v_add_co_u32_e64 v4, s[28:29], -1, v4
; %bb.6147:                             ;   in Loop: Header=BB6_4406 Depth=4
	s_or_b64 exec, exec, s[38:39]
	v_add_u32_e32 v5, 0xffffff81, v24
	v_mov_b32_e32 v21, 0xffffff82
	v_cndmask_b32_e32 v5, v5, v21, vcc
	v_lshrrev_b32_e32 v21, 23, v20
	v_add3_u32 v24, v25, v5, v21
	v_add_u32_e32 v5, 6, v24
	v_and_b32_e32 v4, 0xfffff, v4
	v_add_u32_e32 v50, v4, v20
	v_cmp_ne_u32_e32 vcc, 0, v5
                                        ; implicit-def: $vgpr20_vgpr21
                                        ; implicit-def: $vgpr4
	s_and_saveexec_b64 s[28:29], vcc
	s_xor_b64 s[28:29], exec, s[28:29]
; %bb.6148:                             ;   in Loop: Header=BB6_4406 Depth=4
	v_cmp_lt_u64_e32 vcc, s[88:89], v[50:51]
	v_add_u32_e32 v4, 7, v24
	v_cndmask_b32_e32 v4, v5, v4, vcc
	v_cndmask_b32_e64 v5, 0, 1, vcc
	v_lshrrev_b64 v[20:21], v5, v[50:51]
; %bb.6149:                             ;   in Loop: Header=BB6_4406 Depth=4
	s_andn2_saveexec_b64 s[28:29], s[28:29]
; %bb.6150:                             ;   in Loop: Header=BB6_4406 Depth=4
	v_mov_b32_e32 v20, v50
	v_bfe_u32 v4, v50, 23, 1
	v_mov_b32_e32 v21, v51
; %bb.6151:                             ;   in Loop: Header=BB6_4406 Depth=4
	s_or_b64 exec, exec, s[28:29]
	v_lshrrev_b64 v[20:21], 20, v[20:21]
	v_cmp_gt_i32_e32 vcc, 16, v4
	v_cndmask_b32_e32 v21, 0, v21, vcc
	v_cndmask_b32_e32 v20, 7, v20, vcc
	v_cmp_eq_u32_e32 vcc, 0, v4
	v_min_i32_e32 v4, 15, v4
	v_cmp_eq_u64_e64 s[28:29], 0, v[20:21]
	v_lshlrev_b32_e32 v4, 3, v4
	v_and_b32_e32 v4, 0xf8, v4
	v_and_or_b32 v4, v20, 7, v4
	s_and_b64 s[28:29], vcc, s[28:29]
	v_cndmask_b32_e64 v4, v4, 0, s[28:29]
	v_or_b32_e32 v0, v4, v3
	buffer_store_dword v0, off, s[0:3], s33 offset:272 ; 4-byte Folded Spill
.LBB6_6152:                             ;   in Loop: Header=BB6_4406 Depth=4
	s_or_b64 exec, exec, s[36:37]
                                        ; implicit-def: $vgpr3
.LBB6_6153:                             ;   in Loop: Header=BB6_4406 Depth=4
	s_andn2_saveexec_b64 s[28:29], s[34:35]
	s_cbranch_execz .LBB6_6155
; %bb.6154:                             ;   in Loop: Header=BB6_4406 Depth=4
	v_or_b32_e32 v0, 0x7e, v3
	buffer_store_dword v0, off, s[0:3], s33 offset:272 ; 4-byte Folded Spill
.LBB6_6155:                             ;   in Loop: Header=BB6_4406 Depth=4
	s_or_b64 exec, exec, s[28:29]
                                        ; implicit-def: $vgpr4
.LBB6_6156:                             ;   in Loop: Header=BB6_4406 Depth=4
	s_andn2_saveexec_b64 s[28:29], s[30:31]
	s_cbranch_execz .LBB6_6158
; %bb.6157:                             ;   in Loop: Header=BB6_4406 Depth=4
	v_or_b32_sdwa v0, v4, s86 dst_sel:DWORD dst_unused:UNUSED_PAD src0_sel:BYTE_3 src1_sel:DWORD
	buffer_store_dword v0, off, s[0:3], s33 offset:272 ; 4-byte Folded Spill
.LBB6_6158:                             ;   in Loop: Header=BB6_4406 Depth=4
	s_or_b64 exec, exec, s[28:29]
	buffer_load_dword v0, off, s[0:3], s33 offset:260 ; 4-byte Folded Reload
	v_lshlrev_b32_e32 v4, 24, v45
	v_lshlrev_b32_e32 v5, 16, v36
	v_cmp_ne_u32_e32 vcc, 0, v30
	s_waitcnt vmcnt(0)
	v_lshl_or_b32 v3, v0, 8, v30
	v_or3_b32 v50, v5, v4, v3
	v_mov_b32_e32 v5, 0
	v_mov_b32_e32 v4, 0
	s_and_saveexec_b64 s[28:29], vcc
	s_cbranch_execz .LBB6_6164
; %bb.6159:                             ;   in Loop: Header=BB6_4406 Depth=4
	v_cmp_ne_u32_e32 vcc, s96, v30
	v_bfrev_b32_e32 v4, 1
	s_and_saveexec_b64 s[30:31], vcc
	s_cbranch_execz .LBB6_6163
; %bb.6160:                             ;   in Loop: Header=BB6_4406 Depth=4
	v_and_b32_e32 v20, 0x7f, v30
	v_cmp_ne_u32_e32 vcc, s86, v20
	v_mov_b32_e32 v4, 0x7f800001
	s_and_saveexec_b64 s[34:35], vcc
	s_cbranch_execz .LBB6_6162
; %bb.6161:                             ;   in Loop: Header=BB6_4406 Depth=4
	v_and_b32_e32 v4, 7, v30
	v_ffbh_u32_e32 v4, v4
	v_min_u32_e32 v4, 32, v4
	v_lshrrev_b32_e32 v21, 3, v20
	v_cmp_gt_u32_e32 vcc, 8, v20
	v_subrev_u32_e32 v20, 28, v4
	v_sub_u32_e32 v4, 29, v4
	v_cndmask_b32_e32 v20, 0, v20, vcc
	v_cndmask_b32_e32 v4, v21, v4, vcc
	v_lshlrev_b64 v[20:21], v20, v[50:51]
	v_lshlrev_b32_e32 v21, 24, v50
	v_lshlrev_b32_e32 v20, 20, v20
	v_bfrev_b32_e32 v24, 60
	v_and_b32_e32 v20, 0x700000, v20
	v_and_b32_e32 v21, 0x80000000, v21
	v_lshl_add_u32 v4, v4, 23, v24
	v_or3_b32 v4, v21, v4, v20
.LBB6_6162:                             ;   in Loop: Header=BB6_4406 Depth=4
	s_or_b64 exec, exec, s[34:35]
.LBB6_6163:                             ;   in Loop: Header=BB6_4406 Depth=4
	s_or_b64 exec, exec, s[30:31]
.LBB6_6164:                             ;   in Loop: Header=BB6_4406 Depth=4
	s_or_b64 exec, exec, s[28:29]
	v_cmp_ne_u16_sdwa vcc, v23, v51 src0_sel:BYTE_0 src1_sel:DWORD
	s_and_saveexec_b64 s[28:29], vcc
	s_cbranch_execz .LBB6_6170
; %bb.6165:                             ;   in Loop: Header=BB6_4406 Depth=4
	v_cmp_ne_u16_sdwa vcc, v23, s96 src0_sel:BYTE_0 src1_sel:DWORD
	v_bfrev_b32_e32 v5, 1
	s_and_saveexec_b64 s[30:31], vcc
	s_cbranch_execz .LBB6_6169
; %bb.6166:                             ;   in Loop: Header=BB6_4406 Depth=4
	v_and_b32_e32 v20, 0x7f, v23
	v_cmp_ne_u32_e32 vcc, s86, v20
	v_mov_b32_e32 v5, 0x7f800001
	s_and_saveexec_b64 s[34:35], vcc
	s_cbranch_execz .LBB6_6168
; %bb.6167:                             ;   in Loop: Header=BB6_4406 Depth=4
	v_and_b32_e32 v5, 7, v23
	v_ffbh_u32_e32 v5, v5
	v_min_u32_e32 v5, 32, v5
	v_lshrrev_b32_e32 v21, 3, v20
	v_cmp_gt_u32_e32 vcc, 8, v20
	v_subrev_u32_e32 v20, 28, v5
	v_mov_b32_e32 v24, v23
	v_mov_b32_e32 v25, v51
	v_sub_u32_e32 v5, 29, v5
	v_cndmask_b32_e32 v20, 0, v20, vcc
	v_cndmask_b32_e32 v5, v21, v5, vcc
	v_lshlrev_b64 v[20:21], v20, v[24:25]
	v_lshlrev_b32_e32 v21, 24, v24
	v_lshlrev_b32_e32 v20, 20, v20
	v_bfrev_b32_e32 v24, 60
	v_and_b32_e32 v20, 0x700000, v20
	v_and_b32_e32 v21, 0x80000000, v21
	v_lshl_add_u32 v5, v5, 23, v24
	v_or3_b32 v5, v21, v5, v20
.LBB6_6168:                             ;   in Loop: Header=BB6_4406 Depth=4
	s_or_b64 exec, exec, s[34:35]
.LBB6_6169:                             ;   in Loop: Header=BB6_4406 Depth=4
	s_or_b64 exec, exec, s[30:31]
.LBB6_6170:                             ;   in Loop: Header=BB6_4406 Depth=4
	s_or_b64 exec, exec, s[28:29]
	v_add_f32_e32 v4, v4, v5
	v_and_b32_e32 v20, 0x7f800000, v4
	v_mov_b32_e32 v21, v51
	v_cmp_ne_u64_e32 vcc, s[76:77], v[20:21]
                                        ; implicit-def: $vgpr0
                                        ; kill: killed $vgpr0
	s_and_saveexec_b64 s[28:29], vcc
	s_xor_b64 s[30:31], exec, s[28:29]
	s_cbranch_execz .LBB6_6184
; %bb.6171:                             ;   in Loop: Header=BB6_4406 Depth=4
	v_and_b32_e32 v20, 0x7fffffff, v4
	v_mov_b32_e32 v21, v51
	v_cmp_gt_u64_e32 vcc, s[78:79], v[20:21]
	v_and_b32_sdwa v24, v4, s96 dst_sel:DWORD dst_unused:UNUSED_PAD src0_sel:BYTE_3 src1_sel:DWORD
                                        ; implicit-def: $vgpr0
                                        ; kill: killed $vgpr0
	s_and_saveexec_b64 s[28:29], vcc
	s_xor_b64 s[34:35], exec, s[28:29]
	s_cbranch_execz .LBB6_6181
; %bb.6172:                             ;   in Loop: Header=BB6_4406 Depth=4
	v_mov_b32_e32 v0, 0
	v_cmp_ne_u32_e32 vcc, 0, v4
	buffer_store_dword v0, off, s[0:3], s33 offset:260 ; 4-byte Folded Spill
	s_and_saveexec_b64 s[36:37], vcc
	s_cbranch_execz .LBB6_6180
; %bb.6173:                             ;   in Loop: Header=BB6_4406 Depth=4
	v_bfe_u32 v25, v4, 23, 8
	v_and_b32_e32 v5, 0x7fffff, v4
	v_cmp_gt_u32_e64 s[28:29], s97, v25
	v_sub_u32_e32 v4, 0x79, v25
	v_cmp_eq_u32_e32 vcc, 0, v25
	v_cndmask_b32_e64 v4, 0, v4, s[28:29]
	v_mov_b32_e32 v21, 0x78
	v_or_b32_e32 v20, 0x800000, v5
	v_cndmask_b32_e32 v30, v4, v21, vcc
	v_cndmask_b32_e32 v4, v20, v5, vcc
	v_add_u32_e32 v20, 20, v30
	v_lshlrev_b64 v[20:21], v20, -1
	v_add_u32_e32 v32, 19, v30
	v_lshlrev_b64 v[32:33], v32, 1
	v_mov_b32_e32 v5, v51
	v_bfi_b32 v21, v21, 0, 0
	v_bfi_b32 v20, v20, 0, v4
	v_cmp_eq_u64_e64 s[28:29], v[20:21], v[32:33]
	v_lshrrev_b64 v[20:21], v30, v[4:5]
	v_mov_b32_e32 v4, v20
	v_mov_b32_e32 v5, v21
	s_and_saveexec_b64 s[38:39], s[28:29]
; %bb.6174:                             ;   in Loop: Header=BB6_4406 Depth=4
	v_bfe_u32 v4, v20, 20, 1
	v_add_co_u32_e64 v4, s[28:29], v20, v4
	v_add_co_u32_e64 v4, s[28:29], -1, v4
; %bb.6175:                             ;   in Loop: Header=BB6_4406 Depth=4
	s_or_b64 exec, exec, s[38:39]
	v_add_u32_e32 v5, 0xffffff81, v25
	v_mov_b32_e32 v21, 0xffffff82
	v_cndmask_b32_e32 v5, v5, v21, vcc
	v_lshrrev_b32_e32 v21, 23, v20
	v_add3_u32 v25, v30, v5, v21
	v_add_u32_e32 v5, 6, v25
	v_and_b32_e32 v4, 0xfffff, v4
	v_add_u32_e32 v20, v4, v20
	v_mov_b32_e32 v21, v51
	v_cmp_ne_u32_e32 vcc, 0, v5
                                        ; implicit-def: $vgpr4
	s_and_saveexec_b64 s[28:29], vcc
	s_xor_b64 s[28:29], exec, s[28:29]
; %bb.6176:                             ;   in Loop: Header=BB6_4406 Depth=4
	v_cmp_lt_u64_e32 vcc, s[88:89], v[20:21]
	v_add_u32_e32 v4, 7, v25
	v_cndmask_b32_e32 v4, v5, v4, vcc
	v_cndmask_b32_e64 v5, 0, 1, vcc
	v_lshrrev_b64 v[20:21], v5, v[20:21]
; %bb.6177:                             ;   in Loop: Header=BB6_4406 Depth=4
	s_andn2_saveexec_b64 s[28:29], s[28:29]
; %bb.6178:                             ;   in Loop: Header=BB6_4406 Depth=4
	v_bfe_u32 v4, v20, 23, 1
; %bb.6179:                             ;   in Loop: Header=BB6_4406 Depth=4
	s_or_b64 exec, exec, s[28:29]
	v_lshrrev_b64 v[20:21], 20, v[20:21]
	v_cmp_gt_i32_e32 vcc, 16, v4
	v_cndmask_b32_e32 v21, 0, v21, vcc
	v_cndmask_b32_e32 v20, 7, v20, vcc
	v_cmp_eq_u32_e32 vcc, 0, v4
	v_min_i32_e32 v4, 15, v4
	v_cmp_eq_u64_e64 s[28:29], 0, v[20:21]
	v_lshlrev_b32_e32 v4, 3, v4
	v_and_b32_e32 v4, 0xf8, v4
	v_and_or_b32 v4, v20, 7, v4
	s_and_b64 s[28:29], vcc, s[28:29]
	v_cndmask_b32_e64 v4, v4, 0, s[28:29]
	v_or_b32_e32 v0, v4, v24
	buffer_store_dword v0, off, s[0:3], s33 offset:260 ; 4-byte Folded Spill
.LBB6_6180:                             ;   in Loop: Header=BB6_4406 Depth=4
	s_or_b64 exec, exec, s[36:37]
                                        ; implicit-def: $vgpr24
.LBB6_6181:                             ;   in Loop: Header=BB6_4406 Depth=4
	s_andn2_saveexec_b64 s[28:29], s[34:35]
	s_cbranch_execz .LBB6_6183
; %bb.6182:                             ;   in Loop: Header=BB6_4406 Depth=4
	v_or_b32_e32 v0, 0x7e, v24
	buffer_store_dword v0, off, s[0:3], s33 offset:260 ; 4-byte Folded Spill
.LBB6_6183:                             ;   in Loop: Header=BB6_4406 Depth=4
	s_or_b64 exec, exec, s[28:29]
                                        ; implicit-def: $vgpr4
.LBB6_6184:                             ;   in Loop: Header=BB6_4406 Depth=4
	s_andn2_saveexec_b64 s[28:29], s[30:31]
	s_cbranch_execz .LBB6_6186
; %bb.6185:                             ;   in Loop: Header=BB6_4406 Depth=4
	v_or_b32_sdwa v0, v4, s86 dst_sel:DWORD dst_unused:UNUSED_PAD src0_sel:BYTE_3 src1_sel:DWORD
	buffer_store_dword v0, off, s[0:3], s33 offset:260 ; 4-byte Folded Spill
.LBB6_6186:                             ;   in Loop: Header=BB6_4406 Depth=4
	s_or_b64 exec, exec, s[28:29]
	v_lshrrev_b16_e32 v20, 8, v3
	v_cmp_ne_u16_e32 vcc, 0, v20
	v_mov_b32_e32 v4, 0
	v_mov_b32_e32 v5, 0
	s_and_saveexec_b64 s[28:29], vcc
	s_cbranch_execz .LBB6_6192
; %bb.6187:                             ;   in Loop: Header=BB6_4406 Depth=4
	v_cmp_ne_u16_e32 vcc, s96, v20
	v_bfrev_b32_e32 v5, 1
	s_and_saveexec_b64 s[30:31], vcc
	s_cbranch_execz .LBB6_6191
; %bb.6188:                             ;   in Loop: Header=BB6_4406 Depth=4
	v_and_b32_e32 v21, 0x7f, v20
	v_cmp_ne_u32_e32 vcc, s86, v21
	v_mov_b32_e32 v5, 0x7f800001
	s_and_saveexec_b64 s[34:35], vcc
	s_cbranch_execz .LBB6_6190
; %bb.6189:                             ;   in Loop: Header=BB6_4406 Depth=4
	v_and_b32_e32 v5, 7, v20
	v_lshrrev_b32_e32 v24, 3, v21
	v_cmp_gt_u32_e32 vcc, 8, v21
	v_ffbh_u32_e32 v21, v5
	v_min_u32_e32 v25, 32, v21
	v_subrev_u32_e32 v21, 28, v25
	v_lshlrev_b64 v[20:21], v21, v[20:21]
	v_sub_u32_e32 v21, 29, v25
	v_and_b32_e32 v20, 7, v20
	v_cndmask_b32_e32 v21, v24, v21, vcc
	v_cndmask_b32_e32 v5, v5, v20, vcc
	v_lshlrev_b32_e32 v3, 16, v3
	v_bfrev_b32_e32 v20, 60
	v_lshlrev_b32_e32 v5, 20, v5
	v_and_b32_e32 v3, 0x80000000, v3
	v_lshl_add_u32 v20, v21, 23, v20
	v_or3_b32 v5, v3, v20, v5
.LBB6_6190:                             ;   in Loop: Header=BB6_4406 Depth=4
	s_or_b64 exec, exec, s[34:35]
.LBB6_6191:                             ;   in Loop: Header=BB6_4406 Depth=4
	s_or_b64 exec, exec, s[30:31]
.LBB6_6192:                             ;   in Loop: Header=BB6_4406 Depth=4
	s_or_b64 exec, exec, s[28:29]
	v_lshrrev_b16_e32 v20, 8, v23
	v_cmp_ne_u16_e32 vcc, 0, v20
	s_and_saveexec_b64 s[28:29], vcc
	s_cbranch_execz .LBB6_6198
; %bb.6193:                             ;   in Loop: Header=BB6_4406 Depth=4
	v_cmp_ne_u16_e32 vcc, s96, v20
	v_bfrev_b32_e32 v4, 1
	s_and_saveexec_b64 s[30:31], vcc
	s_cbranch_execz .LBB6_6197
; %bb.6194:                             ;   in Loop: Header=BB6_4406 Depth=4
	v_and_b32_e32 v3, 0x7f, v20
	v_cmp_ne_u32_e32 vcc, s86, v3
	v_mov_b32_e32 v4, 0x7f800001
	s_and_saveexec_b64 s[34:35], vcc
	s_cbranch_execz .LBB6_6196
; %bb.6195:                             ;   in Loop: Header=BB6_4406 Depth=4
	v_and_b32_e32 v21, 7, v20
	v_lshrrev_b32_e32 v24, 3, v3
	v_cmp_gt_u32_e32 vcc, 8, v3
	v_ffbh_u32_e32 v3, v21
	v_min_u32_e32 v25, 32, v3
	v_subrev_u32_e32 v3, 28, v25
	v_lshlrev_b64 v[3:4], v3, v[20:21]
	v_sub_u32_e32 v4, 29, v25
	v_and_b32_e32 v3, 7, v3
	v_cndmask_b32_e32 v4, v24, v4, vcc
	v_cndmask_b32_e32 v3, v21, v3, vcc
	v_lshlrev_b32_e32 v20, 16, v23
	v_bfrev_b32_e32 v21, 60
	v_lshlrev_b32_e32 v3, 20, v3
	v_and_b32_e32 v20, 0x80000000, v20
	v_lshl_add_u32 v4, v4, 23, v21
	v_or3_b32 v4, v20, v4, v3
.LBB6_6196:                             ;   in Loop: Header=BB6_4406 Depth=4
	s_or_b64 exec, exec, s[34:35]
.LBB6_6197:                             ;   in Loop: Header=BB6_4406 Depth=4
	s_or_b64 exec, exec, s[30:31]
.LBB6_6198:                             ;   in Loop: Header=BB6_4406 Depth=4
	s_or_b64 exec, exec, s[28:29]
	v_add_f32_e32 v4, v5, v4
	v_and_b32_e32 v20, 0x7f800000, v4
	v_mov_b32_e32 v21, v51
	v_cmp_ne_u64_e32 vcc, s[76:77], v[20:21]
                                        ; implicit-def: $vgpr0
                                        ; kill: killed $vgpr0
	s_and_saveexec_b64 s[28:29], vcc
	s_xor_b64 s[30:31], exec, s[28:29]
	s_cbranch_execz .LBB6_6212
; %bb.6199:                             ;   in Loop: Header=BB6_4406 Depth=4
	v_and_b32_e32 v20, 0x7fffffff, v4
	v_mov_b32_e32 v21, v51
	v_cmp_gt_u64_e32 vcc, s[78:79], v[20:21]
	v_and_b32_sdwa v3, v4, s96 dst_sel:DWORD dst_unused:UNUSED_PAD src0_sel:BYTE_3 src1_sel:DWORD
                                        ; implicit-def: $vgpr0
                                        ; kill: killed $vgpr0
	s_and_saveexec_b64 s[28:29], vcc
	s_xor_b64 s[34:35], exec, s[28:29]
	s_cbranch_execz .LBB6_6209
; %bb.6200:                             ;   in Loop: Header=BB6_4406 Depth=4
	v_mov_b32_e32 v0, 0
	v_cmp_ne_u32_e32 vcc, 0, v4
	buffer_store_dword v0, off, s[0:3], s33 offset:276 ; 4-byte Folded Spill
	s_and_saveexec_b64 s[36:37], vcc
	s_cbranch_execz .LBB6_6208
; %bb.6201:                             ;   in Loop: Header=BB6_4406 Depth=4
	v_bfe_u32 v24, v4, 23, 8
	v_and_b32_e32 v5, 0x7fffff, v4
	v_cmp_gt_u32_e64 s[28:29], s97, v24
	v_sub_u32_e32 v4, 0x79, v24
	v_cmp_eq_u32_e32 vcc, 0, v24
	v_cndmask_b32_e64 v4, 0, v4, s[28:29]
	v_mov_b32_e32 v21, 0x78
	v_or_b32_e32 v20, 0x800000, v5
	v_cndmask_b32_e32 v25, v4, v21, vcc
	v_cndmask_b32_e32 v4, v20, v5, vcc
	v_add_u32_e32 v20, 20, v25
	v_lshlrev_b64 v[20:21], v20, -1
	v_add_u32_e32 v30, 19, v25
	v_lshlrev_b64 v[32:33], v30, 1
	v_mov_b32_e32 v5, v51
	v_bfi_b32 v21, v21, 0, 0
	v_bfi_b32 v20, v20, 0, v4
	v_cmp_eq_u64_e64 s[28:29], v[20:21], v[32:33]
	v_lshrrev_b64 v[20:21], v25, v[4:5]
	v_mov_b32_e32 v4, v20
	v_mov_b32_e32 v5, v21
	s_and_saveexec_b64 s[38:39], s[28:29]
; %bb.6202:                             ;   in Loop: Header=BB6_4406 Depth=4
	v_bfe_u32 v4, v20, 20, 1
	v_add_co_u32_e64 v4, s[28:29], v20, v4
	v_add_co_u32_e64 v4, s[28:29], -1, v4
; %bb.6203:                             ;   in Loop: Header=BB6_4406 Depth=4
	s_or_b64 exec, exec, s[38:39]
	v_add_u32_e32 v5, 0xffffff81, v24
	v_mov_b32_e32 v21, 0xffffff82
	v_cndmask_b32_e32 v5, v5, v21, vcc
	v_lshrrev_b32_e32 v21, 23, v20
	v_add3_u32 v24, v25, v5, v21
	v_add_u32_e32 v5, 6, v24
	v_and_b32_e32 v4, 0xfffff, v4
	v_add_u32_e32 v20, v4, v20
	v_mov_b32_e32 v21, v51
	v_cmp_ne_u32_e32 vcc, 0, v5
                                        ; implicit-def: $vgpr4
	s_and_saveexec_b64 s[28:29], vcc
	s_xor_b64 s[28:29], exec, s[28:29]
; %bb.6204:                             ;   in Loop: Header=BB6_4406 Depth=4
	v_cmp_lt_u64_e32 vcc, s[88:89], v[20:21]
	v_add_u32_e32 v4, 7, v24
	v_cndmask_b32_e32 v4, v5, v4, vcc
	v_cndmask_b32_e64 v5, 0, 1, vcc
	v_lshrrev_b64 v[20:21], v5, v[20:21]
; %bb.6205:                             ;   in Loop: Header=BB6_4406 Depth=4
	s_andn2_saveexec_b64 s[28:29], s[28:29]
; %bb.6206:                             ;   in Loop: Header=BB6_4406 Depth=4
	v_bfe_u32 v4, v20, 23, 1
; %bb.6207:                             ;   in Loop: Header=BB6_4406 Depth=4
	s_or_b64 exec, exec, s[28:29]
	v_lshrrev_b64 v[20:21], 20, v[20:21]
	v_cmp_gt_i32_e32 vcc, 16, v4
	v_cndmask_b32_e32 v21, 0, v21, vcc
	v_cndmask_b32_e32 v20, 7, v20, vcc
	v_cmp_eq_u32_e32 vcc, 0, v4
	v_min_i32_e32 v4, 15, v4
	v_cmp_eq_u64_e64 s[28:29], 0, v[20:21]
	v_lshlrev_b32_e32 v4, 3, v4
	v_and_b32_e32 v4, 0xf8, v4
	v_and_or_b32 v4, v20, 7, v4
	s_and_b64 s[28:29], vcc, s[28:29]
	v_cndmask_b32_e64 v4, v4, 0, s[28:29]
	v_or_b32_e32 v0, v4, v3
	buffer_store_dword v0, off, s[0:3], s33 offset:276 ; 4-byte Folded Spill
.LBB6_6208:                             ;   in Loop: Header=BB6_4406 Depth=4
	s_or_b64 exec, exec, s[36:37]
                                        ; implicit-def: $vgpr3
.LBB6_6209:                             ;   in Loop: Header=BB6_4406 Depth=4
	s_andn2_saveexec_b64 s[28:29], s[34:35]
	s_cbranch_execz .LBB6_6211
; %bb.6210:                             ;   in Loop: Header=BB6_4406 Depth=4
	v_or_b32_e32 v0, 0x7e, v3
	buffer_store_dword v0, off, s[0:3], s33 offset:276 ; 4-byte Folded Spill
.LBB6_6211:                             ;   in Loop: Header=BB6_4406 Depth=4
	s_or_b64 exec, exec, s[28:29]
                                        ; implicit-def: $vgpr4
.LBB6_6212:                             ;   in Loop: Header=BB6_4406 Depth=4
	s_andn2_saveexec_b64 s[28:29], s[30:31]
	s_cbranch_execz .LBB6_6214
; %bb.6213:                             ;   in Loop: Header=BB6_4406 Depth=4
	v_or_b32_sdwa v0, v4, s86 dst_sel:DWORD dst_unused:UNUSED_PAD src0_sel:BYTE_3 src1_sel:DWORD
	buffer_store_dword v0, off, s[0:3], s33 offset:276 ; 4-byte Folded Spill
.LBB6_6214:                             ;   in Loop: Header=BB6_4406 Depth=4
	s_or_b64 exec, exec, s[28:29]
	v_lshrrev_b32_e32 v20, 16, v50
	v_cmp_ne_u16_sdwa vcc, v20, v51 src0_sel:BYTE_0 src1_sel:DWORD
	v_mov_b32_e32 v3, 0
	v_mov_b32_e32 v4, 0
	s_and_saveexec_b64 s[28:29], vcc
	s_cbranch_execz .LBB6_6220
; %bb.6215:                             ;   in Loop: Header=BB6_4406 Depth=4
	v_cmp_ne_u16_sdwa vcc, v20, s96 src0_sel:BYTE_0 src1_sel:DWORD
	v_bfrev_b32_e32 v4, 1
	s_and_saveexec_b64 s[30:31], vcc
	s_cbranch_execz .LBB6_6219
; %bb.6216:                             ;   in Loop: Header=BB6_4406 Depth=4
	v_bfe_u32 v5, v50, 16, 7
	v_cmp_ne_u32_e32 vcc, s86, v5
	v_mov_b32_e32 v4, 0x7f800001
	s_and_saveexec_b64 s[34:35], vcc
	s_cbranch_execz .LBB6_6218
; %bb.6217:                             ;   in Loop: Header=BB6_4406 Depth=4
	v_and_b32_e32 v21, 7, v20
	v_ffbh_u32_e32 v4, v21
	v_min_u32_e32 v25, 32, v4
	v_subrev_u32_e32 v4, 28, v25
	v_lshrrev_b32_e32 v24, 3, v5
	v_cmp_gt_u32_e32 vcc, 8, v5
	v_lshlrev_b64 v[4:5], v4, v[20:21]
	v_sub_u32_e32 v5, 29, v25
	v_and_b32_e32 v4, 7, v4
	v_cndmask_b32_e32 v5, v24, v5, vcc
	v_cndmask_b32_e32 v4, v21, v4, vcc
	v_lshlrev_b32_e32 v20, 24, v20
	v_bfrev_b32_e32 v21, 60
	v_lshlrev_b32_e32 v4, 20, v4
	v_and_b32_e32 v20, 0x80000000, v20
	v_lshl_add_u32 v5, v5, 23, v21
	v_or3_b32 v4, v20, v5, v4
.LBB6_6218:                             ;   in Loop: Header=BB6_4406 Depth=4
	s_or_b64 exec, exec, s[34:35]
.LBB6_6219:                             ;   in Loop: Header=BB6_4406 Depth=4
	s_or_b64 exec, exec, s[30:31]
.LBB6_6220:                             ;   in Loop: Header=BB6_4406 Depth=4
	s_or_b64 exec, exec, s[28:29]
	v_lshrrev_b32_e32 v20, 16, v23
	v_cmp_ne_u16_sdwa vcc, v20, v51 src0_sel:BYTE_0 src1_sel:DWORD
	s_and_saveexec_b64 s[28:29], vcc
	s_cbranch_execz .LBB6_6226
; %bb.6221:                             ;   in Loop: Header=BB6_4406 Depth=4
	v_cmp_ne_u16_sdwa vcc, v20, s96 src0_sel:BYTE_0 src1_sel:DWORD
	v_bfrev_b32_e32 v3, 1
	s_and_saveexec_b64 s[30:31], vcc
	s_cbranch_execz .LBB6_6225
; %bb.6222:                             ;   in Loop: Header=BB6_4406 Depth=4
	v_bfe_u32 v5, v23, 16, 7
	v_cmp_ne_u32_e32 vcc, s86, v5
	v_mov_b32_e32 v3, 0x7f800001
	s_and_saveexec_b64 s[34:35], vcc
	s_cbranch_execz .LBB6_6224
; %bb.6223:                             ;   in Loop: Header=BB6_4406 Depth=4
	v_and_b32_e32 v3, 7, v20
	v_lshrrev_b32_e32 v24, 3, v5
	v_cmp_gt_u32_e32 vcc, 8, v5
	v_ffbh_u32_e32 v5, v3
	v_min_u32_e32 v5, 32, v5
	v_subrev_u32_e32 v21, 28, v5
	v_lshlrev_b64 v[20:21], v21, v[20:21]
	v_sub_u32_e32 v5, 29, v5
	v_and_b32_e32 v20, 7, v20
	v_cndmask_b32_e32 v5, v24, v5, vcc
	v_cndmask_b32_e32 v3, v3, v20, vcc
	v_lshlrev_b32_e32 v20, 8, v23
	v_bfrev_b32_e32 v21, 60
	v_lshlrev_b32_e32 v3, 20, v3
	v_and_b32_e32 v20, 0x80000000, v20
	v_lshl_add_u32 v5, v5, 23, v21
	v_or3_b32 v3, v20, v5, v3
.LBB6_6224:                             ;   in Loop: Header=BB6_4406 Depth=4
	s_or_b64 exec, exec, s[34:35]
.LBB6_6225:                             ;   in Loop: Header=BB6_4406 Depth=4
	s_or_b64 exec, exec, s[30:31]
.LBB6_6226:                             ;   in Loop: Header=BB6_4406 Depth=4
	s_or_b64 exec, exec, s[28:29]
	v_add_f32_e32 v4, v4, v3
	v_and_b32_e32 v20, 0x7f800000, v4
	v_mov_b32_e32 v21, v51
	v_cmp_ne_u64_e32 vcc, s[76:77], v[20:21]
                                        ; implicit-def: $vgpr0
                                        ; kill: killed $vgpr0
	s_and_saveexec_b64 s[28:29], vcc
	s_xor_b64 s[30:31], exec, s[28:29]
	s_cbranch_execz .LBB6_6240
; %bb.6227:                             ;   in Loop: Header=BB6_4406 Depth=4
	v_and_b32_e32 v20, 0x7fffffff, v4
	v_mov_b32_e32 v21, v51
	v_cmp_gt_u64_e32 vcc, s[78:79], v[20:21]
	v_and_b32_sdwa v3, v4, s96 dst_sel:DWORD dst_unused:UNUSED_PAD src0_sel:BYTE_3 src1_sel:DWORD
                                        ; implicit-def: $vgpr0
                                        ; kill: killed $vgpr0
	s_and_saveexec_b64 s[28:29], vcc
	s_xor_b64 s[34:35], exec, s[28:29]
	s_cbranch_execz .LBB6_6237
; %bb.6228:                             ;   in Loop: Header=BB6_4406 Depth=4
	v_mov_b32_e32 v0, 0
	v_cmp_ne_u32_e32 vcc, 0, v4
	buffer_store_dword v0, off, s[0:3], s33 offset:280 ; 4-byte Folded Spill
	s_and_saveexec_b64 s[36:37], vcc
	s_cbranch_execz .LBB6_6236
; %bb.6229:                             ;   in Loop: Header=BB6_4406 Depth=4
	v_bfe_u32 v24, v4, 23, 8
	v_and_b32_e32 v5, 0x7fffff, v4
	v_cmp_gt_u32_e64 s[28:29], s97, v24
	v_sub_u32_e32 v4, 0x79, v24
	v_cmp_eq_u32_e32 vcc, 0, v24
	v_cndmask_b32_e64 v4, 0, v4, s[28:29]
	v_mov_b32_e32 v21, 0x78
	v_or_b32_e32 v20, 0x800000, v5
	v_cndmask_b32_e32 v25, v4, v21, vcc
	v_cndmask_b32_e32 v4, v20, v5, vcc
	v_add_u32_e32 v20, 20, v25
	v_lshlrev_b64 v[20:21], v20, -1
	v_add_u32_e32 v30, 19, v25
	v_lshlrev_b64 v[32:33], v30, 1
	v_mov_b32_e32 v5, v51
	v_bfi_b32 v21, v21, 0, 0
	v_bfi_b32 v20, v20, 0, v4
	v_cmp_eq_u64_e64 s[28:29], v[20:21], v[32:33]
	v_lshrrev_b64 v[20:21], v25, v[4:5]
	v_mov_b32_e32 v4, v20
	v_mov_b32_e32 v5, v21
	s_and_saveexec_b64 s[38:39], s[28:29]
; %bb.6230:                             ;   in Loop: Header=BB6_4406 Depth=4
	v_bfe_u32 v4, v20, 20, 1
	v_add_co_u32_e64 v4, s[28:29], v20, v4
	v_add_co_u32_e64 v4, s[28:29], -1, v4
; %bb.6231:                             ;   in Loop: Header=BB6_4406 Depth=4
	s_or_b64 exec, exec, s[38:39]
	v_add_u32_e32 v5, 0xffffff81, v24
	v_mov_b32_e32 v21, 0xffffff82
	v_cndmask_b32_e32 v5, v5, v21, vcc
	v_lshrrev_b32_e32 v21, 23, v20
	v_add3_u32 v24, v25, v5, v21
	v_add_u32_e32 v5, 6, v24
	v_and_b32_e32 v4, 0xfffff, v4
	v_add_u32_e32 v20, v4, v20
	v_mov_b32_e32 v21, v51
	v_cmp_ne_u32_e32 vcc, 0, v5
                                        ; implicit-def: $vgpr4
	s_and_saveexec_b64 s[28:29], vcc
	s_xor_b64 s[28:29], exec, s[28:29]
; %bb.6232:                             ;   in Loop: Header=BB6_4406 Depth=4
	v_cmp_lt_u64_e32 vcc, s[88:89], v[20:21]
	v_add_u32_e32 v4, 7, v24
	v_cndmask_b32_e32 v4, v5, v4, vcc
	v_cndmask_b32_e64 v5, 0, 1, vcc
	v_lshrrev_b64 v[20:21], v5, v[20:21]
; %bb.6233:                             ;   in Loop: Header=BB6_4406 Depth=4
	s_andn2_saveexec_b64 s[28:29], s[28:29]
; %bb.6234:                             ;   in Loop: Header=BB6_4406 Depth=4
	v_bfe_u32 v4, v20, 23, 1
; %bb.6235:                             ;   in Loop: Header=BB6_4406 Depth=4
	s_or_b64 exec, exec, s[28:29]
	v_lshrrev_b64 v[20:21], 20, v[20:21]
	v_cmp_gt_i32_e32 vcc, 16, v4
	v_cndmask_b32_e32 v21, 0, v21, vcc
	v_cndmask_b32_e32 v20, 7, v20, vcc
	v_cmp_eq_u32_e32 vcc, 0, v4
	v_min_i32_e32 v4, 15, v4
	v_cmp_eq_u64_e64 s[28:29], 0, v[20:21]
	v_lshlrev_b32_e32 v4, 3, v4
	v_and_b32_e32 v4, 0xf8, v4
	v_and_or_b32 v4, v20, 7, v4
	s_and_b64 s[28:29], vcc, s[28:29]
	v_cndmask_b32_e64 v4, v4, 0, s[28:29]
	v_or_b32_e32 v0, v4, v3
	buffer_store_dword v0, off, s[0:3], s33 offset:280 ; 4-byte Folded Spill
.LBB6_6236:                             ;   in Loop: Header=BB6_4406 Depth=4
	s_or_b64 exec, exec, s[36:37]
                                        ; implicit-def: $vgpr3
.LBB6_6237:                             ;   in Loop: Header=BB6_4406 Depth=4
	s_andn2_saveexec_b64 s[28:29], s[34:35]
	s_cbranch_execz .LBB6_6239
; %bb.6238:                             ;   in Loop: Header=BB6_4406 Depth=4
	v_or_b32_e32 v0, 0x7e, v3
	buffer_store_dword v0, off, s[0:3], s33 offset:280 ; 4-byte Folded Spill
.LBB6_6239:                             ;   in Loop: Header=BB6_4406 Depth=4
	s_or_b64 exec, exec, s[28:29]
                                        ; implicit-def: $vgpr4
.LBB6_6240:                             ;   in Loop: Header=BB6_4406 Depth=4
	s_andn2_saveexec_b64 s[28:29], s[30:31]
	s_cbranch_execz .LBB6_6242
; %bb.6241:                             ;   in Loop: Header=BB6_4406 Depth=4
	v_or_b32_sdwa v0, v4, s86 dst_sel:DWORD dst_unused:UNUSED_PAD src0_sel:BYTE_3 src1_sel:DWORD
	buffer_store_dword v0, off, s[0:3], s33 offset:280 ; 4-byte Folded Spill
.LBB6_6242:                             ;   in Loop: Header=BB6_4406 Depth=4
	s_or_b64 exec, exec, s[28:29]
	v_cmp_lt_u32_e32 vcc, s57, v50
	v_mov_b32_e32 v3, 0
	v_mov_b32_e32 v4, 0
	s_and_saveexec_b64 s[28:29], vcc
	s_cbranch_execz .LBB6_6248
; %bb.6243:                             ;   in Loop: Header=BB6_4406 Depth=4
	v_lshrrev_b32_e32 v20, 24, v50
	v_cmp_ne_u32_sdwa vcc, v50, s96 src0_sel:BYTE_3 src1_sel:DWORD
	v_bfrev_b32_e32 v4, 1
	s_and_saveexec_b64 s[30:31], vcc
	s_cbranch_execz .LBB6_6247
; %bb.6244:                             ;   in Loop: Header=BB6_4406 Depth=4
	v_bfe_u32 v5, v50, 24, 7
	v_cmp_ne_u32_e32 vcc, s86, v5
	v_mov_b32_e32 v4, 0x7f800001
	s_and_saveexec_b64 s[34:35], vcc
	s_cbranch_execz .LBB6_6246
; %bb.6245:                             ;   in Loop: Header=BB6_4406 Depth=4
	v_and_b32_e32 v21, 7, v20
	v_ffbh_u32_e32 v4, v21
	v_min_u32_e32 v25, 32, v4
	v_subrev_u32_e32 v4, 28, v25
	v_lshrrev_b32_e32 v24, 3, v5
	v_cmp_gt_u32_e32 vcc, 8, v5
	v_lshlrev_b64 v[4:5], v4, v[20:21]
	v_sub_u32_e32 v5, 29, v25
	v_and_b32_e32 v4, 7, v4
	v_mov_b32_e32 v20, 24
	v_cndmask_b32_e32 v5, v24, v5, vcc
	v_cndmask_b32_e32 v4, v21, v4, vcc
	v_lshlrev_b32_sdwa v20, v20, v50 dst_sel:DWORD dst_unused:UNUSED_PAD src0_sel:DWORD src1_sel:BYTE_3
	v_bfrev_b32_e32 v21, 60
	v_lshlrev_b32_e32 v4, 20, v4
	v_and_b32_e32 v20, 0x80000000, v20
	v_lshl_add_u32 v5, v5, 23, v21
	v_or3_b32 v4, v20, v5, v4
.LBB6_6246:                             ;   in Loop: Header=BB6_4406 Depth=4
	s_or_b64 exec, exec, s[34:35]
.LBB6_6247:                             ;   in Loop: Header=BB6_4406 Depth=4
	s_or_b64 exec, exec, s[30:31]
.LBB6_6248:                             ;   in Loop: Header=BB6_4406 Depth=4
	s_or_b64 exec, exec, s[28:29]
	v_cmp_lt_u64_e32 vcc, s[56:57], v[22:23]
	s_and_saveexec_b64 s[28:29], vcc
	s_cbranch_execz .LBB6_6254
; %bb.6249:                             ;   in Loop: Header=BB6_4406 Depth=4
	v_lshrrev_b32_e32 v20, 24, v23
	v_cmp_ne_u32_e32 vcc, s96, v20
	v_bfrev_b32_e32 v3, 1
	s_and_saveexec_b64 s[30:31], vcc
	s_cbranch_execz .LBB6_6253
; %bb.6250:                             ;   in Loop: Header=BB6_4406 Depth=4
	v_bfe_u32 v5, v23, 24, 7
	v_cmp_ne_u32_e32 vcc, s86, v5
	v_mov_b32_e32 v3, 0x7f800001
	s_and_saveexec_b64 s[34:35], vcc
	s_cbranch_execz .LBB6_6252
; %bb.6251:                             ;   in Loop: Header=BB6_4406 Depth=4
	v_and_b32_e32 v3, 7, v20
	v_lshrrev_b32_e32 v23, 3, v5
	v_cmp_gt_u32_e32 vcc, 8, v5
	v_ffbh_u32_e32 v5, v3
	v_min_u32_e32 v5, 32, v5
	v_subrev_u32_e32 v21, 28, v5
	v_lshlrev_b64 v[21:22], v21, v[20:21]
	v_sub_u32_e32 v5, 29, v5
	v_and_b32_e32 v21, 7, v21
	v_cndmask_b32_e32 v5, v23, v5, vcc
	v_cndmask_b32_e32 v3, v3, v21, vcc
	v_lshlrev_b32_e32 v20, 24, v20
	v_bfrev_b32_e32 v21, 60
	v_lshlrev_b32_e32 v3, 20, v3
	v_and_b32_e32 v20, 0x80000000, v20
	v_lshl_add_u32 v5, v5, 23, v21
	v_or3_b32 v3, v20, v5, v3
.LBB6_6252:                             ;   in Loop: Header=BB6_4406 Depth=4
	s_or_b64 exec, exec, s[34:35]
.LBB6_6253:                             ;   in Loop: Header=BB6_4406 Depth=4
	s_or_b64 exec, exec, s[30:31]
.LBB6_6254:                             ;   in Loop: Header=BB6_4406 Depth=4
	s_or_b64 exec, exec, s[28:29]
	v_add_f32_e32 v4, v4, v3
	v_and_b32_e32 v50, 0x7f800000, v4
	v_cmp_ne_u64_e32 vcc, s[76:77], v[50:51]
                                        ; implicit-def: $vgpr0
                                        ; kill: killed $vgpr0
	s_and_saveexec_b64 s[28:29], vcc
	s_xor_b64 s[30:31], exec, s[28:29]
	s_cbranch_execz .LBB6_6268
; %bb.6255:                             ;   in Loop: Header=BB6_4406 Depth=4
	v_and_b32_e32 v50, 0x7fffffff, v4
	v_cmp_gt_u64_e32 vcc, s[78:79], v[50:51]
	v_and_b32_sdwa v3, v4, s96 dst_sel:DWORD dst_unused:UNUSED_PAD src0_sel:BYTE_3 src1_sel:DWORD
                                        ; implicit-def: $vgpr0
                                        ; kill: killed $vgpr0
	s_and_saveexec_b64 s[28:29], vcc
	s_xor_b64 s[34:35], exec, s[28:29]
	s_cbranch_execz .LBB6_6265
; %bb.6256:                             ;   in Loop: Header=BB6_4406 Depth=4
	v_mov_b32_e32 v0, 0
	v_cmp_ne_u32_e32 vcc, 0, v4
	buffer_store_dword v0, off, s[0:3], s33 offset:284 ; 4-byte Folded Spill
	s_and_saveexec_b64 s[36:37], vcc
	s_cbranch_execz .LBB6_6264
; %bb.6257:                             ;   in Loop: Header=BB6_4406 Depth=4
	v_bfe_u32 v22, v4, 23, 8
	v_and_b32_e32 v5, 0x7fffff, v4
	v_cmp_gt_u32_e64 s[28:29], s97, v22
	v_sub_u32_e32 v4, 0x79, v22
	v_cmp_eq_u32_e32 vcc, 0, v22
	v_cndmask_b32_e64 v4, 0, v4, s[28:29]
	v_mov_b32_e32 v21, 0x78
	v_cndmask_b32_e32 v23, v4, v21, vcc
	v_or_b32_e32 v20, 0x800000, v5
	v_add_u32_e32 v4, 20, v23
	v_cndmask_b32_e32 v50, v20, v5, vcc
	v_lshlrev_b64 v[4:5], v4, -1
	v_add_u32_e32 v20, 19, v23
	v_lshlrev_b64 v[20:21], v20, 1
	v_bfi_b32 v5, v5, 0, 0
	v_bfi_b32 v4, v4, 0, v50
	v_cmp_eq_u64_e64 s[28:29], v[4:5], v[20:21]
	v_lshrrev_b64 v[20:21], v23, v[50:51]
	v_mov_b32_e32 v4, v20
	v_mov_b32_e32 v5, v21
	s_and_saveexec_b64 s[38:39], s[28:29]
; %bb.6258:                             ;   in Loop: Header=BB6_4406 Depth=4
	v_bfe_u32 v4, v20, 20, 1
	v_add_co_u32_e64 v4, s[28:29], v20, v4
	v_add_co_u32_e64 v4, s[28:29], -1, v4
; %bb.6259:                             ;   in Loop: Header=BB6_4406 Depth=4
	s_or_b64 exec, exec, s[38:39]
	v_add_u32_e32 v5, 0xffffff81, v22
	v_mov_b32_e32 v21, 0xffffff82
	v_cndmask_b32_e32 v5, v5, v21, vcc
	v_lshrrev_b32_e32 v21, 23, v20
	v_add3_u32 v22, v23, v5, v21
	v_add_u32_e32 v5, 6, v22
	v_and_b32_e32 v4, 0xfffff, v4
	v_add_u32_e32 v50, v4, v20
	v_cmp_ne_u32_e32 vcc, 0, v5
                                        ; implicit-def: $vgpr20_vgpr21
                                        ; implicit-def: $vgpr4
	s_and_saveexec_b64 s[28:29], vcc
	s_xor_b64 s[28:29], exec, s[28:29]
; %bb.6260:                             ;   in Loop: Header=BB6_4406 Depth=4
	v_cmp_lt_u64_e32 vcc, s[88:89], v[50:51]
	v_add_u32_e32 v4, 7, v22
	v_cndmask_b32_e32 v4, v5, v4, vcc
	v_cndmask_b32_e64 v5, 0, 1, vcc
	v_lshrrev_b64 v[20:21], v5, v[50:51]
; %bb.6261:                             ;   in Loop: Header=BB6_4406 Depth=4
	s_andn2_saveexec_b64 s[28:29], s[28:29]
; %bb.6262:                             ;   in Loop: Header=BB6_4406 Depth=4
	v_mov_b32_e32 v20, v50
	v_bfe_u32 v4, v50, 23, 1
	v_mov_b32_e32 v21, v51
; %bb.6263:                             ;   in Loop: Header=BB6_4406 Depth=4
	s_or_b64 exec, exec, s[28:29]
	v_lshrrev_b64 v[20:21], 20, v[20:21]
	v_cmp_gt_i32_e32 vcc, 16, v4
	v_cndmask_b32_e32 v21, 0, v21, vcc
	v_cndmask_b32_e32 v20, 7, v20, vcc
	v_cmp_eq_u32_e32 vcc, 0, v4
	v_min_i32_e32 v4, 15, v4
	v_cmp_eq_u64_e64 s[28:29], 0, v[20:21]
	v_lshlrev_b32_e32 v4, 3, v4
	v_and_b32_e32 v4, 0xf8, v4
	v_and_or_b32 v4, v20, 7, v4
	s_and_b64 s[28:29], vcc, s[28:29]
	v_cndmask_b32_e64 v4, v4, 0, s[28:29]
	v_or_b32_e32 v0, v4, v3
	buffer_store_dword v0, off, s[0:3], s33 offset:284 ; 4-byte Folded Spill
.LBB6_6264:                             ;   in Loop: Header=BB6_4406 Depth=4
	s_or_b64 exec, exec, s[36:37]
                                        ; implicit-def: $vgpr3
.LBB6_6265:                             ;   in Loop: Header=BB6_4406 Depth=4
	s_andn2_saveexec_b64 s[28:29], s[34:35]
	s_cbranch_execz .LBB6_6267
; %bb.6266:                             ;   in Loop: Header=BB6_4406 Depth=4
	v_or_b32_e32 v0, 0x7e, v3
	buffer_store_dword v0, off, s[0:3], s33 offset:284 ; 4-byte Folded Spill
.LBB6_6267:                             ;   in Loop: Header=BB6_4406 Depth=4
	s_or_b64 exec, exec, s[28:29]
                                        ; implicit-def: $vgpr4
.LBB6_6268:                             ;   in Loop: Header=BB6_4406 Depth=4
	s_andn2_saveexec_b64 s[28:29], s[30:31]
	s_cbranch_execz .LBB6_6270
; %bb.6269:                             ;   in Loop: Header=BB6_4406 Depth=4
	v_or_b32_sdwa v0, v4, s86 dst_sel:DWORD dst_unused:UNUSED_PAD src0_sel:BYTE_3 src1_sel:DWORD
	buffer_store_dword v0, off, s[0:3], s33 offset:284 ; 4-byte Folded Spill
.LBB6_6270:                             ;   in Loop: Header=BB6_4406 Depth=4
	s_or_b64 exec, exec, s[28:29]
	buffer_load_dword v0, off, s[0:3], s33 offset:244 ; 4-byte Folded Reload
	v_lshlrev_b32_e32 v5, 24, v35
	v_cmp_ne_u32_e32 vcc, 0, v58
	s_waitcnt vmcnt(0)
	v_lshl_or_b32 v3, v0, 8, v58
	buffer_load_dword v0, off, s[0:3], s33 offset:264 ; 4-byte Folded Reload
	s_waitcnt vmcnt(0)
	v_lshlrev_b32_e32 v4, 16, v0
	v_or3_b32 v50, v4, v5, v3
	v_mov_b32_e32 v4, 0
	v_mov_b32_e32 v5, 0
	s_and_saveexec_b64 s[28:29], vcc
	s_cbranch_execz .LBB6_6276
; %bb.6271:                             ;   in Loop: Header=BB6_4406 Depth=4
	v_cmp_ne_u32_e32 vcc, s96, v58
	v_bfrev_b32_e32 v5, 1
	s_and_saveexec_b64 s[30:31], vcc
	s_cbranch_execz .LBB6_6275
; %bb.6272:                             ;   in Loop: Header=BB6_4406 Depth=4
	v_and_b32_e32 v20, 0x7f, v58
	v_cmp_ne_u32_e32 vcc, s86, v20
	v_mov_b32_e32 v5, 0x7f800001
	s_and_saveexec_b64 s[34:35], vcc
	s_cbranch_execz .LBB6_6274
; %bb.6273:                             ;   in Loop: Header=BB6_4406 Depth=4
	v_and_b32_e32 v5, 7, v58
	v_ffbh_u32_e32 v5, v5
	v_min_u32_e32 v5, 32, v5
	v_lshrrev_b32_e32 v21, 3, v20
	v_cmp_gt_u32_e32 vcc, 8, v20
	v_subrev_u32_e32 v20, 28, v5
	v_sub_u32_e32 v5, 29, v5
	v_cndmask_b32_e32 v20, 0, v20, vcc
	v_cndmask_b32_e32 v5, v21, v5, vcc
	v_lshlrev_b64 v[20:21], v20, v[50:51]
	v_lshlrev_b32_e32 v21, 24, v50
	v_lshlrev_b32_e32 v20, 20, v20
	v_bfrev_b32_e32 v22, 60
	v_and_b32_e32 v20, 0x700000, v20
	v_and_b32_e32 v21, 0x80000000, v21
	v_lshl_add_u32 v5, v5, 23, v22
	v_or3_b32 v5, v21, v5, v20
.LBB6_6274:                             ;   in Loop: Header=BB6_4406 Depth=4
	s_or_b64 exec, exec, s[34:35]
.LBB6_6275:                             ;   in Loop: Header=BB6_4406 Depth=4
	s_or_b64 exec, exec, s[30:31]
.LBB6_6276:                             ;   in Loop: Header=BB6_4406 Depth=4
	s_or_b64 exec, exec, s[28:29]
	v_cmp_ne_u16_sdwa vcc, v16, v51 src0_sel:BYTE_0 src1_sel:DWORD
	s_and_saveexec_b64 s[28:29], vcc
	s_cbranch_execz .LBB6_6282
; %bb.6277:                             ;   in Loop: Header=BB6_4406 Depth=4
	v_cmp_ne_u16_sdwa vcc, v16, s96 src0_sel:BYTE_0 src1_sel:DWORD
	v_bfrev_b32_e32 v4, 1
	s_and_saveexec_b64 s[30:31], vcc
	s_cbranch_execz .LBB6_6281
; %bb.6278:                             ;   in Loop: Header=BB6_4406 Depth=4
	v_and_b32_e32 v20, 0x7f, v16
	v_cmp_ne_u32_e32 vcc, s86, v20
	v_mov_b32_e32 v4, 0x7f800001
	s_and_saveexec_b64 s[34:35], vcc
	s_cbranch_execz .LBB6_6280
; %bb.6279:                             ;   in Loop: Header=BB6_4406 Depth=4
	v_and_b32_e32 v4, 7, v16
	v_ffbh_u32_e32 v4, v4
	v_min_u32_e32 v4, 32, v4
	v_lshrrev_b32_e32 v21, 3, v20
	v_cmp_gt_u32_e32 vcc, 8, v20
	v_subrev_u32_e32 v20, 28, v4
	v_sub_u32_e32 v4, 29, v4
	v_cndmask_b32_e32 v20, 0, v20, vcc
	v_cndmask_b32_e32 v4, v21, v4, vcc
	v_lshlrev_b64 v[20:21], v20, v[16:17]
	v_lshlrev_b32_e32 v21, 24, v16
	v_lshlrev_b32_e32 v20, 20, v20
	v_bfrev_b32_e32 v22, 60
	v_and_b32_e32 v20, 0x700000, v20
	v_and_b32_e32 v21, 0x80000000, v21
	v_lshl_add_u32 v4, v4, 23, v22
	v_or3_b32 v4, v21, v4, v20
.LBB6_6280:                             ;   in Loop: Header=BB6_4406 Depth=4
	s_or_b64 exec, exec, s[34:35]
.LBB6_6281:                             ;   in Loop: Header=BB6_4406 Depth=4
	s_or_b64 exec, exec, s[30:31]
.LBB6_6282:                             ;   in Loop: Header=BB6_4406 Depth=4
	s_or_b64 exec, exec, s[28:29]
	v_add_f32_e32 v4, v5, v4
	v_and_b32_e32 v20, 0x7f800000, v4
	v_mov_b32_e32 v21, v51
	v_cmp_ne_u64_e32 vcc, s[76:77], v[20:21]
                                        ; implicit-def: $vgpr0
                                        ; kill: killed $vgpr0
	s_and_saveexec_b64 s[28:29], vcc
	s_xor_b64 s[30:31], exec, s[28:29]
	s_cbranch_execz .LBB6_6296
; %bb.6283:                             ;   in Loop: Header=BB6_4406 Depth=4
	v_and_b32_e32 v20, 0x7fffffff, v4
	v_mov_b32_e32 v21, v51
	v_cmp_gt_u64_e32 vcc, s[78:79], v[20:21]
	v_and_b32_sdwa v22, v4, s96 dst_sel:DWORD dst_unused:UNUSED_PAD src0_sel:BYTE_3 src1_sel:DWORD
                                        ; implicit-def: $vgpr0
                                        ; kill: killed $vgpr0
	s_and_saveexec_b64 s[28:29], vcc
	s_xor_b64 s[34:35], exec, s[28:29]
	s_cbranch_execz .LBB6_6293
; %bb.6284:                             ;   in Loop: Header=BB6_4406 Depth=4
	v_mov_b32_e32 v0, 0
	v_cmp_ne_u32_e32 vcc, 0, v4
	buffer_store_dword v0, off, s[0:3], s33 offset:244 ; 4-byte Folded Spill
	s_and_saveexec_b64 s[36:37], vcc
	s_cbranch_execz .LBB6_6292
; %bb.6285:                             ;   in Loop: Header=BB6_4406 Depth=4
	v_bfe_u32 v23, v4, 23, 8
	v_and_b32_e32 v5, 0x7fffff, v4
	v_cmp_gt_u32_e64 s[28:29], s97, v23
	v_sub_u32_e32 v4, 0x79, v23
	v_cmp_eq_u32_e32 vcc, 0, v23
	v_cndmask_b32_e64 v4, 0, v4, s[28:29]
	v_mov_b32_e32 v21, 0x78
	v_or_b32_e32 v20, 0x800000, v5
	v_cndmask_b32_e32 v24, v4, v21, vcc
	v_cndmask_b32_e32 v4, v20, v5, vcc
	v_add_u32_e32 v20, 20, v24
	v_lshlrev_b64 v[20:21], v20, -1
	v_add_u32_e32 v25, 19, v24
	v_lshlrev_b64 v[32:33], v25, 1
	v_mov_b32_e32 v5, v51
	v_bfi_b32 v21, v21, 0, 0
	v_bfi_b32 v20, v20, 0, v4
	v_cmp_eq_u64_e64 s[28:29], v[20:21], v[32:33]
	v_lshrrev_b64 v[20:21], v24, v[4:5]
	v_mov_b32_e32 v4, v20
	v_mov_b32_e32 v5, v21
	s_and_saveexec_b64 s[38:39], s[28:29]
; %bb.6286:                             ;   in Loop: Header=BB6_4406 Depth=4
	v_bfe_u32 v4, v20, 20, 1
	v_add_co_u32_e64 v4, s[28:29], v20, v4
	v_add_co_u32_e64 v4, s[28:29], -1, v4
; %bb.6287:                             ;   in Loop: Header=BB6_4406 Depth=4
	s_or_b64 exec, exec, s[38:39]
	v_add_u32_e32 v5, 0xffffff81, v23
	v_mov_b32_e32 v21, 0xffffff82
	v_cndmask_b32_e32 v5, v5, v21, vcc
	v_lshrrev_b32_e32 v21, 23, v20
	v_add3_u32 v23, v24, v5, v21
	v_add_u32_e32 v5, 6, v23
	v_and_b32_e32 v4, 0xfffff, v4
	v_add_u32_e32 v20, v4, v20
	v_mov_b32_e32 v21, v51
	v_cmp_ne_u32_e32 vcc, 0, v5
                                        ; implicit-def: $vgpr4
	s_and_saveexec_b64 s[28:29], vcc
	s_xor_b64 s[28:29], exec, s[28:29]
; %bb.6288:                             ;   in Loop: Header=BB6_4406 Depth=4
	v_cmp_lt_u64_e32 vcc, s[88:89], v[20:21]
	v_add_u32_e32 v4, 7, v23
	v_cndmask_b32_e32 v4, v5, v4, vcc
	v_cndmask_b32_e64 v5, 0, 1, vcc
	v_lshrrev_b64 v[20:21], v5, v[20:21]
; %bb.6289:                             ;   in Loop: Header=BB6_4406 Depth=4
	s_andn2_saveexec_b64 s[28:29], s[28:29]
; %bb.6290:                             ;   in Loop: Header=BB6_4406 Depth=4
	v_bfe_u32 v4, v20, 23, 1
; %bb.6291:                             ;   in Loop: Header=BB6_4406 Depth=4
	s_or_b64 exec, exec, s[28:29]
	v_lshrrev_b64 v[20:21], 20, v[20:21]
	v_cmp_gt_i32_e32 vcc, 16, v4
	v_cndmask_b32_e32 v21, 0, v21, vcc
	v_cndmask_b32_e32 v20, 7, v20, vcc
	v_cmp_eq_u32_e32 vcc, 0, v4
	v_min_i32_e32 v4, 15, v4
	v_cmp_eq_u64_e64 s[28:29], 0, v[20:21]
	v_lshlrev_b32_e32 v4, 3, v4
	v_and_b32_e32 v4, 0xf8, v4
	v_and_or_b32 v4, v20, 7, v4
	s_and_b64 s[28:29], vcc, s[28:29]
	v_cndmask_b32_e64 v4, v4, 0, s[28:29]
	v_or_b32_e32 v0, v4, v22
	buffer_store_dword v0, off, s[0:3], s33 offset:244 ; 4-byte Folded Spill
.LBB6_6292:                             ;   in Loop: Header=BB6_4406 Depth=4
	s_or_b64 exec, exec, s[36:37]
                                        ; implicit-def: $vgpr22
.LBB6_6293:                             ;   in Loop: Header=BB6_4406 Depth=4
	s_andn2_saveexec_b64 s[28:29], s[34:35]
	s_cbranch_execz .LBB6_6295
; %bb.6294:                             ;   in Loop: Header=BB6_4406 Depth=4
	v_or_b32_e32 v0, 0x7e, v22
	buffer_store_dword v0, off, s[0:3], s33 offset:244 ; 4-byte Folded Spill
.LBB6_6295:                             ;   in Loop: Header=BB6_4406 Depth=4
	s_or_b64 exec, exec, s[28:29]
                                        ; implicit-def: $vgpr4
.LBB6_6296:                             ;   in Loop: Header=BB6_4406 Depth=4
	s_andn2_saveexec_b64 s[28:29], s[30:31]
	s_cbranch_execz .LBB6_6298
; %bb.6297:                             ;   in Loop: Header=BB6_4406 Depth=4
	v_or_b32_sdwa v0, v4, s86 dst_sel:DWORD dst_unused:UNUSED_PAD src0_sel:BYTE_3 src1_sel:DWORD
	buffer_store_dword v0, off, s[0:3], s33 offset:244 ; 4-byte Folded Spill
.LBB6_6298:                             ;   in Loop: Header=BB6_4406 Depth=4
	s_or_b64 exec, exec, s[28:29]
	v_lshrrev_b16_e32 v20, 8, v3
	v_cmp_ne_u16_e32 vcc, 0, v20
	v_mov_b32_e32 v4, 0
	v_mov_b32_e32 v5, 0
	s_and_saveexec_b64 s[28:29], vcc
	s_cbranch_execz .LBB6_6304
; %bb.6299:                             ;   in Loop: Header=BB6_4406 Depth=4
	v_cmp_ne_u16_e32 vcc, s96, v20
	v_bfrev_b32_e32 v5, 1
	s_and_saveexec_b64 s[30:31], vcc
	s_cbranch_execz .LBB6_6303
; %bb.6300:                             ;   in Loop: Header=BB6_4406 Depth=4
	v_and_b32_e32 v21, 0x7f, v20
	v_cmp_ne_u32_e32 vcc, s86, v21
	v_mov_b32_e32 v5, 0x7f800001
	s_and_saveexec_b64 s[34:35], vcc
	s_cbranch_execz .LBB6_6302
; %bb.6301:                             ;   in Loop: Header=BB6_4406 Depth=4
	v_and_b32_e32 v5, 7, v20
	v_lshrrev_b32_e32 v22, 3, v21
	v_cmp_gt_u32_e32 vcc, 8, v21
	v_ffbh_u32_e32 v21, v5
	v_min_u32_e32 v23, 32, v21
	v_subrev_u32_e32 v21, 28, v23
	v_lshlrev_b64 v[20:21], v21, v[20:21]
	v_sub_u32_e32 v21, 29, v23
	v_and_b32_e32 v20, 7, v20
	v_cndmask_b32_e32 v21, v22, v21, vcc
	v_cndmask_b32_e32 v5, v5, v20, vcc
	v_lshlrev_b32_e32 v3, 16, v3
	v_bfrev_b32_e32 v20, 60
	v_lshlrev_b32_e32 v5, 20, v5
	v_and_b32_e32 v3, 0x80000000, v3
	v_lshl_add_u32 v20, v21, 23, v20
	v_or3_b32 v5, v3, v20, v5
.LBB6_6302:                             ;   in Loop: Header=BB6_4406 Depth=4
	s_or_b64 exec, exec, s[34:35]
.LBB6_6303:                             ;   in Loop: Header=BB6_4406 Depth=4
	s_or_b64 exec, exec, s[30:31]
.LBB6_6304:                             ;   in Loop: Header=BB6_4406 Depth=4
	s_or_b64 exec, exec, s[28:29]
	v_lshrrev_b16_e32 v20, 8, v16
	v_cmp_ne_u16_e32 vcc, 0, v20
	s_and_saveexec_b64 s[28:29], vcc
	s_cbranch_execz .LBB6_6310
; %bb.6305:                             ;   in Loop: Header=BB6_4406 Depth=4
	v_cmp_ne_u16_e32 vcc, s96, v20
	v_bfrev_b32_e32 v4, 1
	s_and_saveexec_b64 s[30:31], vcc
	s_cbranch_execz .LBB6_6309
; %bb.6306:                             ;   in Loop: Header=BB6_4406 Depth=4
	v_and_b32_e32 v3, 0x7f, v20
	v_cmp_ne_u32_e32 vcc, s86, v3
	v_mov_b32_e32 v4, 0x7f800001
	s_and_saveexec_b64 s[34:35], vcc
	s_cbranch_execz .LBB6_6308
; %bb.6307:                             ;   in Loop: Header=BB6_4406 Depth=4
	v_and_b32_e32 v21, 7, v20
	v_lshrrev_b32_e32 v22, 3, v3
	v_cmp_gt_u32_e32 vcc, 8, v3
	v_ffbh_u32_e32 v3, v21
	v_min_u32_e32 v23, 32, v3
	v_subrev_u32_e32 v3, 28, v23
	v_lshlrev_b64 v[3:4], v3, v[20:21]
	v_sub_u32_e32 v4, 29, v23
	v_and_b32_e32 v3, 7, v3
	v_cndmask_b32_e32 v4, v22, v4, vcc
	v_cndmask_b32_e32 v3, v21, v3, vcc
	v_lshlrev_b32_e32 v20, 16, v16
	v_bfrev_b32_e32 v21, 60
	v_lshlrev_b32_e32 v3, 20, v3
	v_and_b32_e32 v20, 0x80000000, v20
	v_lshl_add_u32 v4, v4, 23, v21
	v_or3_b32 v4, v20, v4, v3
.LBB6_6308:                             ;   in Loop: Header=BB6_4406 Depth=4
	s_or_b64 exec, exec, s[34:35]
.LBB6_6309:                             ;   in Loop: Header=BB6_4406 Depth=4
	s_or_b64 exec, exec, s[30:31]
.LBB6_6310:                             ;   in Loop: Header=BB6_4406 Depth=4
	s_or_b64 exec, exec, s[28:29]
	v_add_f32_e32 v4, v5, v4
	v_and_b32_e32 v20, 0x7f800000, v4
	v_mov_b32_e32 v21, v51
	v_cmp_ne_u64_e32 vcc, s[76:77], v[20:21]
                                        ; implicit-def: $vgpr0
                                        ; kill: killed $vgpr0
	s_and_saveexec_b64 s[28:29], vcc
	s_xor_b64 s[30:31], exec, s[28:29]
	s_cbranch_execz .LBB6_6324
; %bb.6311:                             ;   in Loop: Header=BB6_4406 Depth=4
	v_and_b32_e32 v20, 0x7fffffff, v4
	v_mov_b32_e32 v21, v51
	v_cmp_gt_u64_e32 vcc, s[78:79], v[20:21]
	v_and_b32_sdwa v3, v4, s96 dst_sel:DWORD dst_unused:UNUSED_PAD src0_sel:BYTE_3 src1_sel:DWORD
                                        ; implicit-def: $vgpr0
                                        ; kill: killed $vgpr0
	s_and_saveexec_b64 s[28:29], vcc
	s_xor_b64 s[34:35], exec, s[28:29]
	s_cbranch_execz .LBB6_6321
; %bb.6312:                             ;   in Loop: Header=BB6_4406 Depth=4
	v_mov_b32_e32 v0, 0
	v_cmp_ne_u32_e32 vcc, 0, v4
	buffer_store_dword v0, off, s[0:3], s33 offset:264 ; 4-byte Folded Spill
	s_and_saveexec_b64 s[36:37], vcc
	s_cbranch_execz .LBB6_6320
; %bb.6313:                             ;   in Loop: Header=BB6_4406 Depth=4
	v_bfe_u32 v22, v4, 23, 8
	v_and_b32_e32 v5, 0x7fffff, v4
	v_cmp_gt_u32_e64 s[28:29], s97, v22
	v_sub_u32_e32 v4, 0x79, v22
	v_cmp_eq_u32_e32 vcc, 0, v22
	v_cndmask_b32_e64 v4, 0, v4, s[28:29]
	v_mov_b32_e32 v21, 0x78
	v_or_b32_e32 v20, 0x800000, v5
	v_cndmask_b32_e32 v23, v4, v21, vcc
	v_cndmask_b32_e32 v4, v20, v5, vcc
	v_add_u32_e32 v20, 20, v23
	v_lshlrev_b64 v[20:21], v20, -1
	v_add_u32_e32 v24, 19, v23
	v_lshlrev_b64 v[24:25], v24, 1
	v_mov_b32_e32 v5, v51
	v_bfi_b32 v21, v21, 0, 0
	v_bfi_b32 v20, v20, 0, v4
	v_cmp_eq_u64_e64 s[28:29], v[20:21], v[24:25]
	v_lshrrev_b64 v[20:21], v23, v[4:5]
	v_mov_b32_e32 v4, v20
	v_mov_b32_e32 v5, v21
	s_and_saveexec_b64 s[38:39], s[28:29]
; %bb.6314:                             ;   in Loop: Header=BB6_4406 Depth=4
	v_bfe_u32 v4, v20, 20, 1
	v_add_co_u32_e64 v4, s[28:29], v20, v4
	v_add_co_u32_e64 v4, s[28:29], -1, v4
; %bb.6315:                             ;   in Loop: Header=BB6_4406 Depth=4
	s_or_b64 exec, exec, s[38:39]
	v_add_u32_e32 v5, 0xffffff81, v22
	v_mov_b32_e32 v21, 0xffffff82
	v_cndmask_b32_e32 v5, v5, v21, vcc
	v_lshrrev_b32_e32 v21, 23, v20
	v_add3_u32 v22, v23, v5, v21
	v_add_u32_e32 v5, 6, v22
	v_and_b32_e32 v4, 0xfffff, v4
	v_add_u32_e32 v20, v4, v20
	v_mov_b32_e32 v21, v51
	v_cmp_ne_u32_e32 vcc, 0, v5
                                        ; implicit-def: $vgpr4
	s_and_saveexec_b64 s[28:29], vcc
	s_xor_b64 s[28:29], exec, s[28:29]
; %bb.6316:                             ;   in Loop: Header=BB6_4406 Depth=4
	v_cmp_lt_u64_e32 vcc, s[88:89], v[20:21]
	v_add_u32_e32 v4, 7, v22
	v_cndmask_b32_e32 v4, v5, v4, vcc
	v_cndmask_b32_e64 v5, 0, 1, vcc
	v_lshrrev_b64 v[20:21], v5, v[20:21]
; %bb.6317:                             ;   in Loop: Header=BB6_4406 Depth=4
	s_andn2_saveexec_b64 s[28:29], s[28:29]
; %bb.6318:                             ;   in Loop: Header=BB6_4406 Depth=4
	v_bfe_u32 v4, v20, 23, 1
; %bb.6319:                             ;   in Loop: Header=BB6_4406 Depth=4
	s_or_b64 exec, exec, s[28:29]
	v_lshrrev_b64 v[20:21], 20, v[20:21]
	v_cmp_gt_i32_e32 vcc, 16, v4
	v_cndmask_b32_e32 v21, 0, v21, vcc
	v_cndmask_b32_e32 v20, 7, v20, vcc
	v_cmp_eq_u32_e32 vcc, 0, v4
	v_min_i32_e32 v4, 15, v4
	v_cmp_eq_u64_e64 s[28:29], 0, v[20:21]
	v_lshlrev_b32_e32 v4, 3, v4
	v_and_b32_e32 v4, 0xf8, v4
	v_and_or_b32 v4, v20, 7, v4
	s_and_b64 s[28:29], vcc, s[28:29]
	v_cndmask_b32_e64 v4, v4, 0, s[28:29]
	v_or_b32_e32 v0, v4, v3
	buffer_store_dword v0, off, s[0:3], s33 offset:264 ; 4-byte Folded Spill
.LBB6_6320:                             ;   in Loop: Header=BB6_4406 Depth=4
	s_or_b64 exec, exec, s[36:37]
                                        ; implicit-def: $vgpr3
.LBB6_6321:                             ;   in Loop: Header=BB6_4406 Depth=4
	s_andn2_saveexec_b64 s[28:29], s[34:35]
	s_cbranch_execz .LBB6_6323
; %bb.6322:                             ;   in Loop: Header=BB6_4406 Depth=4
	v_or_b32_e32 v0, 0x7e, v3
	buffer_store_dword v0, off, s[0:3], s33 offset:264 ; 4-byte Folded Spill
.LBB6_6323:                             ;   in Loop: Header=BB6_4406 Depth=4
	s_or_b64 exec, exec, s[28:29]
                                        ; implicit-def: $vgpr4
.LBB6_6324:                             ;   in Loop: Header=BB6_4406 Depth=4
	s_andn2_saveexec_b64 s[28:29], s[30:31]
	s_cbranch_execz .LBB6_6326
; %bb.6325:                             ;   in Loop: Header=BB6_4406 Depth=4
	v_or_b32_sdwa v0, v4, s86 dst_sel:DWORD dst_unused:UNUSED_PAD src0_sel:BYTE_3 src1_sel:DWORD
	buffer_store_dword v0, off, s[0:3], s33 offset:264 ; 4-byte Folded Spill
.LBB6_6326:                             ;   in Loop: Header=BB6_4406 Depth=4
	s_or_b64 exec, exec, s[28:29]
	v_lshrrev_b32_e32 v20, 16, v50
	v_cmp_ne_u16_sdwa vcc, v20, v51 src0_sel:BYTE_0 src1_sel:DWORD
	v_mov_b32_e32 v3, 0
	v_mov_b32_e32 v4, 0
	s_and_saveexec_b64 s[28:29], vcc
	s_cbranch_execz .LBB6_6332
; %bb.6327:                             ;   in Loop: Header=BB6_4406 Depth=4
	v_cmp_ne_u16_sdwa vcc, v20, s96 src0_sel:BYTE_0 src1_sel:DWORD
	v_bfrev_b32_e32 v4, 1
	s_and_saveexec_b64 s[30:31], vcc
	s_cbranch_execz .LBB6_6331
; %bb.6328:                             ;   in Loop: Header=BB6_4406 Depth=4
	v_bfe_u32 v5, v50, 16, 7
	v_cmp_ne_u32_e32 vcc, s86, v5
	v_mov_b32_e32 v4, 0x7f800001
	s_and_saveexec_b64 s[34:35], vcc
	s_cbranch_execz .LBB6_6330
; %bb.6329:                             ;   in Loop: Header=BB6_4406 Depth=4
	v_and_b32_e32 v21, 7, v20
	v_ffbh_u32_e32 v4, v21
	v_min_u32_e32 v23, 32, v4
	v_subrev_u32_e32 v4, 28, v23
	v_lshrrev_b32_e32 v22, 3, v5
	v_cmp_gt_u32_e32 vcc, 8, v5
	v_lshlrev_b64 v[4:5], v4, v[20:21]
	v_sub_u32_e32 v5, 29, v23
	v_and_b32_e32 v4, 7, v4
	v_cndmask_b32_e32 v5, v22, v5, vcc
	v_cndmask_b32_e32 v4, v21, v4, vcc
	v_lshlrev_b32_e32 v20, 24, v20
	v_bfrev_b32_e32 v21, 60
	v_lshlrev_b32_e32 v4, 20, v4
	v_and_b32_e32 v20, 0x80000000, v20
	v_lshl_add_u32 v5, v5, 23, v21
	v_or3_b32 v4, v20, v5, v4
.LBB6_6330:                             ;   in Loop: Header=BB6_4406 Depth=4
	s_or_b64 exec, exec, s[34:35]
.LBB6_6331:                             ;   in Loop: Header=BB6_4406 Depth=4
	s_or_b64 exec, exec, s[30:31]
.LBB6_6332:                             ;   in Loop: Header=BB6_4406 Depth=4
	s_or_b64 exec, exec, s[28:29]
	v_lshrrev_b32_e32 v20, 16, v16
	v_cmp_ne_u16_sdwa vcc, v20, v51 src0_sel:BYTE_0 src1_sel:DWORD
	s_and_saveexec_b64 s[28:29], vcc
	s_cbranch_execz .LBB6_6338
; %bb.6333:                             ;   in Loop: Header=BB6_4406 Depth=4
	v_cmp_ne_u16_sdwa vcc, v20, s96 src0_sel:BYTE_0 src1_sel:DWORD
	v_bfrev_b32_e32 v3, 1
	s_and_saveexec_b64 s[30:31], vcc
	s_cbranch_execz .LBB6_6337
; %bb.6334:                             ;   in Loop: Header=BB6_4406 Depth=4
	v_bfe_u32 v5, v16, 16, 7
	v_cmp_ne_u32_e32 vcc, s86, v5
	v_mov_b32_e32 v3, 0x7f800001
	s_and_saveexec_b64 s[34:35], vcc
	s_cbranch_execz .LBB6_6336
; %bb.6335:                             ;   in Loop: Header=BB6_4406 Depth=4
	v_and_b32_e32 v3, 7, v20
	v_lshrrev_b32_e32 v22, 3, v5
	v_cmp_gt_u32_e32 vcc, 8, v5
	v_ffbh_u32_e32 v5, v3
	v_min_u32_e32 v5, 32, v5
	v_subrev_u32_e32 v21, 28, v5
	v_lshlrev_b64 v[20:21], v21, v[20:21]
	v_sub_u32_e32 v5, 29, v5
	v_and_b32_e32 v20, 7, v20
	v_cndmask_b32_e32 v5, v22, v5, vcc
	v_cndmask_b32_e32 v3, v3, v20, vcc
	v_lshlrev_b32_e32 v20, 8, v16
	v_bfrev_b32_e32 v21, 60
	v_lshlrev_b32_e32 v3, 20, v3
	v_and_b32_e32 v20, 0x80000000, v20
	v_lshl_add_u32 v5, v5, 23, v21
	v_or3_b32 v3, v20, v5, v3
.LBB6_6336:                             ;   in Loop: Header=BB6_4406 Depth=4
	s_or_b64 exec, exec, s[34:35]
.LBB6_6337:                             ;   in Loop: Header=BB6_4406 Depth=4
	s_or_b64 exec, exec, s[30:31]
.LBB6_6338:                             ;   in Loop: Header=BB6_4406 Depth=4
	s_or_b64 exec, exec, s[28:29]
	v_add_f32_e32 v4, v4, v3
	v_and_b32_e32 v20, 0x7f800000, v4
	v_mov_b32_e32 v21, v51
	v_cmp_ne_u64_e32 vcc, s[76:77], v[20:21]
                                        ; implicit-def: $vgpr0
                                        ; kill: killed $vgpr0
	s_and_saveexec_b64 s[28:29], vcc
	s_xor_b64 s[30:31], exec, s[28:29]
	s_cbranch_execz .LBB6_6352
; %bb.6339:                             ;   in Loop: Header=BB6_4406 Depth=4
	v_and_b32_e32 v20, 0x7fffffff, v4
	v_mov_b32_e32 v21, v51
	v_cmp_gt_u64_e32 vcc, s[78:79], v[20:21]
	v_and_b32_sdwa v3, v4, s96 dst_sel:DWORD dst_unused:UNUSED_PAD src0_sel:BYTE_3 src1_sel:DWORD
                                        ; implicit-def: $vgpr0
                                        ; kill: killed $vgpr0
	s_and_saveexec_b64 s[28:29], vcc
	s_xor_b64 s[34:35], exec, s[28:29]
	s_cbranch_execz .LBB6_6349
; %bb.6340:                             ;   in Loop: Header=BB6_4406 Depth=4
	v_mov_b32_e32 v0, 0
	v_cmp_ne_u32_e32 vcc, 0, v4
	buffer_store_dword v0, off, s[0:3], s33 offset:288 ; 4-byte Folded Spill
	s_and_saveexec_b64 s[36:37], vcc
	s_cbranch_execz .LBB6_6348
; %bb.6341:                             ;   in Loop: Header=BB6_4406 Depth=4
	v_bfe_u32 v22, v4, 23, 8
	v_and_b32_e32 v5, 0x7fffff, v4
	v_cmp_gt_u32_e64 s[28:29], s97, v22
	v_sub_u32_e32 v4, 0x79, v22
	v_cmp_eq_u32_e32 vcc, 0, v22
	v_cndmask_b32_e64 v4, 0, v4, s[28:29]
	v_mov_b32_e32 v21, 0x78
	v_or_b32_e32 v20, 0x800000, v5
	v_cndmask_b32_e32 v23, v4, v21, vcc
	v_cndmask_b32_e32 v4, v20, v5, vcc
	v_add_u32_e32 v20, 20, v23
	v_lshlrev_b64 v[20:21], v20, -1
	v_add_u32_e32 v24, 19, v23
	v_lshlrev_b64 v[24:25], v24, 1
	v_mov_b32_e32 v5, v51
	v_bfi_b32 v21, v21, 0, 0
	v_bfi_b32 v20, v20, 0, v4
	v_cmp_eq_u64_e64 s[28:29], v[20:21], v[24:25]
	v_lshrrev_b64 v[20:21], v23, v[4:5]
	v_mov_b32_e32 v4, v20
	v_mov_b32_e32 v5, v21
	s_and_saveexec_b64 s[38:39], s[28:29]
; %bb.6342:                             ;   in Loop: Header=BB6_4406 Depth=4
	v_bfe_u32 v4, v20, 20, 1
	v_add_co_u32_e64 v4, s[28:29], v20, v4
	v_add_co_u32_e64 v4, s[28:29], -1, v4
; %bb.6343:                             ;   in Loop: Header=BB6_4406 Depth=4
	s_or_b64 exec, exec, s[38:39]
	v_add_u32_e32 v5, 0xffffff81, v22
	v_mov_b32_e32 v21, 0xffffff82
	v_cndmask_b32_e32 v5, v5, v21, vcc
	v_lshrrev_b32_e32 v21, 23, v20
	v_add3_u32 v22, v23, v5, v21
	v_add_u32_e32 v5, 6, v22
	v_and_b32_e32 v4, 0xfffff, v4
	v_add_u32_e32 v20, v4, v20
	v_mov_b32_e32 v21, v51
	v_cmp_ne_u32_e32 vcc, 0, v5
                                        ; implicit-def: $vgpr4
	s_and_saveexec_b64 s[28:29], vcc
	s_xor_b64 s[28:29], exec, s[28:29]
; %bb.6344:                             ;   in Loop: Header=BB6_4406 Depth=4
	v_cmp_lt_u64_e32 vcc, s[88:89], v[20:21]
	v_add_u32_e32 v4, 7, v22
	v_cndmask_b32_e32 v4, v5, v4, vcc
	v_cndmask_b32_e64 v5, 0, 1, vcc
	v_lshrrev_b64 v[20:21], v5, v[20:21]
; %bb.6345:                             ;   in Loop: Header=BB6_4406 Depth=4
	s_andn2_saveexec_b64 s[28:29], s[28:29]
; %bb.6346:                             ;   in Loop: Header=BB6_4406 Depth=4
	v_bfe_u32 v4, v20, 23, 1
; %bb.6347:                             ;   in Loop: Header=BB6_4406 Depth=4
	s_or_b64 exec, exec, s[28:29]
	v_lshrrev_b64 v[20:21], 20, v[20:21]
	v_cmp_gt_i32_e32 vcc, 16, v4
	v_cndmask_b32_e32 v21, 0, v21, vcc
	v_cndmask_b32_e32 v20, 7, v20, vcc
	v_cmp_eq_u32_e32 vcc, 0, v4
	v_min_i32_e32 v4, 15, v4
	v_cmp_eq_u64_e64 s[28:29], 0, v[20:21]
	v_lshlrev_b32_e32 v4, 3, v4
	v_and_b32_e32 v4, 0xf8, v4
	v_and_or_b32 v4, v20, 7, v4
	s_and_b64 s[28:29], vcc, s[28:29]
	v_cndmask_b32_e64 v4, v4, 0, s[28:29]
	v_or_b32_e32 v0, v4, v3
	buffer_store_dword v0, off, s[0:3], s33 offset:288 ; 4-byte Folded Spill
.LBB6_6348:                             ;   in Loop: Header=BB6_4406 Depth=4
	s_or_b64 exec, exec, s[36:37]
                                        ; implicit-def: $vgpr3
.LBB6_6349:                             ;   in Loop: Header=BB6_4406 Depth=4
	s_andn2_saveexec_b64 s[28:29], s[34:35]
	s_cbranch_execz .LBB6_6351
; %bb.6350:                             ;   in Loop: Header=BB6_4406 Depth=4
	v_or_b32_e32 v0, 0x7e, v3
	buffer_store_dword v0, off, s[0:3], s33 offset:288 ; 4-byte Folded Spill
.LBB6_6351:                             ;   in Loop: Header=BB6_4406 Depth=4
	s_or_b64 exec, exec, s[28:29]
                                        ; implicit-def: $vgpr4
.LBB6_6352:                             ;   in Loop: Header=BB6_4406 Depth=4
	s_andn2_saveexec_b64 s[28:29], s[30:31]
	s_cbranch_execz .LBB6_6354
; %bb.6353:                             ;   in Loop: Header=BB6_4406 Depth=4
	v_or_b32_sdwa v0, v4, s86 dst_sel:DWORD dst_unused:UNUSED_PAD src0_sel:BYTE_3 src1_sel:DWORD
	buffer_store_dword v0, off, s[0:3], s33 offset:288 ; 4-byte Folded Spill
.LBB6_6354:                             ;   in Loop: Header=BB6_4406 Depth=4
	s_or_b64 exec, exec, s[28:29]
	v_cmp_lt_u32_e32 vcc, s57, v50
	v_mov_b32_e32 v3, 0
	v_mov_b32_e32 v4, 0
	s_and_saveexec_b64 s[28:29], vcc
	s_cbranch_execz .LBB6_6360
; %bb.6355:                             ;   in Loop: Header=BB6_4406 Depth=4
	v_lshrrev_b32_e32 v20, 24, v50
	v_cmp_ne_u32_sdwa vcc, v50, s96 src0_sel:BYTE_3 src1_sel:DWORD
	v_bfrev_b32_e32 v4, 1
	s_and_saveexec_b64 s[30:31], vcc
	s_cbranch_execz .LBB6_6359
; %bb.6356:                             ;   in Loop: Header=BB6_4406 Depth=4
	v_bfe_u32 v5, v50, 24, 7
	v_cmp_ne_u32_e32 vcc, s86, v5
	v_mov_b32_e32 v4, 0x7f800001
	s_and_saveexec_b64 s[34:35], vcc
	s_cbranch_execz .LBB6_6358
; %bb.6357:                             ;   in Loop: Header=BB6_4406 Depth=4
	v_and_b32_e32 v21, 7, v20
	v_ffbh_u32_e32 v4, v21
	v_min_u32_e32 v23, 32, v4
	v_subrev_u32_e32 v4, 28, v23
	v_lshrrev_b32_e32 v22, 3, v5
	v_cmp_gt_u32_e32 vcc, 8, v5
	v_lshlrev_b64 v[4:5], v4, v[20:21]
	v_sub_u32_e32 v5, 29, v23
	v_and_b32_e32 v4, 7, v4
	v_mov_b32_e32 v20, 24
	v_cndmask_b32_e32 v5, v22, v5, vcc
	v_cndmask_b32_e32 v4, v21, v4, vcc
	v_lshlrev_b32_sdwa v20, v20, v50 dst_sel:DWORD dst_unused:UNUSED_PAD src0_sel:DWORD src1_sel:BYTE_3
	v_bfrev_b32_e32 v21, 60
	v_lshlrev_b32_e32 v4, 20, v4
	v_and_b32_e32 v20, 0x80000000, v20
	v_lshl_add_u32 v5, v5, 23, v21
	v_or3_b32 v4, v20, v5, v4
.LBB6_6358:                             ;   in Loop: Header=BB6_4406 Depth=4
	s_or_b64 exec, exec, s[34:35]
.LBB6_6359:                             ;   in Loop: Header=BB6_4406 Depth=4
	s_or_b64 exec, exec, s[30:31]
.LBB6_6360:                             ;   in Loop: Header=BB6_4406 Depth=4
	s_or_b64 exec, exec, s[28:29]
	v_cmp_lt_u32_e32 vcc, s57, v16
	s_and_saveexec_b64 s[28:29], vcc
	s_cbranch_execz .LBB6_6366
; %bb.6361:                             ;   in Loop: Header=BB6_4406 Depth=4
	v_lshrrev_b32_e32 v20, 24, v16
	v_cmp_ne_u32_e32 vcc, s96, v20
	v_bfrev_b32_e32 v3, 1
	s_and_saveexec_b64 s[30:31], vcc
	s_cbranch_execz .LBB6_6365
; %bb.6362:                             ;   in Loop: Header=BB6_4406 Depth=4
	v_bfe_u32 v5, v16, 24, 7
	v_cmp_ne_u32_e32 vcc, s86, v5
	v_mov_b32_e32 v3, 0x7f800001
	s_and_saveexec_b64 s[34:35], vcc
	s_cbranch_execz .LBB6_6364
; %bb.6363:                             ;   in Loop: Header=BB6_4406 Depth=4
	v_and_b32_e32 v3, 7, v20
	v_lshrrev_b32_e32 v23, 3, v5
	v_cmp_gt_u32_e32 vcc, 8, v5
	v_ffbh_u32_e32 v5, v3
	v_min_u32_e32 v5, 32, v5
	v_subrev_u32_e32 v21, 28, v5
	v_lshlrev_b64 v[21:22], v21, v[20:21]
	v_sub_u32_e32 v5, 29, v5
	v_and_b32_e32 v21, 7, v21
	v_cndmask_b32_e32 v5, v23, v5, vcc
	v_cndmask_b32_e32 v3, v3, v21, vcc
	v_lshlrev_b32_e32 v20, 24, v20
	v_bfrev_b32_e32 v21, 60
	v_lshlrev_b32_e32 v3, 20, v3
	v_and_b32_e32 v20, 0x80000000, v20
	v_lshl_add_u32 v5, v5, 23, v21
	v_or3_b32 v3, v20, v5, v3
.LBB6_6364:                             ;   in Loop: Header=BB6_4406 Depth=4
	s_or_b64 exec, exec, s[34:35]
.LBB6_6365:                             ;   in Loop: Header=BB6_4406 Depth=4
	s_or_b64 exec, exec, s[30:31]
.LBB6_6366:                             ;   in Loop: Header=BB6_4406 Depth=4
	s_or_b64 exec, exec, s[28:29]
	v_add_f32_e32 v4, v4, v3
	v_and_b32_e32 v50, 0x7f800000, v4
	v_cmp_ne_u64_e32 vcc, s[76:77], v[50:51]
                                        ; implicit-def: $vgpr0
                                        ; kill: killed $vgpr0
	s_and_saveexec_b64 s[28:29], vcc
	s_xor_b64 s[30:31], exec, s[28:29]
	s_cbranch_execz .LBB6_6380
; %bb.6367:                             ;   in Loop: Header=BB6_4406 Depth=4
	v_and_b32_e32 v50, 0x7fffffff, v4
	v_cmp_gt_u64_e32 vcc, s[78:79], v[50:51]
	v_and_b32_sdwa v3, v4, s96 dst_sel:DWORD dst_unused:UNUSED_PAD src0_sel:BYTE_3 src1_sel:DWORD
                                        ; implicit-def: $vgpr0
                                        ; kill: killed $vgpr0
	s_and_saveexec_b64 s[28:29], vcc
	s_xor_b64 s[34:35], exec, s[28:29]
	s_cbranch_execz .LBB6_6377
; %bb.6368:                             ;   in Loop: Header=BB6_4406 Depth=4
	v_mov_b32_e32 v0, 0
	v_cmp_ne_u32_e32 vcc, 0, v4
	buffer_store_dword v0, off, s[0:3], s33 offset:292 ; 4-byte Folded Spill
	s_and_saveexec_b64 s[36:37], vcc
	s_cbranch_execz .LBB6_6376
; %bb.6369:                             ;   in Loop: Header=BB6_4406 Depth=4
	v_bfe_u32 v22, v4, 23, 8
	v_and_b32_e32 v5, 0x7fffff, v4
	v_cmp_gt_u32_e64 s[28:29], s97, v22
	v_sub_u32_e32 v4, 0x79, v22
	v_cmp_eq_u32_e32 vcc, 0, v22
	v_cndmask_b32_e64 v4, 0, v4, s[28:29]
	v_mov_b32_e32 v21, 0x78
	v_cndmask_b32_e32 v23, v4, v21, vcc
	v_or_b32_e32 v20, 0x800000, v5
	v_add_u32_e32 v4, 20, v23
	v_cndmask_b32_e32 v50, v20, v5, vcc
	v_lshlrev_b64 v[4:5], v4, -1
	v_add_u32_e32 v20, 19, v23
	v_lshlrev_b64 v[20:21], v20, 1
	v_bfi_b32 v5, v5, 0, 0
	v_bfi_b32 v4, v4, 0, v50
	v_cmp_eq_u64_e64 s[28:29], v[4:5], v[20:21]
	v_lshrrev_b64 v[20:21], v23, v[50:51]
	v_mov_b32_e32 v4, v20
	v_mov_b32_e32 v5, v21
	s_and_saveexec_b64 s[38:39], s[28:29]
; %bb.6370:                             ;   in Loop: Header=BB6_4406 Depth=4
	v_bfe_u32 v4, v20, 20, 1
	v_add_co_u32_e64 v4, s[28:29], v20, v4
	v_add_co_u32_e64 v4, s[28:29], -1, v4
; %bb.6371:                             ;   in Loop: Header=BB6_4406 Depth=4
	s_or_b64 exec, exec, s[38:39]
	v_add_u32_e32 v5, 0xffffff81, v22
	v_mov_b32_e32 v21, 0xffffff82
	v_cndmask_b32_e32 v5, v5, v21, vcc
	v_lshrrev_b32_e32 v21, 23, v20
	v_add3_u32 v22, v23, v5, v21
	v_add_u32_e32 v5, 6, v22
	v_and_b32_e32 v4, 0xfffff, v4
	v_add_u32_e32 v50, v4, v20
	v_cmp_ne_u32_e32 vcc, 0, v5
                                        ; implicit-def: $vgpr20_vgpr21
                                        ; implicit-def: $vgpr4
	s_and_saveexec_b64 s[28:29], vcc
	s_xor_b64 s[28:29], exec, s[28:29]
; %bb.6372:                             ;   in Loop: Header=BB6_4406 Depth=4
	v_cmp_lt_u64_e32 vcc, s[88:89], v[50:51]
	v_add_u32_e32 v4, 7, v22
	v_cndmask_b32_e32 v4, v5, v4, vcc
	v_cndmask_b32_e64 v5, 0, 1, vcc
	v_lshrrev_b64 v[20:21], v5, v[50:51]
; %bb.6373:                             ;   in Loop: Header=BB6_4406 Depth=4
	s_andn2_saveexec_b64 s[28:29], s[28:29]
; %bb.6374:                             ;   in Loop: Header=BB6_4406 Depth=4
	v_mov_b32_e32 v20, v50
	v_bfe_u32 v4, v50, 23, 1
	v_mov_b32_e32 v21, v51
; %bb.6375:                             ;   in Loop: Header=BB6_4406 Depth=4
	s_or_b64 exec, exec, s[28:29]
	v_lshrrev_b64 v[20:21], 20, v[20:21]
	v_cmp_gt_i32_e32 vcc, 16, v4
	v_cndmask_b32_e32 v21, 0, v21, vcc
	v_cndmask_b32_e32 v20, 7, v20, vcc
	v_cmp_eq_u32_e32 vcc, 0, v4
	v_min_i32_e32 v4, 15, v4
	v_cmp_eq_u64_e64 s[28:29], 0, v[20:21]
	v_lshlrev_b32_e32 v4, 3, v4
	v_and_b32_e32 v4, 0xf8, v4
	v_and_or_b32 v4, v20, 7, v4
	s_and_b64 s[28:29], vcc, s[28:29]
	v_cndmask_b32_e64 v4, v4, 0, s[28:29]
	v_or_b32_e32 v0, v4, v3
	buffer_store_dword v0, off, s[0:3], s33 offset:292 ; 4-byte Folded Spill
.LBB6_6376:                             ;   in Loop: Header=BB6_4406 Depth=4
	s_or_b64 exec, exec, s[36:37]
                                        ; implicit-def: $vgpr3
.LBB6_6377:                             ;   in Loop: Header=BB6_4406 Depth=4
	s_andn2_saveexec_b64 s[28:29], s[34:35]
	s_cbranch_execz .LBB6_6379
; %bb.6378:                             ;   in Loop: Header=BB6_4406 Depth=4
	v_or_b32_e32 v0, 0x7e, v3
	buffer_store_dword v0, off, s[0:3], s33 offset:292 ; 4-byte Folded Spill
.LBB6_6379:                             ;   in Loop: Header=BB6_4406 Depth=4
	s_or_b64 exec, exec, s[28:29]
                                        ; implicit-def: $vgpr4
.LBB6_6380:                             ;   in Loop: Header=BB6_4406 Depth=4
	s_andn2_saveexec_b64 s[28:29], s[30:31]
	s_cbranch_execz .LBB6_6382
; %bb.6381:                             ;   in Loop: Header=BB6_4406 Depth=4
	v_or_b32_sdwa v0, v4, s86 dst_sel:DWORD dst_unused:UNUSED_PAD src0_sel:BYTE_3 src1_sel:DWORD
	buffer_store_dword v0, off, s[0:3], s33 offset:292 ; 4-byte Folded Spill
.LBB6_6382:                             ;   in Loop: Header=BB6_4406 Depth=4
	s_or_b64 exec, exec, s[28:29]
	buffer_load_dword v0, off, s[0:3], s33 offset:228 ; 4-byte Folded Reload
	v_cmp_ne_u32_e32 vcc, 0, v31
	s_waitcnt vmcnt(0)
	v_lshl_or_b32 v3, v0, 8, v31
	buffer_load_dword v0, off, s[0:3], s33 offset:248 ; 4-byte Folded Reload
	s_waitcnt vmcnt(0)
	v_lshlrev_b32_e32 v4, 16, v0
	buffer_load_dword v0, off, s[0:3], s33 offset:268 ; 4-byte Folded Reload
	s_waitcnt vmcnt(0)
	v_lshlrev_b32_e32 v0, 24, v0
	v_or3_b32 v50, v4, v0, v3
	v_mov_b32_e32 v4, 0
	v_mov_b32_e32 v0, 0
	s_and_saveexec_b64 s[28:29], vcc
	s_cbranch_execz .LBB6_6388
; %bb.6383:                             ;   in Loop: Header=BB6_4406 Depth=4
	v_cmp_ne_u32_e32 vcc, s96, v31
	v_bfrev_b32_e32 v0, 1
	s_and_saveexec_b64 s[30:31], vcc
	s_cbranch_execz .LBB6_6387
; %bb.6384:                             ;   in Loop: Header=BB6_4406 Depth=4
	v_and_b32_e32 v5, 0x7f, v31
	v_cmp_ne_u32_e32 vcc, s86, v5
	v_mov_b32_e32 v0, 0x7f800001
	s_and_saveexec_b64 s[34:35], vcc
	s_cbranch_execz .LBB6_6386
; %bb.6385:                             ;   in Loop: Header=BB6_4406 Depth=4
	v_and_b32_e32 v0, 7, v31
	v_ffbh_u32_e32 v0, v0
	v_min_u32_e32 v0, 32, v0
	v_lshrrev_b32_e32 v20, 3, v5
	v_cmp_gt_u32_e32 vcc, 8, v5
	v_subrev_u32_e32 v5, 28, v0
	v_sub_u32_e32 v0, 29, v0
	v_cndmask_b32_e32 v5, 0, v5, vcc
	v_cndmask_b32_e32 v0, v20, v0, vcc
	v_lshlrev_b64 v[20:21], v5, v[50:51]
	v_bfrev_b32_e32 v21, 60
	v_lshlrev_b32_e32 v5, 20, v20
	v_lshlrev_b32_e32 v20, 24, v50
	v_and_b32_e32 v5, 0x700000, v5
	v_and_b32_e32 v20, 0x80000000, v20
	v_lshl_add_u32 v0, v0, 23, v21
	v_or3_b32 v0, v20, v0, v5
.LBB6_6386:                             ;   in Loop: Header=BB6_4406 Depth=4
	s_or_b64 exec, exec, s[34:35]
.LBB6_6387:                             ;   in Loop: Header=BB6_4406 Depth=4
	s_or_b64 exec, exec, s[30:31]
.LBB6_6388:                             ;   in Loop: Header=BB6_4406 Depth=4
	s_or_b64 exec, exec, s[28:29]
	v_cmp_ne_u16_sdwa vcc, v17, v51 src0_sel:BYTE_0 src1_sel:DWORD
	s_and_saveexec_b64 s[28:29], vcc
	s_cbranch_execz .LBB6_6394
; %bb.6389:                             ;   in Loop: Header=BB6_4406 Depth=4
	v_cmp_ne_u16_sdwa vcc, v17, s96 src0_sel:BYTE_0 src1_sel:DWORD
	v_bfrev_b32_e32 v4, 1
	s_and_saveexec_b64 s[30:31], vcc
	s_cbranch_execz .LBB6_6393
; %bb.6390:                             ;   in Loop: Header=BB6_4406 Depth=4
	v_and_b32_e32 v5, 0x7f, v17
	v_cmp_ne_u32_e32 vcc, s86, v5
	v_mov_b32_e32 v4, 0x7f800001
	s_and_saveexec_b64 s[34:35], vcc
	s_cbranch_execz .LBB6_6392
; %bb.6391:                             ;   in Loop: Header=BB6_4406 Depth=4
	v_and_b32_e32 v4, 7, v17
	v_ffbh_u32_e32 v4, v4
	v_min_u32_e32 v4, 32, v4
	v_lshrrev_b32_e32 v22, 3, v5
	v_cmp_gt_u32_e32 vcc, 8, v5
	v_subrev_u32_e32 v5, 28, v4
	v_sub_u32_e32 v4, 29, v4
	v_mov_b32_e32 v20, v17
	v_mov_b32_e32 v21, v51
	v_cndmask_b32_e32 v22, v22, v4, vcc
	v_cndmask_b32_e32 v4, 0, v5, vcc
	v_lshlrev_b64 v[4:5], v4, v[20:21]
	v_lshlrev_b32_e32 v5, 24, v20
	v_lshlrev_b32_e32 v4, 20, v4
	v_bfrev_b32_e32 v20, 60
	v_and_b32_e32 v4, 0x700000, v4
	v_and_b32_e32 v5, 0x80000000, v5
	v_lshl_add_u32 v20, v22, 23, v20
	v_or3_b32 v4, v5, v20, v4
.LBB6_6392:                             ;   in Loop: Header=BB6_4406 Depth=4
	s_or_b64 exec, exec, s[34:35]
.LBB6_6393:                             ;   in Loop: Header=BB6_4406 Depth=4
	s_or_b64 exec, exec, s[30:31]
.LBB6_6394:                             ;   in Loop: Header=BB6_4406 Depth=4
	s_or_b64 exec, exec, s[28:29]
	v_add_f32_e32 v4, v0, v4
	v_and_b32_e32 v20, 0x7f800000, v4
	v_mov_b32_e32 v21, v51
	v_cmp_ne_u64_e32 vcc, s[76:77], v[20:21]
                                        ; implicit-def: $vgpr31
	s_and_saveexec_b64 s[28:29], vcc
	s_xor_b64 s[30:31], exec, s[28:29]
	s_cbranch_execz .LBB6_6408
; %bb.6395:                             ;   in Loop: Header=BB6_4406 Depth=4
	v_and_b32_e32 v20, 0x7fffffff, v4
	v_mov_b32_e32 v21, v51
	v_cmp_gt_u64_e32 vcc, s[78:79], v[20:21]
	v_and_b32_sdwa v22, v4, s96 dst_sel:DWORD dst_unused:UNUSED_PAD src0_sel:BYTE_3 src1_sel:DWORD
                                        ; implicit-def: $vgpr31
	s_and_saveexec_b64 s[28:29], vcc
	s_xor_b64 s[34:35], exec, s[28:29]
	s_cbranch_execz .LBB6_6405
; %bb.6396:                             ;   in Loop: Header=BB6_4406 Depth=4
	v_mov_b32_e32 v31, 0
	v_cmp_ne_u32_e32 vcc, 0, v4
	s_and_saveexec_b64 s[36:37], vcc
	s_cbranch_execz .LBB6_6404
; %bb.6397:                             ;   in Loop: Header=BB6_4406 Depth=4
	v_bfe_u32 v0, v4, 23, 8
	v_and_b32_e32 v5, 0x7fffff, v4
	v_cmp_gt_u32_e64 s[28:29], s97, v0
	v_sub_u32_e32 v4, 0x79, v0
	v_cmp_eq_u32_e32 vcc, 0, v0
	v_cndmask_b32_e64 v4, 0, v4, s[28:29]
	v_mov_b32_e32 v21, 0x78
	v_or_b32_e32 v20, 0x800000, v5
	v_cndmask_b32_e32 v23, v4, v21, vcc
	v_cndmask_b32_e32 v4, v20, v5, vcc
	v_add_u32_e32 v20, 20, v23
	v_lshlrev_b64 v[20:21], v20, -1
	v_add_u32_e32 v24, 19, v23
	v_lshlrev_b64 v[24:25], v24, 1
	v_mov_b32_e32 v5, v51
	v_bfi_b32 v21, v21, 0, 0
	v_bfi_b32 v20, v20, 0, v4
	v_cmp_eq_u64_e64 s[28:29], v[20:21], v[24:25]
	v_lshrrev_b64 v[20:21], v23, v[4:5]
	v_mov_b32_e32 v4, v20
	v_mov_b32_e32 v5, v21
	s_and_saveexec_b64 s[38:39], s[28:29]
; %bb.6398:                             ;   in Loop: Header=BB6_4406 Depth=4
	v_bfe_u32 v4, v20, 20, 1
	v_add_co_u32_e64 v4, s[28:29], v20, v4
	v_add_co_u32_e64 v4, s[28:29], -1, v4
; %bb.6399:                             ;   in Loop: Header=BB6_4406 Depth=4
	s_or_b64 exec, exec, s[38:39]
	v_add_u32_e32 v0, 0xffffff81, v0
	v_mov_b32_e32 v5, 0xffffff82
	v_cndmask_b32_e32 v0, v0, v5, vcc
	v_lshrrev_b32_e32 v5, 23, v20
	v_add3_u32 v23, v23, v0, v5
	v_add_u32_e32 v5, 6, v23
	v_and_b32_e32 v0, 0xfffff, v4
	v_add_u32_e32 v20, v0, v20
	v_mov_b32_e32 v21, v51
	v_cmp_ne_u32_e32 vcc, 0, v5
                                        ; implicit-def: $vgpr0
	s_and_saveexec_b64 s[28:29], vcc
	s_xor_b64 s[28:29], exec, s[28:29]
; %bb.6400:                             ;   in Loop: Header=BB6_4406 Depth=4
	v_cmp_lt_u64_e32 vcc, s[88:89], v[20:21]
	v_add_u32_e32 v0, 7, v23
	v_cndmask_b32_e64 v4, 0, 1, vcc
	v_lshrrev_b64 v[20:21], v4, v[20:21]
	v_cndmask_b32_e32 v0, v5, v0, vcc
; %bb.6401:                             ;   in Loop: Header=BB6_4406 Depth=4
	s_andn2_saveexec_b64 s[28:29], s[28:29]
; %bb.6402:                             ;   in Loop: Header=BB6_4406 Depth=4
	v_bfe_u32 v0, v20, 23, 1
; %bb.6403:                             ;   in Loop: Header=BB6_4406 Depth=4
	s_or_b64 exec, exec, s[28:29]
	v_lshrrev_b64 v[4:5], 20, v[20:21]
	v_cmp_gt_i32_e32 vcc, 16, v0
	v_cndmask_b32_e32 v5, 0, v5, vcc
	v_cndmask_b32_e32 v4, 7, v4, vcc
	v_cmp_eq_u32_e32 vcc, 0, v0
	v_min_i32_e32 v0, 15, v0
	v_cmp_eq_u64_e64 s[28:29], 0, v[4:5]
	v_lshlrev_b32_e32 v0, 3, v0
	v_and_b32_e32 v0, 0xf8, v0
	v_and_or_b32 v0, v4, 7, v0
	s_and_b64 s[28:29], vcc, s[28:29]
	v_cndmask_b32_e64 v0, v0, 0, s[28:29]
	v_or_b32_e32 v31, v0, v22
.LBB6_6404:                             ;   in Loop: Header=BB6_4406 Depth=4
	s_or_b64 exec, exec, s[36:37]
                                        ; implicit-def: $vgpr22
.LBB6_6405:                             ;   in Loop: Header=BB6_4406 Depth=4
	s_andn2_saveexec_b64 s[28:29], s[34:35]
; %bb.6406:                             ;   in Loop: Header=BB6_4406 Depth=4
	v_or_b32_e32 v31, 0x7e, v22
; %bb.6407:                             ;   in Loop: Header=BB6_4406 Depth=4
	s_or_b64 exec, exec, s[28:29]
                                        ; implicit-def: $vgpr4
.LBB6_6408:                             ;   in Loop: Header=BB6_4406 Depth=4
	s_andn2_saveexec_b64 s[28:29], s[30:31]
; %bb.6409:                             ;   in Loop: Header=BB6_4406 Depth=4
	v_or_b32_sdwa v31, v4, s86 dst_sel:DWORD dst_unused:UNUSED_PAD src0_sel:BYTE_3 src1_sel:DWORD
; %bb.6410:                             ;   in Loop: Header=BB6_4406 Depth=4
	s_or_b64 exec, exec, s[28:29]
	v_lshrrev_b16_e32 v20, 8, v3
	v_cmp_ne_u16_e32 vcc, 0, v20
	v_mov_b32_e32 v4, 0
	v_mov_b32_e32 v5, 0
	s_and_saveexec_b64 s[28:29], vcc
	s_cbranch_execz .LBB6_6416
; %bb.6411:                             ;   in Loop: Header=BB6_4406 Depth=4
	v_cmp_ne_u16_e32 vcc, s96, v20
	v_bfrev_b32_e32 v5, 1
	s_and_saveexec_b64 s[30:31], vcc
	s_cbranch_execz .LBB6_6415
; %bb.6412:                             ;   in Loop: Header=BB6_4406 Depth=4
	v_and_b32_e32 v21, 0x7f, v20
	v_cmp_ne_u32_e32 vcc, s86, v21
	v_mov_b32_e32 v5, 0x7f800001
	s_and_saveexec_b64 s[34:35], vcc
	s_cbranch_execz .LBB6_6414
; %bb.6413:                             ;   in Loop: Header=BB6_4406 Depth=4
	v_and_b32_e32 v0, 7, v20
	v_lshrrev_b32_e32 v5, 3, v21
	v_cmp_gt_u32_e32 vcc, 8, v21
	v_ffbh_u32_e32 v21, v0
	v_min_u32_e32 v22, 32, v21
	v_subrev_u32_e32 v21, 28, v22
	v_lshlrev_b64 v[20:21], v21, v[20:21]
	v_sub_u32_e32 v21, 29, v22
	v_and_b32_e32 v20, 7, v20
	v_cndmask_b32_e32 v5, v5, v21, vcc
	v_cndmask_b32_e32 v0, v0, v20, vcc
	v_lshlrev_b32_e32 v3, 16, v3
	v_bfrev_b32_e32 v20, 60
	v_lshlrev_b32_e32 v0, 20, v0
	v_and_b32_e32 v3, 0x80000000, v3
	v_lshl_add_u32 v5, v5, 23, v20
	v_or3_b32 v5, v3, v5, v0
.LBB6_6414:                             ;   in Loop: Header=BB6_4406 Depth=4
	s_or_b64 exec, exec, s[34:35]
.LBB6_6415:                             ;   in Loop: Header=BB6_4406 Depth=4
	s_or_b64 exec, exec, s[30:31]
.LBB6_6416:                             ;   in Loop: Header=BB6_4406 Depth=4
	s_or_b64 exec, exec, s[28:29]
	v_lshrrev_b16_e32 v20, 8, v17
	v_cmp_ne_u16_e32 vcc, 0, v20
	s_and_saveexec_b64 s[28:29], vcc
	s_cbranch_execz .LBB6_6422
; %bb.6417:                             ;   in Loop: Header=BB6_4406 Depth=4
	v_cmp_ne_u16_e32 vcc, s96, v20
	v_bfrev_b32_e32 v4, 1
	s_and_saveexec_b64 s[30:31], vcc
	s_cbranch_execz .LBB6_6421
; %bb.6418:                             ;   in Loop: Header=BB6_4406 Depth=4
	v_and_b32_e32 v3, 0x7f, v20
	v_cmp_ne_u32_e32 vcc, s86, v3
	v_mov_b32_e32 v4, 0x7f800001
	s_and_saveexec_b64 s[34:35], vcc
	s_cbranch_execz .LBB6_6420
; %bb.6419:                             ;   in Loop: Header=BB6_4406 Depth=4
	v_and_b32_e32 v0, 7, v20
	v_lshrrev_b32_e32 v21, 3, v3
	v_cmp_gt_u32_e32 vcc, 8, v3
	v_ffbh_u32_e32 v3, v0
	v_min_u32_e32 v22, 32, v3
	v_subrev_u32_e32 v3, 28, v22
	v_lshlrev_b64 v[3:4], v3, v[20:21]
	v_sub_u32_e32 v4, 29, v22
	v_and_b32_e32 v3, 7, v3
	v_cndmask_b32_e32 v4, v21, v4, vcc
	v_cndmask_b32_e32 v0, v0, v3, vcc
	v_lshlrev_b32_e32 v3, 16, v17
	v_bfrev_b32_e32 v20, 60
	v_lshlrev_b32_e32 v0, 20, v0
	v_and_b32_e32 v3, 0x80000000, v3
	v_lshl_add_u32 v4, v4, 23, v20
	v_or3_b32 v4, v3, v4, v0
.LBB6_6420:                             ;   in Loop: Header=BB6_4406 Depth=4
	s_or_b64 exec, exec, s[34:35]
.LBB6_6421:                             ;   in Loop: Header=BB6_4406 Depth=4
	s_or_b64 exec, exec, s[30:31]
.LBB6_6422:                             ;   in Loop: Header=BB6_4406 Depth=4
	s_or_b64 exec, exec, s[28:29]
	v_add_f32_e32 v4, v5, v4
	v_and_b32_e32 v20, 0x7f800000, v4
	v_mov_b32_e32 v21, v51
	v_cmp_ne_u64_e32 vcc, s[76:77], v[20:21]
                                        ; implicit-def: $vgpr35
	s_and_saveexec_b64 s[28:29], vcc
	s_xor_b64 s[30:31], exec, s[28:29]
	s_cbranch_execz .LBB6_6436
; %bb.6423:                             ;   in Loop: Header=BB6_4406 Depth=4
	v_and_b32_e32 v20, 0x7fffffff, v4
	v_mov_b32_e32 v21, v51
	v_cmp_gt_u64_e32 vcc, s[78:79], v[20:21]
	v_and_b32_sdwa v3, v4, s96 dst_sel:DWORD dst_unused:UNUSED_PAD src0_sel:BYTE_3 src1_sel:DWORD
                                        ; implicit-def: $vgpr35
	s_and_saveexec_b64 s[28:29], vcc
	s_xor_b64 s[34:35], exec, s[28:29]
	s_cbranch_execz .LBB6_6433
; %bb.6424:                             ;   in Loop: Header=BB6_4406 Depth=4
	v_mov_b32_e32 v35, 0
	v_cmp_ne_u32_e32 vcc, 0, v4
	s_and_saveexec_b64 s[36:37], vcc
	s_cbranch_execz .LBB6_6432
; %bb.6425:                             ;   in Loop: Header=BB6_4406 Depth=4
	v_bfe_u32 v22, v4, 23, 8
	v_and_b32_e32 v0, 0x7fffff, v4
	v_cmp_gt_u32_e64 s[28:29], s97, v22
	v_sub_u32_e32 v4, 0x79, v22
	v_cmp_eq_u32_e32 vcc, 0, v22
	v_cndmask_b32_e64 v4, 0, v4, s[28:29]
	v_mov_b32_e32 v20, 0x78
	v_or_b32_e32 v5, 0x800000, v0
	v_cndmask_b32_e32 v23, v4, v20, vcc
	v_cndmask_b32_e32 v4, v5, v0, vcc
	v_add_u32_e32 v0, 20, v23
	v_lshlrev_b64 v[20:21], v0, -1
	v_add_u32_e32 v0, 19, v23
	v_lshlrev_b64 v[24:25], v0, 1
	v_mov_b32_e32 v5, v51
	v_bfi_b32 v21, v21, 0, 0
	v_bfi_b32 v20, v20, 0, v4
	v_cmp_eq_u64_e64 s[28:29], v[20:21], v[24:25]
	v_lshrrev_b64 v[20:21], v23, v[4:5]
	v_mov_b32_e32 v4, v20
	v_mov_b32_e32 v5, v21
	s_and_saveexec_b64 s[38:39], s[28:29]
; %bb.6426:                             ;   in Loop: Header=BB6_4406 Depth=4
	v_bfe_u32 v0, v20, 20, 1
	v_add_co_u32_e64 v0, s[28:29], v20, v0
	v_add_co_u32_e64 v4, s[28:29], -1, v0
; %bb.6427:                             ;   in Loop: Header=BB6_4406 Depth=4
	s_or_b64 exec, exec, s[38:39]
	v_add_u32_e32 v0, 0xffffff81, v22
	v_mov_b32_e32 v5, 0xffffff82
	v_cndmask_b32_e32 v0, v0, v5, vcc
	v_lshrrev_b32_e32 v5, 23, v20
	v_add3_u32 v22, v23, v0, v5
	v_add_u32_e32 v5, 6, v22
	v_and_b32_e32 v0, 0xfffff, v4
	v_add_u32_e32 v20, v0, v20
	v_mov_b32_e32 v21, v51
	v_cmp_ne_u32_e32 vcc, 0, v5
                                        ; implicit-def: $vgpr4
	s_and_saveexec_b64 s[28:29], vcc
	s_xor_b64 s[28:29], exec, s[28:29]
; %bb.6428:                             ;   in Loop: Header=BB6_4406 Depth=4
	v_cmp_lt_u64_e32 vcc, s[88:89], v[20:21]
	v_add_u32_e32 v0, 7, v22
	v_cndmask_b32_e32 v4, v5, v0, vcc
	v_cndmask_b32_e64 v0, 0, 1, vcc
	v_lshrrev_b64 v[20:21], v0, v[20:21]
; %bb.6429:                             ;   in Loop: Header=BB6_4406 Depth=4
	s_andn2_saveexec_b64 s[28:29], s[28:29]
; %bb.6430:                             ;   in Loop: Header=BB6_4406 Depth=4
	v_bfe_u32 v4, v20, 23, 1
; %bb.6431:                             ;   in Loop: Header=BB6_4406 Depth=4
	s_or_b64 exec, exec, s[28:29]
	v_lshrrev_b64 v[20:21], 20, v[20:21]
	v_cmp_gt_i32_e32 vcc, 16, v4
	v_cndmask_b32_e32 v21, 0, v21, vcc
	v_cndmask_b32_e32 v20, 7, v20, vcc
	v_min_i32_e32 v0, 15, v4
	v_cmp_eq_u64_e64 s[28:29], 0, v[20:21]
	v_lshlrev_b32_e32 v0, 3, v0
	v_cmp_eq_u32_e32 vcc, 0, v4
	v_and_b32_e32 v0, 0xf8, v0
	v_and_or_b32 v0, v20, 7, v0
	s_and_b64 s[28:29], vcc, s[28:29]
	v_cndmask_b32_e64 v0, v0, 0, s[28:29]
	v_or_b32_e32 v35, v0, v3
.LBB6_6432:                             ;   in Loop: Header=BB6_4406 Depth=4
	s_or_b64 exec, exec, s[36:37]
                                        ; implicit-def: $vgpr3
.LBB6_6433:                             ;   in Loop: Header=BB6_4406 Depth=4
	s_andn2_saveexec_b64 s[28:29], s[34:35]
; %bb.6434:                             ;   in Loop: Header=BB6_4406 Depth=4
	v_or_b32_e32 v35, 0x7e, v3
; %bb.6435:                             ;   in Loop: Header=BB6_4406 Depth=4
	s_or_b64 exec, exec, s[28:29]
                                        ; implicit-def: $vgpr4
.LBB6_6436:                             ;   in Loop: Header=BB6_4406 Depth=4
	s_andn2_saveexec_b64 s[28:29], s[30:31]
; %bb.6437:                             ;   in Loop: Header=BB6_4406 Depth=4
	v_or_b32_sdwa v35, v4, s86 dst_sel:DWORD dst_unused:UNUSED_PAD src0_sel:BYTE_3 src1_sel:DWORD
; %bb.6438:                             ;   in Loop: Header=BB6_4406 Depth=4
	s_or_b64 exec, exec, s[28:29]
	v_lshrrev_b32_e32 v20, 16, v50
	v_cmp_ne_u16_sdwa vcc, v20, v51 src0_sel:BYTE_0 src1_sel:DWORD
	v_mov_b32_e32 v3, 0
	v_mov_b32_e32 v4, 0
	s_and_saveexec_b64 s[28:29], vcc
	s_cbranch_execz .LBB6_6444
; %bb.6439:                             ;   in Loop: Header=BB6_4406 Depth=4
	v_cmp_ne_u16_sdwa vcc, v20, s96 src0_sel:BYTE_0 src1_sel:DWORD
	v_bfrev_b32_e32 v4, 1
	s_and_saveexec_b64 s[30:31], vcc
	s_cbranch_execz .LBB6_6443
; %bb.6440:                             ;   in Loop: Header=BB6_4406 Depth=4
	v_bfe_u32 v5, v50, 16, 7
	v_cmp_ne_u32_e32 vcc, s86, v5
	v_mov_b32_e32 v4, 0x7f800001
	s_and_saveexec_b64 s[34:35], vcc
	s_cbranch_execz .LBB6_6442
; %bb.6441:                             ;   in Loop: Header=BB6_4406 Depth=4
	v_and_b32_e32 v0, 7, v20
	v_ffbh_u32_e32 v4, v0
	v_min_u32_e32 v22, 32, v4
	v_lshrrev_b32_e32 v21, 3, v5
	v_subrev_u32_e32 v4, 28, v22
	v_cmp_gt_u32_e32 vcc, 8, v5
	v_lshlrev_b64 v[4:5], v4, v[20:21]
	v_sub_u32_e32 v5, 29, v22
	v_and_b32_e32 v4, 7, v4
	v_cndmask_b32_e32 v5, v21, v5, vcc
	v_cndmask_b32_e32 v0, v0, v4, vcc
	v_lshlrev_b32_e32 v4, 24, v20
	v_bfrev_b32_e32 v20, 60
	v_lshlrev_b32_e32 v0, 20, v0
	v_and_b32_e32 v4, 0x80000000, v4
	v_lshl_add_u32 v5, v5, 23, v20
	v_or3_b32 v4, v4, v5, v0
.LBB6_6442:                             ;   in Loop: Header=BB6_4406 Depth=4
	s_or_b64 exec, exec, s[34:35]
.LBB6_6443:                             ;   in Loop: Header=BB6_4406 Depth=4
	s_or_b64 exec, exec, s[30:31]
.LBB6_6444:                             ;   in Loop: Header=BB6_4406 Depth=4
	s_or_b64 exec, exec, s[28:29]
	v_lshrrev_b32_e32 v20, 16, v17
	v_cmp_ne_u16_sdwa vcc, v20, v51 src0_sel:BYTE_0 src1_sel:DWORD
	s_and_saveexec_b64 s[28:29], vcc
	s_cbranch_execz .LBB6_6450
; %bb.6445:                             ;   in Loop: Header=BB6_4406 Depth=4
	v_cmp_ne_u16_sdwa vcc, v20, s96 src0_sel:BYTE_0 src1_sel:DWORD
	v_bfrev_b32_e32 v3, 1
	s_and_saveexec_b64 s[30:31], vcc
	s_cbranch_execz .LBB6_6449
; %bb.6446:                             ;   in Loop: Header=BB6_4406 Depth=4
	v_bfe_u32 v5, v17, 16, 7
	v_cmp_ne_u32_e32 vcc, s86, v5
	v_mov_b32_e32 v3, 0x7f800001
	s_and_saveexec_b64 s[34:35], vcc
	s_cbranch_execz .LBB6_6448
; %bb.6447:                             ;   in Loop: Header=BB6_4406 Depth=4
	v_and_b32_e32 v0, 7, v20
	v_lshrrev_b32_e32 v3, 3, v5
	v_cmp_gt_u32_e32 vcc, 8, v5
	v_ffbh_u32_e32 v5, v0
	v_min_u32_e32 v5, 32, v5
	v_subrev_u32_e32 v21, 28, v5
	v_lshlrev_b64 v[20:21], v21, v[20:21]
	v_sub_u32_e32 v5, 29, v5
	v_and_b32_e32 v20, 7, v20
	v_cndmask_b32_e32 v3, v3, v5, vcc
	v_cndmask_b32_e32 v0, v0, v20, vcc
	v_lshlrev_b32_e32 v5, 8, v17
	v_bfrev_b32_e32 v20, 60
	v_lshlrev_b32_e32 v0, 20, v0
	v_and_b32_e32 v5, 0x80000000, v5
	v_lshl_add_u32 v3, v3, 23, v20
	v_or3_b32 v3, v5, v3, v0
.LBB6_6448:                             ;   in Loop: Header=BB6_4406 Depth=4
	s_or_b64 exec, exec, s[34:35]
.LBB6_6449:                             ;   in Loop: Header=BB6_4406 Depth=4
	s_or_b64 exec, exec, s[30:31]
.LBB6_6450:                             ;   in Loop: Header=BB6_4406 Depth=4
	s_or_b64 exec, exec, s[28:29]
	v_add_f32_e32 v4, v4, v3
	v_and_b32_e32 v20, 0x7f800000, v4
	v_mov_b32_e32 v21, v51
	v_cmp_ne_u64_e32 vcc, s[76:77], v[20:21]
                                        ; implicit-def: $vgpr48
	s_and_saveexec_b64 s[28:29], vcc
	s_xor_b64 s[30:31], exec, s[28:29]
	s_cbranch_execz .LBB6_6464
; %bb.6451:                             ;   in Loop: Header=BB6_4406 Depth=4
	v_and_b32_e32 v20, 0x7fffffff, v4
	v_mov_b32_e32 v21, v51
	v_cmp_gt_u64_e32 vcc, s[78:79], v[20:21]
	v_and_b32_sdwa v3, v4, s96 dst_sel:DWORD dst_unused:UNUSED_PAD src0_sel:BYTE_3 src1_sel:DWORD
                                        ; implicit-def: $vgpr48
	s_and_saveexec_b64 s[28:29], vcc
	s_xor_b64 s[34:35], exec, s[28:29]
	s_cbranch_execz .LBB6_6461
; %bb.6452:                             ;   in Loop: Header=BB6_4406 Depth=4
	v_mov_b32_e32 v48, 0
	v_cmp_ne_u32_e32 vcc, 0, v4
	s_and_saveexec_b64 s[36:37], vcc
	s_cbranch_execz .LBB6_6460
; %bb.6453:                             ;   in Loop: Header=BB6_4406 Depth=4
	v_bfe_u32 v22, v4, 23, 8
	v_and_b32_e32 v0, 0x7fffff, v4
	v_cmp_gt_u32_e64 s[28:29], s97, v22
	v_sub_u32_e32 v4, 0x79, v22
	v_cmp_eq_u32_e32 vcc, 0, v22
	v_cndmask_b32_e64 v4, 0, v4, s[28:29]
	v_mov_b32_e32 v20, 0x78
	v_or_b32_e32 v5, 0x800000, v0
	v_cndmask_b32_e32 v23, v4, v20, vcc
	v_cndmask_b32_e32 v4, v5, v0, vcc
	v_add_u32_e32 v0, 20, v23
	v_lshlrev_b64 v[20:21], v0, -1
	v_add_u32_e32 v0, 19, v23
	v_lshlrev_b64 v[24:25], v0, 1
	v_mov_b32_e32 v5, v51
	v_bfi_b32 v21, v21, 0, 0
	v_bfi_b32 v20, v20, 0, v4
	v_cmp_eq_u64_e64 s[28:29], v[20:21], v[24:25]
	v_lshrrev_b64 v[20:21], v23, v[4:5]
	v_mov_b32_e32 v4, v20
	v_mov_b32_e32 v5, v21
	s_and_saveexec_b64 s[38:39], s[28:29]
; %bb.6454:                             ;   in Loop: Header=BB6_4406 Depth=4
	v_bfe_u32 v0, v20, 20, 1
	v_add_co_u32_e64 v0, s[28:29], v20, v0
	v_add_co_u32_e64 v4, s[28:29], -1, v0
; %bb.6455:                             ;   in Loop: Header=BB6_4406 Depth=4
	s_or_b64 exec, exec, s[38:39]
	v_add_u32_e32 v0, 0xffffff81, v22
	v_mov_b32_e32 v5, 0xffffff82
	v_cndmask_b32_e32 v0, v0, v5, vcc
	v_lshrrev_b32_e32 v5, 23, v20
	v_add3_u32 v22, v23, v0, v5
	v_add_u32_e32 v5, 6, v22
	v_and_b32_e32 v0, 0xfffff, v4
	v_add_u32_e32 v20, v0, v20
	v_mov_b32_e32 v21, v51
	v_cmp_ne_u32_e32 vcc, 0, v5
                                        ; implicit-def: $vgpr4
	s_and_saveexec_b64 s[28:29], vcc
	s_xor_b64 s[28:29], exec, s[28:29]
; %bb.6456:                             ;   in Loop: Header=BB6_4406 Depth=4
	v_cmp_lt_u64_e32 vcc, s[88:89], v[20:21]
	v_add_u32_e32 v0, 7, v22
	v_cndmask_b32_e32 v4, v5, v0, vcc
	v_cndmask_b32_e64 v0, 0, 1, vcc
	v_lshrrev_b64 v[20:21], v0, v[20:21]
; %bb.6457:                             ;   in Loop: Header=BB6_4406 Depth=4
	s_andn2_saveexec_b64 s[28:29], s[28:29]
; %bb.6458:                             ;   in Loop: Header=BB6_4406 Depth=4
	v_bfe_u32 v4, v20, 23, 1
; %bb.6459:                             ;   in Loop: Header=BB6_4406 Depth=4
	s_or_b64 exec, exec, s[28:29]
	v_lshrrev_b64 v[20:21], 20, v[20:21]
	v_cmp_gt_i32_e32 vcc, 16, v4
	v_cndmask_b32_e32 v21, 0, v21, vcc
	v_cndmask_b32_e32 v20, 7, v20, vcc
	v_min_i32_e32 v0, 15, v4
	v_cmp_eq_u64_e64 s[28:29], 0, v[20:21]
	v_lshlrev_b32_e32 v0, 3, v0
	v_cmp_eq_u32_e32 vcc, 0, v4
	v_and_b32_e32 v0, 0xf8, v0
	v_and_or_b32 v0, v20, 7, v0
	s_and_b64 s[28:29], vcc, s[28:29]
	v_cndmask_b32_e64 v0, v0, 0, s[28:29]
	v_or_b32_e32 v48, v0, v3
.LBB6_6460:                             ;   in Loop: Header=BB6_4406 Depth=4
	s_or_b64 exec, exec, s[36:37]
                                        ; implicit-def: $vgpr3
.LBB6_6461:                             ;   in Loop: Header=BB6_4406 Depth=4
	s_andn2_saveexec_b64 s[28:29], s[34:35]
; %bb.6462:                             ;   in Loop: Header=BB6_4406 Depth=4
	v_or_b32_e32 v48, 0x7e, v3
; %bb.6463:                             ;   in Loop: Header=BB6_4406 Depth=4
	s_or_b64 exec, exec, s[28:29]
                                        ; implicit-def: $vgpr4
.LBB6_6464:                             ;   in Loop: Header=BB6_4406 Depth=4
	s_andn2_saveexec_b64 s[28:29], s[30:31]
; %bb.6465:                             ;   in Loop: Header=BB6_4406 Depth=4
	v_or_b32_sdwa v48, v4, s86 dst_sel:DWORD dst_unused:UNUSED_PAD src0_sel:BYTE_3 src1_sel:DWORD
; %bb.6466:                             ;   in Loop: Header=BB6_4406 Depth=4
	s_or_b64 exec, exec, s[28:29]
	v_cmp_lt_u32_e32 vcc, s57, v50
	v_mov_b32_e32 v3, 0
	v_mov_b32_e32 v4, 0
	s_and_saveexec_b64 s[28:29], vcc
	s_cbranch_execz .LBB6_6472
; %bb.6467:                             ;   in Loop: Header=BB6_4406 Depth=4
	v_lshrrev_b32_e32 v20, 24, v50
	v_cmp_ne_u32_sdwa vcc, v50, s96 src0_sel:BYTE_3 src1_sel:DWORD
	v_bfrev_b32_e32 v4, 1
	s_and_saveexec_b64 s[30:31], vcc
	s_cbranch_execz .LBB6_6471
; %bb.6468:                             ;   in Loop: Header=BB6_4406 Depth=4
	v_bfe_u32 v5, v50, 24, 7
	v_cmp_ne_u32_e32 vcc, s86, v5
	v_mov_b32_e32 v4, 0x7f800001
	s_and_saveexec_b64 s[34:35], vcc
	s_cbranch_execz .LBB6_6470
; %bb.6469:                             ;   in Loop: Header=BB6_4406 Depth=4
	v_and_b32_e32 v0, 7, v20
	v_ffbh_u32_e32 v4, v0
	v_min_u32_e32 v22, 32, v4
	v_lshrrev_b32_e32 v21, 3, v5
	v_subrev_u32_e32 v4, 28, v22
	v_cmp_gt_u32_e32 vcc, 8, v5
	v_lshlrev_b64 v[4:5], v4, v[20:21]
	v_sub_u32_e32 v5, 29, v22
	v_and_b32_e32 v4, 7, v4
	v_cndmask_b32_e32 v0, v0, v4, vcc
	v_mov_b32_e32 v4, 24
	v_cndmask_b32_e32 v5, v21, v5, vcc
	v_lshlrev_b32_sdwa v4, v4, v50 dst_sel:DWORD dst_unused:UNUSED_PAD src0_sel:DWORD src1_sel:BYTE_3
	v_bfrev_b32_e32 v20, 60
	v_lshlrev_b32_e32 v0, 20, v0
	v_and_b32_e32 v4, 0x80000000, v4
	v_lshl_add_u32 v5, v5, 23, v20
	v_or3_b32 v4, v4, v5, v0
.LBB6_6470:                             ;   in Loop: Header=BB6_4406 Depth=4
	s_or_b64 exec, exec, s[34:35]
.LBB6_6471:                             ;   in Loop: Header=BB6_4406 Depth=4
	s_or_b64 exec, exec, s[30:31]
.LBB6_6472:                             ;   in Loop: Header=BB6_4406 Depth=4
	s_or_b64 exec, exec, s[28:29]
	v_cmp_lt_u64_e32 vcc, s[56:57], v[16:17]
	s_and_saveexec_b64 s[28:29], vcc
	s_cbranch_execz .LBB6_6478
; %bb.6473:                             ;   in Loop: Header=BB6_4406 Depth=4
	v_lshrrev_b32_e32 v16, 24, v17
	v_cmp_ne_u32_e32 vcc, s96, v16
	v_bfrev_b32_e32 v3, 1
	s_and_saveexec_b64 s[30:31], vcc
	s_cbranch_execz .LBB6_6477
; %bb.6474:                             ;   in Loop: Header=BB6_4406 Depth=4
	v_bfe_u32 v5, v17, 24, 7
	v_cmp_ne_u32_e32 vcc, s86, v5
	v_mov_b32_e32 v3, 0x7f800001
	s_and_saveexec_b64 s[34:35], vcc
	s_cbranch_execz .LBB6_6476
; %bb.6475:                             ;   in Loop: Header=BB6_4406 Depth=4
	v_and_b32_e32 v0, 7, v16
	v_lshrrev_b32_e32 v3, 3, v5
	v_cmp_gt_u32_e32 vcc, 8, v5
	v_ffbh_u32_e32 v5, v0
	v_min_u32_e32 v5, 32, v5
	v_subrev_u32_e32 v17, 28, v5
	v_lshlrev_b64 v[22:23], v17, v[16:17]
	v_sub_u32_e32 v5, 29, v5
	v_and_b32_e32 v17, 7, v22
	v_cndmask_b32_e32 v3, v3, v5, vcc
	v_cndmask_b32_e32 v0, v0, v17, vcc
	v_lshlrev_b32_e32 v5, 24, v16
	v_bfrev_b32_e32 v16, 60
	v_lshlrev_b32_e32 v0, 20, v0
	v_and_b32_e32 v5, 0x80000000, v5
	v_lshl_add_u32 v3, v3, 23, v16
	v_or3_b32 v3, v5, v3, v0
.LBB6_6476:                             ;   in Loop: Header=BB6_4406 Depth=4
	s_or_b64 exec, exec, s[34:35]
.LBB6_6477:                             ;   in Loop: Header=BB6_4406 Depth=4
	s_or_b64 exec, exec, s[30:31]
.LBB6_6478:                             ;   in Loop: Header=BB6_4406 Depth=4
	s_or_b64 exec, exec, s[28:29]
	v_add_f32_e32 v4, v4, v3
	v_and_b32_e32 v50, 0x7f800000, v4
	v_cmp_ne_u64_e32 vcc, s[76:77], v[50:51]
                                        ; implicit-def: $vgpr0
	s_and_saveexec_b64 s[28:29], vcc
	s_xor_b64 s[30:31], exec, s[28:29]
	s_cbranch_execz .LBB6_6492
; %bb.6479:                             ;   in Loop: Header=BB6_4406 Depth=4
	v_and_b32_e32 v50, 0x7fffffff, v4
	v_cmp_gt_u64_e32 vcc, s[78:79], v[50:51]
	v_and_b32_sdwa v3, v4, s96 dst_sel:DWORD dst_unused:UNUSED_PAD src0_sel:BYTE_3 src1_sel:DWORD
                                        ; implicit-def: $vgpr0
	s_and_saveexec_b64 s[28:29], vcc
	s_xor_b64 s[34:35], exec, s[28:29]
	s_cbranch_execz .LBB6_6489
; %bb.6480:                             ;   in Loop: Header=BB6_4406 Depth=4
	v_mov_b32_e32 v0, 0
	v_cmp_ne_u32_e32 vcc, 0, v4
	s_and_saveexec_b64 s[36:37], vcc
	s_cbranch_execz .LBB6_6488
; %bb.6481:                             ;   in Loop: Header=BB6_4406 Depth=4
	v_bfe_u32 v20, v4, 23, 8
	v_and_b32_e32 v0, 0x7fffff, v4
	v_cmp_gt_u32_e64 s[28:29], s97, v20
	v_sub_u32_e32 v4, 0x79, v20
	v_cmp_eq_u32_e32 vcc, 0, v20
	v_cndmask_b32_e64 v4, 0, v4, s[28:29]
	v_mov_b32_e32 v16, 0x78
	v_or_b32_e32 v5, 0x800000, v0
	v_cndmask_b32_e32 v22, v4, v16, vcc
	v_cndmask_b32_e32 v50, v5, v0, vcc
	v_add_u32_e32 v0, 20, v22
	v_lshlrev_b64 v[4:5], v0, -1
	v_add_u32_e32 v0, 19, v22
	v_lshlrev_b64 v[16:17], v0, 1
	v_bfi_b32 v5, v5, 0, 0
	v_bfi_b32 v4, v4, 0, v50
	v_cmp_eq_u64_e64 s[28:29], v[4:5], v[16:17]
	v_lshrrev_b64 v[16:17], v22, v[50:51]
	v_mov_b32_e32 v4, v16
	v_mov_b32_e32 v5, v17
	s_and_saveexec_b64 s[38:39], s[28:29]
; %bb.6482:                             ;   in Loop: Header=BB6_4406 Depth=4
	v_bfe_u32 v0, v16, 20, 1
	v_add_co_u32_e64 v0, s[28:29], v16, v0
	v_add_co_u32_e64 v4, s[28:29], -1, v0
; %bb.6483:                             ;   in Loop: Header=BB6_4406 Depth=4
	s_or_b64 exec, exec, s[38:39]
	v_add_u32_e32 v0, 0xffffff81, v20
	v_mov_b32_e32 v5, 0xffffff82
	v_cndmask_b32_e32 v0, v0, v5, vcc
	v_lshrrev_b32_e32 v5, 23, v16
	v_add3_u32 v20, v22, v0, v5
	v_add_u32_e32 v5, 6, v20
	v_and_b32_e32 v0, 0xfffff, v4
	v_add_u32_e32 v50, v0, v16
	v_cmp_ne_u32_e32 vcc, 0, v5
                                        ; implicit-def: $vgpr16_vgpr17
                                        ; implicit-def: $vgpr4
	s_and_saveexec_b64 s[28:29], vcc
	s_xor_b64 s[28:29], exec, s[28:29]
; %bb.6484:                             ;   in Loop: Header=BB6_4406 Depth=4
	v_cmp_lt_u64_e32 vcc, s[88:89], v[50:51]
	v_add_u32_e32 v0, 7, v20
	v_cndmask_b32_e32 v4, v5, v0, vcc
	v_cndmask_b32_e64 v0, 0, 1, vcc
	v_lshrrev_b64 v[16:17], v0, v[50:51]
; %bb.6485:                             ;   in Loop: Header=BB6_4406 Depth=4
	s_andn2_saveexec_b64 s[28:29], s[28:29]
; %bb.6486:                             ;   in Loop: Header=BB6_4406 Depth=4
	v_mov_b32_e32 v16, v50
	v_bfe_u32 v4, v50, 23, 1
	v_mov_b32_e32 v17, v51
; %bb.6487:                             ;   in Loop: Header=BB6_4406 Depth=4
	s_or_b64 exec, exec, s[28:29]
	v_lshrrev_b64 v[16:17], 20, v[16:17]
	v_cmp_gt_i32_e32 vcc, 16, v4
	v_cndmask_b32_e32 v17, 0, v17, vcc
	v_cndmask_b32_e32 v16, 7, v16, vcc
	v_min_i32_e32 v0, 15, v4
	v_cmp_eq_u64_e64 s[28:29], 0, v[16:17]
	v_lshlrev_b32_e32 v0, 3, v0
	v_cmp_eq_u32_e32 vcc, 0, v4
	v_and_b32_e32 v0, 0xf8, v0
	v_and_or_b32 v0, v16, 7, v0
	s_and_b64 s[28:29], vcc, s[28:29]
	v_cndmask_b32_e64 v0, v0, 0, s[28:29]
	v_or_b32_e32 v0, v0, v3
.LBB6_6488:                             ;   in Loop: Header=BB6_4406 Depth=4
	s_or_b64 exec, exec, s[36:37]
                                        ; implicit-def: $vgpr3
.LBB6_6489:                             ;   in Loop: Header=BB6_4406 Depth=4
	s_andn2_saveexec_b64 s[28:29], s[34:35]
; %bb.6490:                             ;   in Loop: Header=BB6_4406 Depth=4
	v_or_b32_e32 v0, 0x7e, v3
; %bb.6491:                             ;   in Loop: Header=BB6_4406 Depth=4
	s_or_b64 exec, exec, s[28:29]
                                        ; implicit-def: $vgpr4
.LBB6_6492:                             ;   in Loop: Header=BB6_4406 Depth=4
	s_andn2_saveexec_b64 s[28:29], s[30:31]
; %bb.6493:                             ;   in Loop: Header=BB6_4406 Depth=4
	v_or_b32_sdwa v0, v4, s86 dst_sel:DWORD dst_unused:UNUSED_PAD src0_sel:BYTE_3 src1_sel:DWORD
; %bb.6494:                             ;   in Loop: Header=BB6_4406 Depth=4
	s_or_b64 exec, exec, s[28:29]
	buffer_load_dword v3, off, s[0:3], s33 offset:216 ; 4-byte Folded Reload
	buffer_load_dword v4, off, s[0:3], s33 offset:236 ; 4-byte Folded Reload
	;; [unrolled: 1-line block ×3, first 2 shown]
	v_cmp_ne_u32_e32 vcc, 0, v2
	s_waitcnt vmcnt(2)
	v_lshl_or_b32 v3, v3, 8, v2
	s_waitcnt vmcnt(1)
	v_lshlrev_b32_e32 v4, 16, v4
	s_waitcnt vmcnt(0)
	v_lshlrev_b32_e32 v5, 24, v5
	v_or3_b32 v50, v4, v5, v3
	v_mov_b32_e32 v4, 0
	v_mov_b32_e32 v5, 0
	s_and_saveexec_b64 s[28:29], vcc
	s_cbranch_execz .LBB6_6500
; %bb.6495:                             ;   in Loop: Header=BB6_4406 Depth=4
	v_cmp_ne_u32_e32 vcc, s96, v2
	v_bfrev_b32_e32 v5, 1
	s_and_saveexec_b64 s[30:31], vcc
	s_cbranch_execz .LBB6_6499
; %bb.6496:                             ;   in Loop: Header=BB6_4406 Depth=4
	v_and_b32_e32 v16, 0x7f, v2
	v_cmp_ne_u32_e32 vcc, s86, v16
	v_mov_b32_e32 v5, 0x7f800001
	s_and_saveexec_b64 s[34:35], vcc
	s_cbranch_execz .LBB6_6498
; %bb.6497:                             ;   in Loop: Header=BB6_4406 Depth=4
	v_and_b32_e32 v2, 7, v2
	v_ffbh_u32_e32 v2, v2
	v_min_u32_e32 v2, 32, v2
	v_lshrrev_b32_e32 v5, 3, v16
	v_cmp_gt_u32_e32 vcc, 8, v16
	v_subrev_u32_e32 v16, 28, v2
	v_sub_u32_e32 v2, 29, v2
	v_cndmask_b32_e32 v2, v5, v2, vcc
	v_cndmask_b32_e32 v5, 0, v16, vcc
	v_lshlrev_b64 v[16:17], v5, v[50:51]
	v_bfrev_b32_e32 v17, 60
	v_lshlrev_b32_e32 v5, 20, v16
	v_lshlrev_b32_e32 v16, 24, v50
	v_and_b32_e32 v5, 0x700000, v5
	v_and_b32_e32 v16, 0x80000000, v16
	v_lshl_add_u32 v2, v2, 23, v17
	v_or3_b32 v5, v16, v2, v5
.LBB6_6498:                             ;   in Loop: Header=BB6_4406 Depth=4
	s_or_b64 exec, exec, s[34:35]
.LBB6_6499:                             ;   in Loop: Header=BB6_4406 Depth=4
	s_or_b64 exec, exec, s[30:31]
.LBB6_6500:                             ;   in Loop: Header=BB6_4406 Depth=4
	s_or_b64 exec, exec, s[28:29]
	v_cmp_ne_u16_sdwa vcc, v18, v51 src0_sel:BYTE_0 src1_sel:DWORD
	s_and_saveexec_b64 s[28:29], vcc
	s_cbranch_execz .LBB6_6506
; %bb.6501:                             ;   in Loop: Header=BB6_4406 Depth=4
	v_cmp_ne_u16_sdwa vcc, v18, s96 src0_sel:BYTE_0 src1_sel:DWORD
	v_bfrev_b32_e32 v4, 1
	s_and_saveexec_b64 s[30:31], vcc
	s_cbranch_execz .LBB6_6505
; %bb.6502:                             ;   in Loop: Header=BB6_4406 Depth=4
	v_and_b32_e32 v2, 0x7f, v18
	v_cmp_ne_u32_e32 vcc, s86, v2
	v_mov_b32_e32 v4, 0x7f800001
	s_and_saveexec_b64 s[34:35], vcc
	s_cbranch_execz .LBB6_6504
; %bb.6503:                             ;   in Loop: Header=BB6_4406 Depth=4
	v_and_b32_e32 v4, 7, v18
	v_lshrrev_b32_e32 v16, 3, v2
	v_cmp_gt_u32_e32 vcc, 8, v2
	v_ffbh_u32_e32 v2, v4
	v_min_u32_e32 v2, 32, v2
	v_subrev_u32_e32 v4, 28, v2
	v_sub_u32_e32 v2, 29, v2
	v_cndmask_b32_e32 v4, 0, v4, vcc
	v_cndmask_b32_e32 v2, v16, v2, vcc
	v_lshlrev_b64 v[16:17], v4, v[18:19]
	v_bfrev_b32_e32 v17, 60
	v_lshlrev_b32_e32 v4, 20, v16
	v_lshlrev_b32_e32 v16, 24, v18
	v_and_b32_e32 v4, 0x700000, v4
	v_and_b32_e32 v16, 0x80000000, v16
	v_lshl_add_u32 v2, v2, 23, v17
	v_or3_b32 v4, v16, v2, v4
.LBB6_6504:                             ;   in Loop: Header=BB6_4406 Depth=4
	s_or_b64 exec, exec, s[34:35]
.LBB6_6505:                             ;   in Loop: Header=BB6_4406 Depth=4
	s_or_b64 exec, exec, s[30:31]
.LBB6_6506:                             ;   in Loop: Header=BB6_4406 Depth=4
	s_or_b64 exec, exec, s[28:29]
	v_add_f32_e32 v4, v5, v4
	v_and_b32_e32 v16, 0x7f800000, v4
	v_mov_b32_e32 v17, v51
	v_cmp_ne_u64_e32 vcc, s[76:77], v[16:17]
                                        ; implicit-def: $vgpr2
	s_and_saveexec_b64 s[28:29], vcc
	s_xor_b64 s[30:31], exec, s[28:29]
	s_cbranch_execz .LBB6_6520
; %bb.6507:                             ;   in Loop: Header=BB6_4406 Depth=4
	v_and_b32_e32 v16, 0x7fffffff, v4
	v_mov_b32_e32 v17, v51
	v_cmp_gt_u64_e32 vcc, s[78:79], v[16:17]
	v_and_b32_sdwa v22, v4, s96 dst_sel:DWORD dst_unused:UNUSED_PAD src0_sel:BYTE_3 src1_sel:DWORD
                                        ; implicit-def: $vgpr2
	s_and_saveexec_b64 s[28:29], vcc
	s_xor_b64 s[34:35], exec, s[28:29]
	s_cbranch_execz .LBB6_6517
; %bb.6508:                             ;   in Loop: Header=BB6_4406 Depth=4
	v_mov_b32_e32 v2, 0
	v_cmp_ne_u32_e32 vcc, 0, v4
	s_and_saveexec_b64 s[36:37], vcc
	s_cbranch_execz .LBB6_6516
; %bb.6509:                             ;   in Loop: Header=BB6_4406 Depth=4
	v_bfe_u32 v2, v4, 23, 8
	v_and_b32_e32 v5, 0x7fffff, v4
	v_cmp_gt_u32_e64 s[28:29], s97, v2
	v_sub_u32_e32 v4, 0x79, v2
	v_cmp_eq_u32_e32 vcc, 0, v2
	v_cndmask_b32_e64 v4, 0, v4, s[28:29]
	v_mov_b32_e32 v17, 0x78
	v_or_b32_e32 v16, 0x800000, v5
	v_cndmask_b32_e32 v23, v4, v17, vcc
	v_cndmask_b32_e32 v4, v16, v5, vcc
	v_add_u32_e32 v16, 20, v23
	v_lshlrev_b64 v[16:17], v16, -1
	v_add_u32_e32 v20, 19, v23
	v_lshlrev_b64 v[24:25], v20, 1
	v_mov_b32_e32 v5, v51
	v_bfi_b32 v17, v17, 0, 0
	v_bfi_b32 v16, v16, 0, v4
	v_cmp_eq_u64_e64 s[28:29], v[16:17], v[24:25]
	v_lshrrev_b64 v[16:17], v23, v[4:5]
	v_mov_b32_e32 v4, v16
	v_mov_b32_e32 v5, v17
	s_and_saveexec_b64 s[38:39], s[28:29]
; %bb.6510:                             ;   in Loop: Header=BB6_4406 Depth=4
	v_bfe_u32 v4, v16, 20, 1
	v_add_co_u32_e64 v4, s[28:29], v16, v4
	v_add_co_u32_e64 v4, s[28:29], -1, v4
; %bb.6511:                             ;   in Loop: Header=BB6_4406 Depth=4
	s_or_b64 exec, exec, s[38:39]
	v_add_u32_e32 v2, 0xffffff81, v2
	v_mov_b32_e32 v5, 0xffffff82
	v_cndmask_b32_e32 v2, v2, v5, vcc
	v_lshrrev_b32_e32 v5, 23, v16
	v_add3_u32 v23, v23, v2, v5
	v_add_u32_e32 v5, 6, v23
	v_and_b32_e32 v2, 0xfffff, v4
	v_add_u32_e32 v16, v2, v16
	v_mov_b32_e32 v17, v51
	v_cmp_ne_u32_e32 vcc, 0, v5
                                        ; implicit-def: $vgpr2
	s_and_saveexec_b64 s[28:29], vcc
	s_xor_b64 s[28:29], exec, s[28:29]
; %bb.6512:                             ;   in Loop: Header=BB6_4406 Depth=4
	v_cmp_lt_u64_e32 vcc, s[88:89], v[16:17]
	v_add_u32_e32 v2, 7, v23
	v_cndmask_b32_e64 v4, 0, 1, vcc
	v_lshrrev_b64 v[16:17], v4, v[16:17]
	v_cndmask_b32_e32 v2, v5, v2, vcc
; %bb.6513:                             ;   in Loop: Header=BB6_4406 Depth=4
	s_andn2_saveexec_b64 s[28:29], s[28:29]
; %bb.6514:                             ;   in Loop: Header=BB6_4406 Depth=4
	v_bfe_u32 v2, v16, 23, 1
; %bb.6515:                             ;   in Loop: Header=BB6_4406 Depth=4
	s_or_b64 exec, exec, s[28:29]
	v_lshrrev_b64 v[4:5], 20, v[16:17]
	v_cmp_gt_i32_e32 vcc, 16, v2
	v_cndmask_b32_e32 v5, 0, v5, vcc
	v_cndmask_b32_e32 v4, 7, v4, vcc
	v_cmp_eq_u32_e32 vcc, 0, v2
	v_min_i32_e32 v2, 15, v2
	v_cmp_eq_u64_e64 s[28:29], 0, v[4:5]
	v_lshlrev_b32_e32 v2, 3, v2
	v_and_b32_e32 v2, 0xf8, v2
	v_and_or_b32 v2, v4, 7, v2
	s_and_b64 s[28:29], vcc, s[28:29]
	v_cndmask_b32_e64 v2, v2, 0, s[28:29]
	v_or_b32_e32 v2, v2, v22
.LBB6_6516:                             ;   in Loop: Header=BB6_4406 Depth=4
	s_or_b64 exec, exec, s[36:37]
                                        ; implicit-def: $vgpr22
.LBB6_6517:                             ;   in Loop: Header=BB6_4406 Depth=4
	s_andn2_saveexec_b64 s[28:29], s[34:35]
; %bb.6518:                             ;   in Loop: Header=BB6_4406 Depth=4
	v_or_b32_e32 v2, 0x7e, v22
; %bb.6519:                             ;   in Loop: Header=BB6_4406 Depth=4
	s_or_b64 exec, exec, s[28:29]
                                        ; implicit-def: $vgpr4
.LBB6_6520:                             ;   in Loop: Header=BB6_4406 Depth=4
	s_andn2_saveexec_b64 s[28:29], s[30:31]
; %bb.6521:                             ;   in Loop: Header=BB6_4406 Depth=4
	v_or_b32_sdwa v2, v4, s86 dst_sel:DWORD dst_unused:UNUSED_PAD src0_sel:BYTE_3 src1_sel:DWORD
; %bb.6522:                             ;   in Loop: Header=BB6_4406 Depth=4
	s_or_b64 exec, exec, s[28:29]
	v_lshrrev_b16_e32 v16, 8, v3
	v_cmp_ne_u16_e32 vcc, 0, v16
	v_mov_b32_e32 v4, 0
	v_mov_b32_e32 v5, 0
	s_and_saveexec_b64 s[28:29], vcc
	s_cbranch_execz .LBB6_6528
; %bb.6523:                             ;   in Loop: Header=BB6_4406 Depth=4
	v_cmp_ne_u16_e32 vcc, s96, v16
	v_bfrev_b32_e32 v5, 1
	s_and_saveexec_b64 s[30:31], vcc
	s_cbranch_execz .LBB6_6527
; %bb.6524:                             ;   in Loop: Header=BB6_4406 Depth=4
	v_and_b32_e32 v17, 0x7f, v16
	v_cmp_ne_u32_e32 vcc, s86, v17
	v_mov_b32_e32 v5, 0x7f800001
	s_and_saveexec_b64 s[34:35], vcc
	s_cbranch_execz .LBB6_6526
; %bb.6525:                             ;   in Loop: Header=BB6_4406 Depth=4
	v_and_b32_e32 v5, 7, v16
	v_lshrrev_b32_e32 v20, 3, v17
	v_cmp_gt_u32_e32 vcc, 8, v17
	v_ffbh_u32_e32 v17, v5
	v_min_u32_e32 v21, 32, v17
	v_subrev_u32_e32 v17, 28, v21
	v_lshlrev_b64 v[16:17], v17, v[16:17]
	v_sub_u32_e32 v17, 29, v21
	v_and_b32_e32 v16, 7, v16
	v_cndmask_b32_e32 v17, v20, v17, vcc
	v_cndmask_b32_e32 v5, v5, v16, vcc
	v_lshlrev_b32_e32 v3, 16, v3
	v_bfrev_b32_e32 v16, 60
	v_lshlrev_b32_e32 v5, 20, v5
	v_and_b32_e32 v3, 0x80000000, v3
	v_lshl_add_u32 v16, v17, 23, v16
	v_or3_b32 v5, v3, v16, v5
.LBB6_6526:                             ;   in Loop: Header=BB6_4406 Depth=4
	s_or_b64 exec, exec, s[34:35]
.LBB6_6527:                             ;   in Loop: Header=BB6_4406 Depth=4
	s_or_b64 exec, exec, s[30:31]
.LBB6_6528:                             ;   in Loop: Header=BB6_4406 Depth=4
	s_or_b64 exec, exec, s[28:29]
	v_lshrrev_b16_e32 v16, 8, v18
	v_cmp_ne_u16_e32 vcc, 0, v16
	s_and_saveexec_b64 s[28:29], vcc
	s_cbranch_execz .LBB6_6534
; %bb.6529:                             ;   in Loop: Header=BB6_4406 Depth=4
	v_cmp_ne_u16_e32 vcc, s96, v16
	v_bfrev_b32_e32 v4, 1
	s_and_saveexec_b64 s[30:31], vcc
	s_cbranch_execz .LBB6_6533
; %bb.6530:                             ;   in Loop: Header=BB6_4406 Depth=4
	v_and_b32_e32 v3, 0x7f, v16
	v_cmp_ne_u32_e32 vcc, s86, v3
	v_mov_b32_e32 v4, 0x7f800001
	s_and_saveexec_b64 s[34:35], vcc
	s_cbranch_execz .LBB6_6532
; %bb.6531:                             ;   in Loop: Header=BB6_4406 Depth=4
	v_and_b32_e32 v17, 7, v16
	v_lshrrev_b32_e32 v20, 3, v3
	v_cmp_gt_u32_e32 vcc, 8, v3
	v_ffbh_u32_e32 v3, v17
	v_min_u32_e32 v21, 32, v3
	v_subrev_u32_e32 v3, 28, v21
	v_lshlrev_b64 v[3:4], v3, v[16:17]
	v_sub_u32_e32 v4, 29, v21
	v_and_b32_e32 v3, 7, v3
	v_cndmask_b32_e32 v4, v20, v4, vcc
	v_cndmask_b32_e32 v3, v17, v3, vcc
	v_lshlrev_b32_e32 v16, 16, v18
	v_bfrev_b32_e32 v17, 60
	v_lshlrev_b32_e32 v3, 20, v3
	v_and_b32_e32 v16, 0x80000000, v16
	v_lshl_add_u32 v4, v4, 23, v17
	v_or3_b32 v4, v16, v4, v3
.LBB6_6532:                             ;   in Loop: Header=BB6_4406 Depth=4
	s_or_b64 exec, exec, s[34:35]
.LBB6_6533:                             ;   in Loop: Header=BB6_4406 Depth=4
	s_or_b64 exec, exec, s[30:31]
.LBB6_6534:                             ;   in Loop: Header=BB6_4406 Depth=4
	s_or_b64 exec, exec, s[28:29]
	v_add_f32_e32 v4, v5, v4
	v_and_b32_e32 v16, 0x7f800000, v4
	v_mov_b32_e32 v17, v51
	v_cmp_ne_u64_e32 vcc, s[76:77], v[16:17]
                                        ; implicit-def: $vgpr33
	s_and_saveexec_b64 s[28:29], vcc
	s_xor_b64 s[30:31], exec, s[28:29]
	s_cbranch_execz .LBB6_6548
; %bb.6535:                             ;   in Loop: Header=BB6_4406 Depth=4
	v_and_b32_e32 v16, 0x7fffffff, v4
	v_mov_b32_e32 v17, v51
	v_cmp_gt_u64_e32 vcc, s[78:79], v[16:17]
	v_and_b32_sdwa v3, v4, s96 dst_sel:DWORD dst_unused:UNUSED_PAD src0_sel:BYTE_3 src1_sel:DWORD
                                        ; implicit-def: $vgpr33
	s_and_saveexec_b64 s[28:29], vcc
	s_xor_b64 s[34:35], exec, s[28:29]
	s_cbranch_execz .LBB6_6545
; %bb.6536:                             ;   in Loop: Header=BB6_4406 Depth=4
	v_mov_b32_e32 v33, 0
	v_cmp_ne_u32_e32 vcc, 0, v4
	s_and_saveexec_b64 s[36:37], vcc
	s_cbranch_execz .LBB6_6544
; %bb.6537:                             ;   in Loop: Header=BB6_4406 Depth=4
	v_bfe_u32 v22, v4, 23, 8
	v_and_b32_e32 v5, 0x7fffff, v4
	v_cmp_gt_u32_e64 s[28:29], s97, v22
	v_sub_u32_e32 v4, 0x79, v22
	v_cmp_eq_u32_e32 vcc, 0, v22
	v_cndmask_b32_e64 v4, 0, v4, s[28:29]
	v_mov_b32_e32 v17, 0x78
	v_or_b32_e32 v16, 0x800000, v5
	v_cndmask_b32_e32 v23, v4, v17, vcc
	v_cndmask_b32_e32 v4, v16, v5, vcc
	v_add_u32_e32 v16, 20, v23
	v_lshlrev_b64 v[16:17], v16, -1
	v_add_u32_e32 v20, 19, v23
	v_lshlrev_b64 v[24:25], v20, 1
	v_mov_b32_e32 v5, v51
	v_bfi_b32 v17, v17, 0, 0
	v_bfi_b32 v16, v16, 0, v4
	v_cmp_eq_u64_e64 s[28:29], v[16:17], v[24:25]
	v_lshrrev_b64 v[16:17], v23, v[4:5]
	v_mov_b32_e32 v4, v16
	v_mov_b32_e32 v5, v17
	s_and_saveexec_b64 s[38:39], s[28:29]
; %bb.6538:                             ;   in Loop: Header=BB6_4406 Depth=4
	v_bfe_u32 v4, v16, 20, 1
	v_add_co_u32_e64 v4, s[28:29], v16, v4
	v_add_co_u32_e64 v4, s[28:29], -1, v4
; %bb.6539:                             ;   in Loop: Header=BB6_4406 Depth=4
	s_or_b64 exec, exec, s[38:39]
	v_add_u32_e32 v5, 0xffffff81, v22
	v_mov_b32_e32 v17, 0xffffff82
	v_cndmask_b32_e32 v5, v5, v17, vcc
	v_lshrrev_b32_e32 v17, 23, v16
	v_add3_u32 v22, v23, v5, v17
	v_add_u32_e32 v5, 6, v22
	v_and_b32_e32 v4, 0xfffff, v4
	v_add_u32_e32 v16, v4, v16
	v_mov_b32_e32 v17, v51
	v_cmp_ne_u32_e32 vcc, 0, v5
                                        ; implicit-def: $vgpr4
	s_and_saveexec_b64 s[28:29], vcc
	s_xor_b64 s[28:29], exec, s[28:29]
; %bb.6540:                             ;   in Loop: Header=BB6_4406 Depth=4
	v_cmp_lt_u64_e32 vcc, s[88:89], v[16:17]
	v_add_u32_e32 v4, 7, v22
	v_cndmask_b32_e32 v4, v5, v4, vcc
	v_cndmask_b32_e64 v5, 0, 1, vcc
	v_lshrrev_b64 v[16:17], v5, v[16:17]
; %bb.6541:                             ;   in Loop: Header=BB6_4406 Depth=4
	s_andn2_saveexec_b64 s[28:29], s[28:29]
; %bb.6542:                             ;   in Loop: Header=BB6_4406 Depth=4
	v_bfe_u32 v4, v16, 23, 1
; %bb.6543:                             ;   in Loop: Header=BB6_4406 Depth=4
	s_or_b64 exec, exec, s[28:29]
	v_lshrrev_b64 v[16:17], 20, v[16:17]
	v_cmp_gt_i32_e32 vcc, 16, v4
	v_cndmask_b32_e32 v17, 0, v17, vcc
	v_cndmask_b32_e32 v16, 7, v16, vcc
	v_cmp_eq_u32_e32 vcc, 0, v4
	v_min_i32_e32 v4, 15, v4
	v_cmp_eq_u64_e64 s[28:29], 0, v[16:17]
	v_lshlrev_b32_e32 v4, 3, v4
	v_and_b32_e32 v4, 0xf8, v4
	v_and_or_b32 v4, v16, 7, v4
	s_and_b64 s[28:29], vcc, s[28:29]
	v_cndmask_b32_e64 v4, v4, 0, s[28:29]
	v_or_b32_e32 v33, v4, v3
.LBB6_6544:                             ;   in Loop: Header=BB6_4406 Depth=4
	s_or_b64 exec, exec, s[36:37]
                                        ; implicit-def: $vgpr3
.LBB6_6545:                             ;   in Loop: Header=BB6_4406 Depth=4
	s_andn2_saveexec_b64 s[28:29], s[34:35]
; %bb.6546:                             ;   in Loop: Header=BB6_4406 Depth=4
	v_or_b32_e32 v33, 0x7e, v3
; %bb.6547:                             ;   in Loop: Header=BB6_4406 Depth=4
	s_or_b64 exec, exec, s[28:29]
                                        ; implicit-def: $vgpr4
.LBB6_6548:                             ;   in Loop: Header=BB6_4406 Depth=4
	s_andn2_saveexec_b64 s[28:29], s[30:31]
; %bb.6549:                             ;   in Loop: Header=BB6_4406 Depth=4
	v_or_b32_sdwa v33, v4, s86 dst_sel:DWORD dst_unused:UNUSED_PAD src0_sel:BYTE_3 src1_sel:DWORD
; %bb.6550:                             ;   in Loop: Header=BB6_4406 Depth=4
	s_or_b64 exec, exec, s[28:29]
	v_lshrrev_b32_e32 v16, 16, v50
	v_cmp_ne_u16_sdwa vcc, v16, v51 src0_sel:BYTE_0 src1_sel:DWORD
	v_mov_b32_e32 v3, 0
	v_mov_b32_e32 v4, 0
	s_and_saveexec_b64 s[28:29], vcc
	s_cbranch_execz .LBB6_6556
; %bb.6551:                             ;   in Loop: Header=BB6_4406 Depth=4
	v_cmp_ne_u16_sdwa vcc, v16, s96 src0_sel:BYTE_0 src1_sel:DWORD
	v_bfrev_b32_e32 v4, 1
	s_and_saveexec_b64 s[30:31], vcc
	s_cbranch_execz .LBB6_6555
; %bb.6552:                             ;   in Loop: Header=BB6_4406 Depth=4
	v_bfe_u32 v5, v50, 16, 7
	v_cmp_ne_u32_e32 vcc, s86, v5
	v_mov_b32_e32 v4, 0x7f800001
	s_and_saveexec_b64 s[34:35], vcc
	s_cbranch_execz .LBB6_6554
; %bb.6553:                             ;   in Loop: Header=BB6_4406 Depth=4
	v_and_b32_e32 v17, 7, v16
	v_ffbh_u32_e32 v4, v17
	v_min_u32_e32 v21, 32, v4
	v_subrev_u32_e32 v4, 28, v21
	v_lshrrev_b32_e32 v20, 3, v5
	v_cmp_gt_u32_e32 vcc, 8, v5
	v_lshlrev_b64 v[4:5], v4, v[16:17]
	v_sub_u32_e32 v5, 29, v21
	v_and_b32_e32 v4, 7, v4
	v_cndmask_b32_e32 v5, v20, v5, vcc
	v_cndmask_b32_e32 v4, v17, v4, vcc
	v_lshlrev_b32_e32 v16, 24, v16
	v_bfrev_b32_e32 v17, 60
	v_lshlrev_b32_e32 v4, 20, v4
	v_and_b32_e32 v16, 0x80000000, v16
	v_lshl_add_u32 v5, v5, 23, v17
	v_or3_b32 v4, v16, v5, v4
.LBB6_6554:                             ;   in Loop: Header=BB6_4406 Depth=4
	s_or_b64 exec, exec, s[34:35]
.LBB6_6555:                             ;   in Loop: Header=BB6_4406 Depth=4
	s_or_b64 exec, exec, s[30:31]
.LBB6_6556:                             ;   in Loop: Header=BB6_4406 Depth=4
	s_or_b64 exec, exec, s[28:29]
	v_lshrrev_b32_e32 v16, 16, v18
	v_cmp_ne_u16_sdwa vcc, v16, v51 src0_sel:BYTE_0 src1_sel:DWORD
	s_and_saveexec_b64 s[28:29], vcc
	s_cbranch_execz .LBB6_6562
; %bb.6557:                             ;   in Loop: Header=BB6_4406 Depth=4
	v_cmp_ne_u16_sdwa vcc, v16, s96 src0_sel:BYTE_0 src1_sel:DWORD
	v_bfrev_b32_e32 v3, 1
	s_and_saveexec_b64 s[30:31], vcc
	s_cbranch_execz .LBB6_6561
; %bb.6558:                             ;   in Loop: Header=BB6_4406 Depth=4
	v_bfe_u32 v5, v18, 16, 7
	v_cmp_ne_u32_e32 vcc, s86, v5
	v_mov_b32_e32 v3, 0x7f800001
	s_and_saveexec_b64 s[34:35], vcc
	s_cbranch_execz .LBB6_6560
; %bb.6559:                             ;   in Loop: Header=BB6_4406 Depth=4
	v_and_b32_e32 v3, 7, v16
	v_lshrrev_b32_e32 v20, 3, v5
	v_cmp_gt_u32_e32 vcc, 8, v5
	v_ffbh_u32_e32 v5, v3
	v_min_u32_e32 v5, 32, v5
	v_subrev_u32_e32 v17, 28, v5
	v_lshlrev_b64 v[16:17], v17, v[16:17]
	v_sub_u32_e32 v5, 29, v5
	v_and_b32_e32 v16, 7, v16
	v_cndmask_b32_e32 v5, v20, v5, vcc
	v_cndmask_b32_e32 v3, v3, v16, vcc
	v_lshlrev_b32_e32 v16, 8, v18
	v_bfrev_b32_e32 v17, 60
	v_lshlrev_b32_e32 v3, 20, v3
	v_and_b32_e32 v16, 0x80000000, v16
	v_lshl_add_u32 v5, v5, 23, v17
	v_or3_b32 v3, v16, v5, v3
.LBB6_6560:                             ;   in Loop: Header=BB6_4406 Depth=4
	s_or_b64 exec, exec, s[34:35]
.LBB6_6561:                             ;   in Loop: Header=BB6_4406 Depth=4
	s_or_b64 exec, exec, s[30:31]
.LBB6_6562:                             ;   in Loop: Header=BB6_4406 Depth=4
	s_or_b64 exec, exec, s[28:29]
	v_add_f32_e32 v4, v4, v3
	v_and_b32_e32 v16, 0x7f800000, v4
	v_mov_b32_e32 v17, v51
	v_cmp_ne_u64_e32 vcc, s[76:77], v[16:17]
                                        ; implicit-def: $vgpr36
	s_and_saveexec_b64 s[28:29], vcc
	s_xor_b64 s[30:31], exec, s[28:29]
	s_cbranch_execz .LBB6_6576
; %bb.6563:                             ;   in Loop: Header=BB6_4406 Depth=4
	v_and_b32_e32 v16, 0x7fffffff, v4
	v_mov_b32_e32 v17, v51
	v_cmp_gt_u64_e32 vcc, s[78:79], v[16:17]
	v_and_b32_sdwa v3, v4, s96 dst_sel:DWORD dst_unused:UNUSED_PAD src0_sel:BYTE_3 src1_sel:DWORD
                                        ; implicit-def: $vgpr36
	s_and_saveexec_b64 s[28:29], vcc
	s_xor_b64 s[34:35], exec, s[28:29]
	s_cbranch_execz .LBB6_6573
; %bb.6564:                             ;   in Loop: Header=BB6_4406 Depth=4
	v_mov_b32_e32 v36, 0
	v_cmp_ne_u32_e32 vcc, 0, v4
	s_and_saveexec_b64 s[36:37], vcc
	s_cbranch_execz .LBB6_6572
; %bb.6565:                             ;   in Loop: Header=BB6_4406 Depth=4
	v_bfe_u32 v22, v4, 23, 8
	v_and_b32_e32 v5, 0x7fffff, v4
	v_cmp_gt_u32_e64 s[28:29], s97, v22
	v_sub_u32_e32 v4, 0x79, v22
	v_cmp_eq_u32_e32 vcc, 0, v22
	v_cndmask_b32_e64 v4, 0, v4, s[28:29]
	v_mov_b32_e32 v17, 0x78
	v_or_b32_e32 v16, 0x800000, v5
	v_cndmask_b32_e32 v23, v4, v17, vcc
	v_cndmask_b32_e32 v4, v16, v5, vcc
	v_add_u32_e32 v16, 20, v23
	v_lshlrev_b64 v[16:17], v16, -1
	v_add_u32_e32 v20, 19, v23
	v_lshlrev_b64 v[24:25], v20, 1
	v_mov_b32_e32 v5, v51
	v_bfi_b32 v17, v17, 0, 0
	v_bfi_b32 v16, v16, 0, v4
	v_cmp_eq_u64_e64 s[28:29], v[16:17], v[24:25]
	v_lshrrev_b64 v[16:17], v23, v[4:5]
	v_mov_b32_e32 v4, v16
	v_mov_b32_e32 v5, v17
	s_and_saveexec_b64 s[38:39], s[28:29]
; %bb.6566:                             ;   in Loop: Header=BB6_4406 Depth=4
	v_bfe_u32 v4, v16, 20, 1
	v_add_co_u32_e64 v4, s[28:29], v16, v4
	v_add_co_u32_e64 v4, s[28:29], -1, v4
; %bb.6567:                             ;   in Loop: Header=BB6_4406 Depth=4
	s_or_b64 exec, exec, s[38:39]
	v_add_u32_e32 v5, 0xffffff81, v22
	v_mov_b32_e32 v17, 0xffffff82
	v_cndmask_b32_e32 v5, v5, v17, vcc
	v_lshrrev_b32_e32 v17, 23, v16
	v_add3_u32 v22, v23, v5, v17
	v_add_u32_e32 v5, 6, v22
	v_and_b32_e32 v4, 0xfffff, v4
	v_add_u32_e32 v16, v4, v16
	v_mov_b32_e32 v17, v51
	v_cmp_ne_u32_e32 vcc, 0, v5
                                        ; implicit-def: $vgpr4
	s_and_saveexec_b64 s[28:29], vcc
	s_xor_b64 s[28:29], exec, s[28:29]
; %bb.6568:                             ;   in Loop: Header=BB6_4406 Depth=4
	v_cmp_lt_u64_e32 vcc, s[88:89], v[16:17]
	v_add_u32_e32 v4, 7, v22
	v_cndmask_b32_e32 v4, v5, v4, vcc
	v_cndmask_b32_e64 v5, 0, 1, vcc
	v_lshrrev_b64 v[16:17], v5, v[16:17]
; %bb.6569:                             ;   in Loop: Header=BB6_4406 Depth=4
	s_andn2_saveexec_b64 s[28:29], s[28:29]
; %bb.6570:                             ;   in Loop: Header=BB6_4406 Depth=4
	v_bfe_u32 v4, v16, 23, 1
; %bb.6571:                             ;   in Loop: Header=BB6_4406 Depth=4
	s_or_b64 exec, exec, s[28:29]
	v_lshrrev_b64 v[16:17], 20, v[16:17]
	v_cmp_gt_i32_e32 vcc, 16, v4
	v_cndmask_b32_e32 v17, 0, v17, vcc
	v_cndmask_b32_e32 v16, 7, v16, vcc
	v_cmp_eq_u32_e32 vcc, 0, v4
	v_min_i32_e32 v4, 15, v4
	v_cmp_eq_u64_e64 s[28:29], 0, v[16:17]
	v_lshlrev_b32_e32 v4, 3, v4
	v_and_b32_e32 v4, 0xf8, v4
	v_and_or_b32 v4, v16, 7, v4
	s_and_b64 s[28:29], vcc, s[28:29]
	v_cndmask_b32_e64 v4, v4, 0, s[28:29]
	v_or_b32_e32 v36, v4, v3
.LBB6_6572:                             ;   in Loop: Header=BB6_4406 Depth=4
	s_or_b64 exec, exec, s[36:37]
                                        ; implicit-def: $vgpr3
.LBB6_6573:                             ;   in Loop: Header=BB6_4406 Depth=4
	s_andn2_saveexec_b64 s[28:29], s[34:35]
; %bb.6574:                             ;   in Loop: Header=BB6_4406 Depth=4
	v_or_b32_e32 v36, 0x7e, v3
; %bb.6575:                             ;   in Loop: Header=BB6_4406 Depth=4
	s_or_b64 exec, exec, s[28:29]
                                        ; implicit-def: $vgpr4
.LBB6_6576:                             ;   in Loop: Header=BB6_4406 Depth=4
	s_andn2_saveexec_b64 s[28:29], s[30:31]
; %bb.6577:                             ;   in Loop: Header=BB6_4406 Depth=4
	v_or_b32_sdwa v36, v4, s86 dst_sel:DWORD dst_unused:UNUSED_PAD src0_sel:BYTE_3 src1_sel:DWORD
; %bb.6578:                             ;   in Loop: Header=BB6_4406 Depth=4
	s_or_b64 exec, exec, s[28:29]
	v_cmp_lt_u32_e32 vcc, s57, v50
	v_mov_b32_e32 v3, 0
	v_mov_b32_e32 v4, 0
	s_and_saveexec_b64 s[28:29], vcc
	s_cbranch_execz .LBB6_6584
; %bb.6579:                             ;   in Loop: Header=BB6_4406 Depth=4
	v_lshrrev_b32_e32 v16, 24, v50
	v_cmp_ne_u32_sdwa vcc, v50, s96 src0_sel:BYTE_3 src1_sel:DWORD
	v_bfrev_b32_e32 v4, 1
	s_and_saveexec_b64 s[30:31], vcc
	s_cbranch_execz .LBB6_6583
; %bb.6580:                             ;   in Loop: Header=BB6_4406 Depth=4
	v_bfe_u32 v5, v50, 24, 7
	v_cmp_ne_u32_e32 vcc, s86, v5
	v_mov_b32_e32 v4, 0x7f800001
	s_and_saveexec_b64 s[34:35], vcc
	s_cbranch_execz .LBB6_6582
; %bb.6581:                             ;   in Loop: Header=BB6_4406 Depth=4
	v_and_b32_e32 v17, 7, v16
	v_ffbh_u32_e32 v4, v17
	v_min_u32_e32 v21, 32, v4
	v_subrev_u32_e32 v4, 28, v21
	v_lshrrev_b32_e32 v20, 3, v5
	v_cmp_gt_u32_e32 vcc, 8, v5
	v_lshlrev_b64 v[4:5], v4, v[16:17]
	v_sub_u32_e32 v5, 29, v21
	v_and_b32_e32 v4, 7, v4
	v_mov_b32_e32 v16, 24
	v_cndmask_b32_e32 v5, v20, v5, vcc
	v_cndmask_b32_e32 v4, v17, v4, vcc
	v_lshlrev_b32_sdwa v16, v16, v50 dst_sel:DWORD dst_unused:UNUSED_PAD src0_sel:DWORD src1_sel:BYTE_3
	v_bfrev_b32_e32 v17, 60
	v_lshlrev_b32_e32 v4, 20, v4
	v_and_b32_e32 v16, 0x80000000, v16
	v_lshl_add_u32 v5, v5, 23, v17
	v_or3_b32 v4, v16, v5, v4
.LBB6_6582:                             ;   in Loop: Header=BB6_4406 Depth=4
	s_or_b64 exec, exec, s[34:35]
.LBB6_6583:                             ;   in Loop: Header=BB6_4406 Depth=4
	s_or_b64 exec, exec, s[30:31]
.LBB6_6584:                             ;   in Loop: Header=BB6_4406 Depth=4
	s_or_b64 exec, exec, s[28:29]
	v_cmp_lt_u32_e32 vcc, s57, v18
	s_and_saveexec_b64 s[28:29], vcc
	s_cbranch_execz .LBB6_6590
; %bb.6585:                             ;   in Loop: Header=BB6_4406 Depth=4
	v_lshrrev_b32_e32 v16, 24, v18
	v_cmp_ne_u32_e32 vcc, s96, v16
	v_bfrev_b32_e32 v3, 1
	s_and_saveexec_b64 s[30:31], vcc
	s_cbranch_execz .LBB6_6589
; %bb.6586:                             ;   in Loop: Header=BB6_4406 Depth=4
	v_bfe_u32 v5, v18, 24, 7
	v_cmp_ne_u32_e32 vcc, s86, v5
	v_mov_b32_e32 v3, 0x7f800001
	s_and_saveexec_b64 s[34:35], vcc
	s_cbranch_execz .LBB6_6588
; %bb.6587:                             ;   in Loop: Header=BB6_4406 Depth=4
	v_and_b32_e32 v3, 7, v16
	v_lshrrev_b32_e32 v17, 3, v5
	v_cmp_gt_u32_e32 vcc, 8, v5
	v_ffbh_u32_e32 v5, v3
	v_min_u32_e32 v5, 32, v5
	v_subrev_u32_e32 v20, 28, v5
	v_lshlrev_b64 v[22:23], v20, v[16:17]
	v_sub_u32_e32 v5, 29, v5
	v_and_b32_e32 v20, 7, v22
	v_cndmask_b32_e32 v5, v17, v5, vcc
	v_cndmask_b32_e32 v3, v3, v20, vcc
	v_lshlrev_b32_e32 v16, 24, v16
	v_bfrev_b32_e32 v17, 60
	v_lshlrev_b32_e32 v3, 20, v3
	v_and_b32_e32 v16, 0x80000000, v16
	v_lshl_add_u32 v5, v5, 23, v17
	v_or3_b32 v3, v16, v5, v3
.LBB6_6588:                             ;   in Loop: Header=BB6_4406 Depth=4
	s_or_b64 exec, exec, s[34:35]
.LBB6_6589:                             ;   in Loop: Header=BB6_4406 Depth=4
	s_or_b64 exec, exec, s[30:31]
.LBB6_6590:                             ;   in Loop: Header=BB6_4406 Depth=4
	s_or_b64 exec, exec, s[28:29]
	v_add_f32_e32 v4, v4, v3
	v_and_b32_e32 v50, 0x7f800000, v4
	v_cmp_ne_u64_e32 vcc, s[76:77], v[50:51]
                                        ; implicit-def: $vgpr53
	s_and_saveexec_b64 s[28:29], vcc
	s_xor_b64 s[30:31], exec, s[28:29]
	s_cbranch_execz .LBB6_6604
; %bb.6591:                             ;   in Loop: Header=BB6_4406 Depth=4
	v_and_b32_e32 v50, 0x7fffffff, v4
	v_cmp_gt_u64_e32 vcc, s[78:79], v[50:51]
	v_and_b32_sdwa v3, v4, s96 dst_sel:DWORD dst_unused:UNUSED_PAD src0_sel:BYTE_3 src1_sel:DWORD
                                        ; implicit-def: $vgpr53
	s_and_saveexec_b64 s[28:29], vcc
	s_xor_b64 s[34:35], exec, s[28:29]
	s_cbranch_execz .LBB6_6601
; %bb.6592:                             ;   in Loop: Header=BB6_4406 Depth=4
	v_mov_b32_e32 v53, 0
	v_cmp_ne_u32_e32 vcc, 0, v4
	s_and_saveexec_b64 s[36:37], vcc
	s_cbranch_execz .LBB6_6600
; %bb.6593:                             ;   in Loop: Header=BB6_4406 Depth=4
	v_bfe_u32 v22, v4, 23, 8
	v_and_b32_e32 v5, 0x7fffff, v4
	v_cmp_gt_u32_e64 s[28:29], s97, v22
	v_sub_u32_e32 v4, 0x79, v22
	v_cmp_eq_u32_e32 vcc, 0, v22
	v_cndmask_b32_e64 v4, 0, v4, s[28:29]
	v_mov_b32_e32 v17, 0x78
	v_cndmask_b32_e32 v23, v4, v17, vcc
	v_or_b32_e32 v16, 0x800000, v5
	v_add_u32_e32 v4, 20, v23
	v_cndmask_b32_e32 v50, v16, v5, vcc
	v_lshlrev_b64 v[4:5], v4, -1
	v_add_u32_e32 v16, 19, v23
	v_lshlrev_b64 v[16:17], v16, 1
	v_bfi_b32 v5, v5, 0, 0
	v_bfi_b32 v4, v4, 0, v50
	v_cmp_eq_u64_e64 s[28:29], v[4:5], v[16:17]
	v_lshrrev_b64 v[16:17], v23, v[50:51]
	v_mov_b32_e32 v4, v16
	v_mov_b32_e32 v5, v17
	s_and_saveexec_b64 s[38:39], s[28:29]
; %bb.6594:                             ;   in Loop: Header=BB6_4406 Depth=4
	v_bfe_u32 v4, v16, 20, 1
	v_add_co_u32_e64 v4, s[28:29], v16, v4
	v_add_co_u32_e64 v4, s[28:29], -1, v4
; %bb.6595:                             ;   in Loop: Header=BB6_4406 Depth=4
	s_or_b64 exec, exec, s[38:39]
	v_add_u32_e32 v5, 0xffffff81, v22
	v_mov_b32_e32 v17, 0xffffff82
	v_cndmask_b32_e32 v5, v5, v17, vcc
	v_lshrrev_b32_e32 v17, 23, v16
	v_add3_u32 v22, v23, v5, v17
	v_add_u32_e32 v5, 6, v22
	v_and_b32_e32 v4, 0xfffff, v4
	v_add_u32_e32 v50, v4, v16
	v_cmp_ne_u32_e32 vcc, 0, v5
                                        ; implicit-def: $vgpr16_vgpr17
                                        ; implicit-def: $vgpr4
	s_and_saveexec_b64 s[28:29], vcc
	s_xor_b64 s[28:29], exec, s[28:29]
; %bb.6596:                             ;   in Loop: Header=BB6_4406 Depth=4
	v_cmp_lt_u64_e32 vcc, s[88:89], v[50:51]
	v_add_u32_e32 v4, 7, v22
	v_cndmask_b32_e32 v4, v5, v4, vcc
	v_cndmask_b32_e64 v5, 0, 1, vcc
	v_lshrrev_b64 v[16:17], v5, v[50:51]
; %bb.6597:                             ;   in Loop: Header=BB6_4406 Depth=4
	s_andn2_saveexec_b64 s[28:29], s[28:29]
; %bb.6598:                             ;   in Loop: Header=BB6_4406 Depth=4
	v_mov_b32_e32 v16, v50
	v_bfe_u32 v4, v50, 23, 1
	v_mov_b32_e32 v17, v51
; %bb.6599:                             ;   in Loop: Header=BB6_4406 Depth=4
	s_or_b64 exec, exec, s[28:29]
	v_lshrrev_b64 v[16:17], 20, v[16:17]
	v_cmp_gt_i32_e32 vcc, 16, v4
	v_cndmask_b32_e32 v17, 0, v17, vcc
	v_cndmask_b32_e32 v16, 7, v16, vcc
	v_cmp_eq_u32_e32 vcc, 0, v4
	v_min_i32_e32 v4, 15, v4
	v_cmp_eq_u64_e64 s[28:29], 0, v[16:17]
	v_lshlrev_b32_e32 v4, 3, v4
	v_and_b32_e32 v4, 0xf8, v4
	v_and_or_b32 v4, v16, 7, v4
	s_and_b64 s[28:29], vcc, s[28:29]
	v_cndmask_b32_e64 v4, v4, 0, s[28:29]
	v_or_b32_e32 v53, v4, v3
.LBB6_6600:                             ;   in Loop: Header=BB6_4406 Depth=4
	s_or_b64 exec, exec, s[36:37]
                                        ; implicit-def: $vgpr3
.LBB6_6601:                             ;   in Loop: Header=BB6_4406 Depth=4
	s_andn2_saveexec_b64 s[28:29], s[34:35]
; %bb.6602:                             ;   in Loop: Header=BB6_4406 Depth=4
	v_or_b32_e32 v53, 0x7e, v3
; %bb.6603:                             ;   in Loop: Header=BB6_4406 Depth=4
	s_or_b64 exec, exec, s[28:29]
                                        ; implicit-def: $vgpr4
.LBB6_6604:                             ;   in Loop: Header=BB6_4406 Depth=4
	s_andn2_saveexec_b64 s[28:29], s[30:31]
; %bb.6605:                             ;   in Loop: Header=BB6_4406 Depth=4
	v_or_b32_sdwa v53, v4, s86 dst_sel:DWORD dst_unused:UNUSED_PAD src0_sel:BYTE_3 src1_sel:DWORD
; %bb.6606:                             ;   in Loop: Header=BB6_4406 Depth=4
	s_or_b64 exec, exec, s[28:29]
	buffer_load_dword v3, off, s[0:3], s33 offset:240 ; 4-byte Folded Reload
	v_cmp_ne_u32_e32 vcc, 0, v1
	s_waitcnt vmcnt(0)
	v_lshlrev_b32_e32 v4, 24, v3
	buffer_load_dword v3, off, s[0:3], s33 offset:220 ; 4-byte Folded Reload
	s_waitcnt vmcnt(0)
	v_lshlrev_b32_e32 v5, 16, v3
	v_lshl_or_b32 v3, v42, 8, v1
	v_or3_b32 v50, v5, v4, v3
	v_mov_b32_e32 v5, 0
	v_mov_b32_e32 v4, 0
	s_and_saveexec_b64 s[28:29], vcc
	s_cbranch_execz .LBB6_6612
; %bb.6607:                             ;   in Loop: Header=BB6_4406 Depth=4
	v_cmp_ne_u32_e32 vcc, s96, v1
	v_bfrev_b32_e32 v4, 1
	s_and_saveexec_b64 s[30:31], vcc
	s_cbranch_execz .LBB6_6611
; %bb.6608:                             ;   in Loop: Header=BB6_4406 Depth=4
	v_and_b32_e32 v16, 0x7f, v1
	v_cmp_ne_u32_e32 vcc, s86, v16
	v_mov_b32_e32 v4, 0x7f800001
	s_and_saveexec_b64 s[34:35], vcc
	s_cbranch_execz .LBB6_6610
; %bb.6609:                             ;   in Loop: Header=BB6_4406 Depth=4
	v_and_b32_e32 v1, 7, v1
	v_ffbh_u32_e32 v1, v1
	v_min_u32_e32 v1, 32, v1
	v_lshrrev_b32_e32 v4, 3, v16
	v_cmp_gt_u32_e32 vcc, 8, v16
	v_subrev_u32_e32 v16, 28, v1
	v_sub_u32_e32 v1, 29, v1
	v_cndmask_b32_e32 v1, v4, v1, vcc
	v_cndmask_b32_e32 v4, 0, v16, vcc
	v_lshlrev_b64 v[16:17], v4, v[50:51]
	v_bfrev_b32_e32 v17, 60
	v_lshlrev_b32_e32 v4, 20, v16
	v_lshlrev_b32_e32 v16, 24, v50
	v_and_b32_e32 v4, 0x700000, v4
	v_and_b32_e32 v16, 0x80000000, v16
	v_lshl_add_u32 v1, v1, 23, v17
	v_or3_b32 v4, v16, v1, v4
.LBB6_6610:                             ;   in Loop: Header=BB6_4406 Depth=4
	s_or_b64 exec, exec, s[34:35]
.LBB6_6611:                             ;   in Loop: Header=BB6_4406 Depth=4
	s_or_b64 exec, exec, s[30:31]
.LBB6_6612:                             ;   in Loop: Header=BB6_4406 Depth=4
	s_or_b64 exec, exec, s[28:29]
	v_cmp_ne_u16_sdwa vcc, v19, v51 src0_sel:BYTE_0 src1_sel:DWORD
	s_and_saveexec_b64 s[28:29], vcc
	s_cbranch_execz .LBB6_6618
; %bb.6613:                             ;   in Loop: Header=BB6_4406 Depth=4
	v_cmp_ne_u16_sdwa vcc, v19, s96 src0_sel:BYTE_0 src1_sel:DWORD
	v_bfrev_b32_e32 v5, 1
	s_and_saveexec_b64 s[30:31], vcc
	s_cbranch_execz .LBB6_6617
; %bb.6614:                             ;   in Loop: Header=BB6_4406 Depth=4
	v_and_b32_e32 v1, 0x7f, v19
	v_cmp_ne_u32_e32 vcc, s86, v1
	v_mov_b32_e32 v5, 0x7f800001
	s_and_saveexec_b64 s[34:35], vcc
	s_cbranch_execz .LBB6_6616
; %bb.6615:                             ;   in Loop: Header=BB6_4406 Depth=4
	v_and_b32_e32 v5, 7, v19
	v_lshrrev_b32_e32 v20, 3, v1
	v_cmp_gt_u32_e32 vcc, 8, v1
	v_ffbh_u32_e32 v1, v5
	v_min_u32_e32 v1, 32, v1
	v_subrev_u32_e32 v5, 28, v1
	v_mov_b32_e32 v16, v19
	v_mov_b32_e32 v17, v51
	v_cndmask_b32_e32 v5, 0, v5, vcc
	v_lshlrev_b64 v[22:23], v5, v[16:17]
	v_sub_u32_e32 v1, 29, v1
	v_cndmask_b32_e32 v1, v20, v1, vcc
	v_lshlrev_b32_e32 v5, 20, v22
	v_lshlrev_b32_e32 v16, 24, v16
	v_bfrev_b32_e32 v17, 60
	v_and_b32_e32 v5, 0x700000, v5
	v_and_b32_e32 v16, 0x80000000, v16
	v_lshl_add_u32 v1, v1, 23, v17
	v_or3_b32 v5, v16, v1, v5
.LBB6_6616:                             ;   in Loop: Header=BB6_4406 Depth=4
	s_or_b64 exec, exec, s[34:35]
.LBB6_6617:                             ;   in Loop: Header=BB6_4406 Depth=4
	s_or_b64 exec, exec, s[30:31]
.LBB6_6618:                             ;   in Loop: Header=BB6_4406 Depth=4
	s_or_b64 exec, exec, s[28:29]
	v_add_f32_e32 v4, v4, v5
	v_and_b32_e32 v16, 0x7f800000, v4
	v_mov_b32_e32 v17, v51
	v_cmp_ne_u64_e32 vcc, s[76:77], v[16:17]
                                        ; implicit-def: $vgpr1
	s_and_saveexec_b64 s[28:29], vcc
	s_xor_b64 s[30:31], exec, s[28:29]
	s_cbranch_execz .LBB6_6632
; %bb.6619:                             ;   in Loop: Header=BB6_4406 Depth=4
	v_and_b32_e32 v16, 0x7fffffff, v4
	v_mov_b32_e32 v17, v51
	v_cmp_gt_u64_e32 vcc, s[78:79], v[16:17]
	v_and_b32_sdwa v22, v4, s96 dst_sel:DWORD dst_unused:UNUSED_PAD src0_sel:BYTE_3 src1_sel:DWORD
                                        ; implicit-def: $vgpr1
	s_and_saveexec_b64 s[28:29], vcc
	s_xor_b64 s[34:35], exec, s[28:29]
	s_cbranch_execz .LBB6_6629
; %bb.6620:                             ;   in Loop: Header=BB6_4406 Depth=4
	v_mov_b32_e32 v1, 0
	v_cmp_ne_u32_e32 vcc, 0, v4
	s_and_saveexec_b64 s[36:37], vcc
	s_cbranch_execz .LBB6_6628
; %bb.6621:                             ;   in Loop: Header=BB6_4406 Depth=4
	v_bfe_u32 v1, v4, 23, 8
	v_and_b32_e32 v5, 0x7fffff, v4
	v_cmp_gt_u32_e64 s[28:29], s97, v1
	v_sub_u32_e32 v4, 0x79, v1
	v_cmp_eq_u32_e32 vcc, 0, v1
	v_cndmask_b32_e64 v4, 0, v4, s[28:29]
	v_mov_b32_e32 v17, 0x78
	v_or_b32_e32 v16, 0x800000, v5
	v_cndmask_b32_e32 v23, v4, v17, vcc
	v_cndmask_b32_e32 v4, v16, v5, vcc
	v_add_u32_e32 v16, 20, v23
	v_lshlrev_b64 v[16:17], v16, -1
	v_add_u32_e32 v20, 19, v23
	v_lshlrev_b64 v[24:25], v20, 1
	v_mov_b32_e32 v5, v51
	v_bfi_b32 v17, v17, 0, 0
	v_bfi_b32 v16, v16, 0, v4
	v_cmp_eq_u64_e64 s[28:29], v[16:17], v[24:25]
	v_lshrrev_b64 v[16:17], v23, v[4:5]
	v_mov_b32_e32 v4, v16
	v_mov_b32_e32 v5, v17
	s_and_saveexec_b64 s[38:39], s[28:29]
; %bb.6622:                             ;   in Loop: Header=BB6_4406 Depth=4
	v_bfe_u32 v4, v16, 20, 1
	v_add_co_u32_e64 v4, s[28:29], v16, v4
	v_add_co_u32_e64 v4, s[28:29], -1, v4
; %bb.6623:                             ;   in Loop: Header=BB6_4406 Depth=4
	s_or_b64 exec, exec, s[38:39]
	v_add_u32_e32 v1, 0xffffff81, v1
	v_mov_b32_e32 v5, 0xffffff82
	v_cndmask_b32_e32 v1, v1, v5, vcc
	v_lshrrev_b32_e32 v5, 23, v16
	v_add3_u32 v23, v23, v1, v5
	v_add_u32_e32 v5, 6, v23
	v_and_b32_e32 v1, 0xfffff, v4
	v_add_u32_e32 v16, v1, v16
	v_mov_b32_e32 v17, v51
	v_cmp_ne_u32_e32 vcc, 0, v5
                                        ; implicit-def: $vgpr1
	s_and_saveexec_b64 s[28:29], vcc
	s_xor_b64 s[28:29], exec, s[28:29]
; %bb.6624:                             ;   in Loop: Header=BB6_4406 Depth=4
	v_cmp_lt_u64_e32 vcc, s[88:89], v[16:17]
	v_add_u32_e32 v1, 7, v23
	v_cndmask_b32_e64 v4, 0, 1, vcc
	v_lshrrev_b64 v[16:17], v4, v[16:17]
	v_cndmask_b32_e32 v1, v5, v1, vcc
; %bb.6625:                             ;   in Loop: Header=BB6_4406 Depth=4
	s_andn2_saveexec_b64 s[28:29], s[28:29]
; %bb.6626:                             ;   in Loop: Header=BB6_4406 Depth=4
	v_bfe_u32 v1, v16, 23, 1
; %bb.6627:                             ;   in Loop: Header=BB6_4406 Depth=4
	s_or_b64 exec, exec, s[28:29]
	v_lshrrev_b64 v[4:5], 20, v[16:17]
	v_cmp_gt_i32_e32 vcc, 16, v1
	v_cndmask_b32_e32 v5, 0, v5, vcc
	v_cndmask_b32_e32 v4, 7, v4, vcc
	v_cmp_eq_u32_e32 vcc, 0, v1
	v_min_i32_e32 v1, 15, v1
	v_cmp_eq_u64_e64 s[28:29], 0, v[4:5]
	v_lshlrev_b32_e32 v1, 3, v1
	v_and_b32_e32 v1, 0xf8, v1
	v_and_or_b32 v1, v4, 7, v1
	s_and_b64 s[28:29], vcc, s[28:29]
	v_cndmask_b32_e64 v1, v1, 0, s[28:29]
	v_or_b32_e32 v1, v1, v22
.LBB6_6628:                             ;   in Loop: Header=BB6_4406 Depth=4
	s_or_b64 exec, exec, s[36:37]
                                        ; implicit-def: $vgpr22
.LBB6_6629:                             ;   in Loop: Header=BB6_4406 Depth=4
	s_andn2_saveexec_b64 s[28:29], s[34:35]
; %bb.6630:                             ;   in Loop: Header=BB6_4406 Depth=4
	v_or_b32_e32 v1, 0x7e, v22
; %bb.6631:                             ;   in Loop: Header=BB6_4406 Depth=4
	s_or_b64 exec, exec, s[28:29]
                                        ; implicit-def: $vgpr4
.LBB6_6632:                             ;   in Loop: Header=BB6_4406 Depth=4
	s_andn2_saveexec_b64 s[28:29], s[30:31]
; %bb.6633:                             ;   in Loop: Header=BB6_4406 Depth=4
	v_or_b32_sdwa v1, v4, s86 dst_sel:DWORD dst_unused:UNUSED_PAD src0_sel:BYTE_3 src1_sel:DWORD
; %bb.6634:                             ;   in Loop: Header=BB6_4406 Depth=4
	s_or_b64 exec, exec, s[28:29]
	v_lshrrev_b16_e32 v16, 8, v3
	v_cmp_ne_u16_e32 vcc, 0, v16
	v_mov_b32_e32 v4, 0
	v_mov_b32_e32 v5, 0
	s_and_saveexec_b64 s[28:29], vcc
	s_cbranch_execz .LBB6_6640
; %bb.6635:                             ;   in Loop: Header=BB6_4406 Depth=4
	v_cmp_ne_u16_e32 vcc, s96, v16
	v_bfrev_b32_e32 v5, 1
	s_and_saveexec_b64 s[30:31], vcc
	s_cbranch_execz .LBB6_6639
; %bb.6636:                             ;   in Loop: Header=BB6_4406 Depth=4
	v_and_b32_e32 v17, 0x7f, v16
	v_cmp_ne_u32_e32 vcc, s86, v17
	v_mov_b32_e32 v5, 0x7f800001
	s_and_saveexec_b64 s[34:35], vcc
	s_cbranch_execz .LBB6_6638
; %bb.6637:                             ;   in Loop: Header=BB6_4406 Depth=4
	v_and_b32_e32 v5, 7, v16
	v_lshrrev_b32_e32 v20, 3, v17
	v_cmp_gt_u32_e32 vcc, 8, v17
	v_ffbh_u32_e32 v17, v5
	v_min_u32_e32 v21, 32, v17
	v_subrev_u32_e32 v17, 28, v21
	v_lshlrev_b64 v[16:17], v17, v[16:17]
	v_sub_u32_e32 v17, 29, v21
	v_and_b32_e32 v16, 7, v16
	v_cndmask_b32_e32 v17, v20, v17, vcc
	v_cndmask_b32_e32 v5, v5, v16, vcc
	v_lshlrev_b32_e32 v3, 16, v3
	v_bfrev_b32_e32 v16, 60
	v_lshlrev_b32_e32 v5, 20, v5
	v_and_b32_e32 v3, 0x80000000, v3
	v_lshl_add_u32 v16, v17, 23, v16
	v_or3_b32 v5, v3, v16, v5
.LBB6_6638:                             ;   in Loop: Header=BB6_4406 Depth=4
	s_or_b64 exec, exec, s[34:35]
.LBB6_6639:                             ;   in Loop: Header=BB6_4406 Depth=4
	s_or_b64 exec, exec, s[30:31]
.LBB6_6640:                             ;   in Loop: Header=BB6_4406 Depth=4
	s_or_b64 exec, exec, s[28:29]
	v_lshrrev_b16_e32 v16, 8, v19
	v_cmp_ne_u16_e32 vcc, 0, v16
	s_and_saveexec_b64 s[28:29], vcc
	s_cbranch_execz .LBB6_6646
; %bb.6641:                             ;   in Loop: Header=BB6_4406 Depth=4
	v_cmp_ne_u16_e32 vcc, s96, v16
	v_bfrev_b32_e32 v4, 1
	s_and_saveexec_b64 s[30:31], vcc
	s_cbranch_execz .LBB6_6645
; %bb.6642:                             ;   in Loop: Header=BB6_4406 Depth=4
	v_and_b32_e32 v3, 0x7f, v16
	v_cmp_ne_u32_e32 vcc, s86, v3
	v_mov_b32_e32 v4, 0x7f800001
	s_and_saveexec_b64 s[34:35], vcc
	s_cbranch_execz .LBB6_6644
; %bb.6643:                             ;   in Loop: Header=BB6_4406 Depth=4
	v_and_b32_e32 v17, 7, v16
	v_lshrrev_b32_e32 v20, 3, v3
	v_cmp_gt_u32_e32 vcc, 8, v3
	v_ffbh_u32_e32 v3, v17
	v_min_u32_e32 v21, 32, v3
	v_subrev_u32_e32 v3, 28, v21
	v_lshlrev_b64 v[3:4], v3, v[16:17]
	v_sub_u32_e32 v4, 29, v21
	v_and_b32_e32 v3, 7, v3
	v_cndmask_b32_e32 v4, v20, v4, vcc
	v_cndmask_b32_e32 v3, v17, v3, vcc
	v_lshlrev_b32_e32 v16, 16, v19
	v_bfrev_b32_e32 v17, 60
	v_lshlrev_b32_e32 v3, 20, v3
	v_and_b32_e32 v16, 0x80000000, v16
	v_lshl_add_u32 v4, v4, 23, v17
	v_or3_b32 v4, v16, v4, v3
.LBB6_6644:                             ;   in Loop: Header=BB6_4406 Depth=4
	s_or_b64 exec, exec, s[34:35]
.LBB6_6645:                             ;   in Loop: Header=BB6_4406 Depth=4
	s_or_b64 exec, exec, s[30:31]
.LBB6_6646:                             ;   in Loop: Header=BB6_4406 Depth=4
	s_or_b64 exec, exec, s[28:29]
	v_add_f32_e32 v4, v5, v4
	v_and_b32_e32 v16, 0x7f800000, v4
	v_mov_b32_e32 v17, v51
	v_cmp_ne_u64_e32 vcc, s[76:77], v[16:17]
                                        ; implicit-def: $vgpr49
	s_and_saveexec_b64 s[28:29], vcc
	s_xor_b64 s[30:31], exec, s[28:29]
	s_cbranch_execz .LBB6_6660
; %bb.6647:                             ;   in Loop: Header=BB6_4406 Depth=4
	v_and_b32_e32 v16, 0x7fffffff, v4
	v_mov_b32_e32 v17, v51
	v_cmp_gt_u64_e32 vcc, s[78:79], v[16:17]
	v_and_b32_sdwa v3, v4, s96 dst_sel:DWORD dst_unused:UNUSED_PAD src0_sel:BYTE_3 src1_sel:DWORD
                                        ; implicit-def: $vgpr49
	s_and_saveexec_b64 s[28:29], vcc
	s_xor_b64 s[34:35], exec, s[28:29]
	s_cbranch_execz .LBB6_6657
; %bb.6648:                             ;   in Loop: Header=BB6_4406 Depth=4
	v_mov_b32_e32 v49, 0
	v_cmp_ne_u32_e32 vcc, 0, v4
	s_and_saveexec_b64 s[36:37], vcc
	s_cbranch_execz .LBB6_6656
; %bb.6649:                             ;   in Loop: Header=BB6_4406 Depth=4
	v_bfe_u32 v22, v4, 23, 8
	v_and_b32_e32 v5, 0x7fffff, v4
	v_cmp_gt_u32_e64 s[28:29], s97, v22
	v_sub_u32_e32 v4, 0x79, v22
	v_cmp_eq_u32_e32 vcc, 0, v22
	v_cndmask_b32_e64 v4, 0, v4, s[28:29]
	v_mov_b32_e32 v17, 0x78
	v_or_b32_e32 v16, 0x800000, v5
	v_cndmask_b32_e32 v23, v4, v17, vcc
	v_cndmask_b32_e32 v4, v16, v5, vcc
	v_add_u32_e32 v16, 20, v23
	v_lshlrev_b64 v[16:17], v16, -1
	v_add_u32_e32 v20, 19, v23
	v_lshlrev_b64 v[24:25], v20, 1
	v_mov_b32_e32 v5, v51
	v_bfi_b32 v17, v17, 0, 0
	v_bfi_b32 v16, v16, 0, v4
	v_cmp_eq_u64_e64 s[28:29], v[16:17], v[24:25]
	v_lshrrev_b64 v[16:17], v23, v[4:5]
	v_mov_b32_e32 v4, v16
	v_mov_b32_e32 v5, v17
	s_and_saveexec_b64 s[38:39], s[28:29]
; %bb.6650:                             ;   in Loop: Header=BB6_4406 Depth=4
	v_bfe_u32 v4, v16, 20, 1
	v_add_co_u32_e64 v4, s[28:29], v16, v4
	v_add_co_u32_e64 v4, s[28:29], -1, v4
; %bb.6651:                             ;   in Loop: Header=BB6_4406 Depth=4
	s_or_b64 exec, exec, s[38:39]
	v_add_u32_e32 v5, 0xffffff81, v22
	v_mov_b32_e32 v17, 0xffffff82
	v_cndmask_b32_e32 v5, v5, v17, vcc
	v_lshrrev_b32_e32 v17, 23, v16
	v_add3_u32 v22, v23, v5, v17
	v_add_u32_e32 v5, 6, v22
	v_and_b32_e32 v4, 0xfffff, v4
	v_add_u32_e32 v16, v4, v16
	v_mov_b32_e32 v17, v51
	v_cmp_ne_u32_e32 vcc, 0, v5
                                        ; implicit-def: $vgpr4
	s_and_saveexec_b64 s[28:29], vcc
	s_xor_b64 s[28:29], exec, s[28:29]
; %bb.6652:                             ;   in Loop: Header=BB6_4406 Depth=4
	v_cmp_lt_u64_e32 vcc, s[88:89], v[16:17]
	v_add_u32_e32 v4, 7, v22
	v_cndmask_b32_e32 v4, v5, v4, vcc
	v_cndmask_b32_e64 v5, 0, 1, vcc
	v_lshrrev_b64 v[16:17], v5, v[16:17]
; %bb.6653:                             ;   in Loop: Header=BB6_4406 Depth=4
	s_andn2_saveexec_b64 s[28:29], s[28:29]
; %bb.6654:                             ;   in Loop: Header=BB6_4406 Depth=4
	v_bfe_u32 v4, v16, 23, 1
; %bb.6655:                             ;   in Loop: Header=BB6_4406 Depth=4
	s_or_b64 exec, exec, s[28:29]
	v_lshrrev_b64 v[16:17], 20, v[16:17]
	v_cmp_gt_i32_e32 vcc, 16, v4
	v_cndmask_b32_e32 v17, 0, v17, vcc
	v_cndmask_b32_e32 v16, 7, v16, vcc
	v_cmp_eq_u32_e32 vcc, 0, v4
	v_min_i32_e32 v4, 15, v4
	v_cmp_eq_u64_e64 s[28:29], 0, v[16:17]
	v_lshlrev_b32_e32 v4, 3, v4
	v_and_b32_e32 v4, 0xf8, v4
	v_and_or_b32 v4, v16, 7, v4
	s_and_b64 s[28:29], vcc, s[28:29]
	v_cndmask_b32_e64 v4, v4, 0, s[28:29]
	v_or_b32_e32 v49, v4, v3
.LBB6_6656:                             ;   in Loop: Header=BB6_4406 Depth=4
	s_or_b64 exec, exec, s[36:37]
                                        ; implicit-def: $vgpr3
.LBB6_6657:                             ;   in Loop: Header=BB6_4406 Depth=4
	s_andn2_saveexec_b64 s[28:29], s[34:35]
; %bb.6658:                             ;   in Loop: Header=BB6_4406 Depth=4
	v_or_b32_e32 v49, 0x7e, v3
; %bb.6659:                             ;   in Loop: Header=BB6_4406 Depth=4
	s_or_b64 exec, exec, s[28:29]
                                        ; implicit-def: $vgpr4
.LBB6_6660:                             ;   in Loop: Header=BB6_4406 Depth=4
	s_andn2_saveexec_b64 s[28:29], s[30:31]
; %bb.6661:                             ;   in Loop: Header=BB6_4406 Depth=4
	v_or_b32_sdwa v49, v4, s86 dst_sel:DWORD dst_unused:UNUSED_PAD src0_sel:BYTE_3 src1_sel:DWORD
; %bb.6662:                             ;   in Loop: Header=BB6_4406 Depth=4
	s_or_b64 exec, exec, s[28:29]
	v_lshrrev_b32_e32 v16, 16, v50
	v_cmp_ne_u16_sdwa vcc, v16, v51 src0_sel:BYTE_0 src1_sel:DWORD
	v_mov_b32_e32 v3, 0
	v_mov_b32_e32 v4, 0
	s_and_saveexec_b64 s[28:29], vcc
	s_cbranch_execz .LBB6_6668
; %bb.6663:                             ;   in Loop: Header=BB6_4406 Depth=4
	v_cmp_ne_u16_sdwa vcc, v16, s96 src0_sel:BYTE_0 src1_sel:DWORD
	v_bfrev_b32_e32 v4, 1
	s_and_saveexec_b64 s[30:31], vcc
	s_cbranch_execz .LBB6_6667
; %bb.6664:                             ;   in Loop: Header=BB6_4406 Depth=4
	v_bfe_u32 v5, v50, 16, 7
	v_cmp_ne_u32_e32 vcc, s86, v5
	v_mov_b32_e32 v4, 0x7f800001
	s_and_saveexec_b64 s[34:35], vcc
	s_cbranch_execz .LBB6_6666
; %bb.6665:                             ;   in Loop: Header=BB6_4406 Depth=4
	v_and_b32_e32 v17, 7, v16
	v_ffbh_u32_e32 v4, v17
	v_min_u32_e32 v21, 32, v4
	v_subrev_u32_e32 v4, 28, v21
	v_lshrrev_b32_e32 v20, 3, v5
	v_cmp_gt_u32_e32 vcc, 8, v5
	v_lshlrev_b64 v[4:5], v4, v[16:17]
	v_sub_u32_e32 v5, 29, v21
	v_and_b32_e32 v4, 7, v4
	v_cndmask_b32_e32 v5, v20, v5, vcc
	v_cndmask_b32_e32 v4, v17, v4, vcc
	v_lshlrev_b32_e32 v16, 24, v16
	v_bfrev_b32_e32 v17, 60
	v_lshlrev_b32_e32 v4, 20, v4
	v_and_b32_e32 v16, 0x80000000, v16
	v_lshl_add_u32 v5, v5, 23, v17
	v_or3_b32 v4, v16, v5, v4
.LBB6_6666:                             ;   in Loop: Header=BB6_4406 Depth=4
	s_or_b64 exec, exec, s[34:35]
.LBB6_6667:                             ;   in Loop: Header=BB6_4406 Depth=4
	s_or_b64 exec, exec, s[30:31]
.LBB6_6668:                             ;   in Loop: Header=BB6_4406 Depth=4
	s_or_b64 exec, exec, s[28:29]
	v_lshrrev_b32_e32 v16, 16, v19
	v_cmp_ne_u16_sdwa vcc, v16, v51 src0_sel:BYTE_0 src1_sel:DWORD
	s_and_saveexec_b64 s[28:29], vcc
	s_cbranch_execz .LBB6_6674
; %bb.6669:                             ;   in Loop: Header=BB6_4406 Depth=4
	v_cmp_ne_u16_sdwa vcc, v16, s96 src0_sel:BYTE_0 src1_sel:DWORD
	v_bfrev_b32_e32 v3, 1
	s_and_saveexec_b64 s[30:31], vcc
	s_cbranch_execz .LBB6_6673
; %bb.6670:                             ;   in Loop: Header=BB6_4406 Depth=4
	v_bfe_u32 v5, v19, 16, 7
	v_cmp_ne_u32_e32 vcc, s86, v5
	v_mov_b32_e32 v3, 0x7f800001
	s_and_saveexec_b64 s[34:35], vcc
	s_cbranch_execz .LBB6_6672
; %bb.6671:                             ;   in Loop: Header=BB6_4406 Depth=4
	v_and_b32_e32 v3, 7, v16
	v_lshrrev_b32_e32 v20, 3, v5
	v_cmp_gt_u32_e32 vcc, 8, v5
	v_ffbh_u32_e32 v5, v3
	v_min_u32_e32 v5, 32, v5
	v_subrev_u32_e32 v17, 28, v5
	v_lshlrev_b64 v[16:17], v17, v[16:17]
	v_sub_u32_e32 v5, 29, v5
	v_and_b32_e32 v16, 7, v16
	v_cndmask_b32_e32 v5, v20, v5, vcc
	v_cndmask_b32_e32 v3, v3, v16, vcc
	v_lshlrev_b32_e32 v16, 8, v19
	v_bfrev_b32_e32 v17, 60
	v_lshlrev_b32_e32 v3, 20, v3
	v_and_b32_e32 v16, 0x80000000, v16
	v_lshl_add_u32 v5, v5, 23, v17
	v_or3_b32 v3, v16, v5, v3
.LBB6_6672:                             ;   in Loop: Header=BB6_4406 Depth=4
	s_or_b64 exec, exec, s[34:35]
.LBB6_6673:                             ;   in Loop: Header=BB6_4406 Depth=4
	s_or_b64 exec, exec, s[30:31]
.LBB6_6674:                             ;   in Loop: Header=BB6_4406 Depth=4
	s_or_b64 exec, exec, s[28:29]
	v_add_f32_e32 v4, v4, v3
	v_and_b32_e32 v16, 0x7f800000, v4
	v_mov_b32_e32 v17, v51
	v_cmp_ne_u64_e32 vcc, s[76:77], v[16:17]
                                        ; implicit-def: $vgpr54
	s_and_saveexec_b64 s[28:29], vcc
	s_xor_b64 s[30:31], exec, s[28:29]
	s_cbranch_execz .LBB6_6688
; %bb.6675:                             ;   in Loop: Header=BB6_4406 Depth=4
	v_and_b32_e32 v16, 0x7fffffff, v4
	v_mov_b32_e32 v17, v51
	v_cmp_gt_u64_e32 vcc, s[78:79], v[16:17]
	v_and_b32_sdwa v3, v4, s96 dst_sel:DWORD dst_unused:UNUSED_PAD src0_sel:BYTE_3 src1_sel:DWORD
                                        ; implicit-def: $vgpr54
	s_and_saveexec_b64 s[28:29], vcc
	s_xor_b64 s[34:35], exec, s[28:29]
	s_cbranch_execz .LBB6_6685
; %bb.6676:                             ;   in Loop: Header=BB6_4406 Depth=4
	v_mov_b32_e32 v54, 0
	v_cmp_ne_u32_e32 vcc, 0, v4
	s_and_saveexec_b64 s[36:37], vcc
	s_cbranch_execz .LBB6_6684
; %bb.6677:                             ;   in Loop: Header=BB6_4406 Depth=4
	v_bfe_u32 v22, v4, 23, 8
	v_and_b32_e32 v5, 0x7fffff, v4
	v_cmp_gt_u32_e64 s[28:29], s97, v22
	v_sub_u32_e32 v4, 0x79, v22
	v_cmp_eq_u32_e32 vcc, 0, v22
	v_cndmask_b32_e64 v4, 0, v4, s[28:29]
	v_mov_b32_e32 v17, 0x78
	v_or_b32_e32 v16, 0x800000, v5
	v_cndmask_b32_e32 v23, v4, v17, vcc
	v_cndmask_b32_e32 v4, v16, v5, vcc
	v_add_u32_e32 v16, 20, v23
	v_lshlrev_b64 v[16:17], v16, -1
	v_add_u32_e32 v20, 19, v23
	v_lshlrev_b64 v[24:25], v20, 1
	v_mov_b32_e32 v5, v51
	v_bfi_b32 v17, v17, 0, 0
	v_bfi_b32 v16, v16, 0, v4
	v_cmp_eq_u64_e64 s[28:29], v[16:17], v[24:25]
	v_lshrrev_b64 v[16:17], v23, v[4:5]
	v_mov_b32_e32 v4, v16
	v_mov_b32_e32 v5, v17
	s_and_saveexec_b64 s[38:39], s[28:29]
; %bb.6678:                             ;   in Loop: Header=BB6_4406 Depth=4
	v_bfe_u32 v4, v16, 20, 1
	v_add_co_u32_e64 v4, s[28:29], v16, v4
	v_add_co_u32_e64 v4, s[28:29], -1, v4
; %bb.6679:                             ;   in Loop: Header=BB6_4406 Depth=4
	s_or_b64 exec, exec, s[38:39]
	v_add_u32_e32 v5, 0xffffff81, v22
	v_mov_b32_e32 v17, 0xffffff82
	v_cndmask_b32_e32 v5, v5, v17, vcc
	v_lshrrev_b32_e32 v17, 23, v16
	v_add3_u32 v22, v23, v5, v17
	v_add_u32_e32 v5, 6, v22
	v_and_b32_e32 v4, 0xfffff, v4
	v_add_u32_e32 v16, v4, v16
	v_mov_b32_e32 v17, v51
	v_cmp_ne_u32_e32 vcc, 0, v5
                                        ; implicit-def: $vgpr4
	s_and_saveexec_b64 s[28:29], vcc
	s_xor_b64 s[28:29], exec, s[28:29]
; %bb.6680:                             ;   in Loop: Header=BB6_4406 Depth=4
	v_cmp_lt_u64_e32 vcc, s[88:89], v[16:17]
	v_add_u32_e32 v4, 7, v22
	v_cndmask_b32_e32 v4, v5, v4, vcc
	v_cndmask_b32_e64 v5, 0, 1, vcc
	v_lshrrev_b64 v[16:17], v5, v[16:17]
; %bb.6681:                             ;   in Loop: Header=BB6_4406 Depth=4
	s_andn2_saveexec_b64 s[28:29], s[28:29]
; %bb.6682:                             ;   in Loop: Header=BB6_4406 Depth=4
	v_bfe_u32 v4, v16, 23, 1
; %bb.6683:                             ;   in Loop: Header=BB6_4406 Depth=4
	s_or_b64 exec, exec, s[28:29]
	v_lshrrev_b64 v[16:17], 20, v[16:17]
	v_cmp_gt_i32_e32 vcc, 16, v4
	v_cndmask_b32_e32 v17, 0, v17, vcc
	v_cndmask_b32_e32 v16, 7, v16, vcc
	v_cmp_eq_u32_e32 vcc, 0, v4
	v_min_i32_e32 v4, 15, v4
	v_cmp_eq_u64_e64 s[28:29], 0, v[16:17]
	v_lshlrev_b32_e32 v4, 3, v4
	v_and_b32_e32 v4, 0xf8, v4
	v_and_or_b32 v4, v16, 7, v4
	s_and_b64 s[28:29], vcc, s[28:29]
	v_cndmask_b32_e64 v4, v4, 0, s[28:29]
	v_or_b32_e32 v54, v4, v3
.LBB6_6684:                             ;   in Loop: Header=BB6_4406 Depth=4
	s_or_b64 exec, exec, s[36:37]
                                        ; implicit-def: $vgpr3
.LBB6_6685:                             ;   in Loop: Header=BB6_4406 Depth=4
	s_andn2_saveexec_b64 s[28:29], s[34:35]
; %bb.6686:                             ;   in Loop: Header=BB6_4406 Depth=4
	v_or_b32_e32 v54, 0x7e, v3
; %bb.6687:                             ;   in Loop: Header=BB6_4406 Depth=4
	s_or_b64 exec, exec, s[28:29]
                                        ; implicit-def: $vgpr4
.LBB6_6688:                             ;   in Loop: Header=BB6_4406 Depth=4
	s_andn2_saveexec_b64 s[28:29], s[30:31]
; %bb.6689:                             ;   in Loop: Header=BB6_4406 Depth=4
	v_or_b32_sdwa v54, v4, s86 dst_sel:DWORD dst_unused:UNUSED_PAD src0_sel:BYTE_3 src1_sel:DWORD
; %bb.6690:                             ;   in Loop: Header=BB6_4406 Depth=4
	s_or_b64 exec, exec, s[28:29]
	v_cmp_lt_u32_e32 vcc, s57, v50
	v_mov_b32_e32 v3, 0
	v_mov_b32_e32 v4, 0
	s_and_saveexec_b64 s[28:29], vcc
	s_cbranch_execz .LBB6_6696
; %bb.6691:                             ;   in Loop: Header=BB6_4406 Depth=4
	v_lshrrev_b32_e32 v16, 24, v50
	v_cmp_ne_u32_sdwa vcc, v50, s96 src0_sel:BYTE_3 src1_sel:DWORD
	v_bfrev_b32_e32 v4, 1
	s_and_saveexec_b64 s[30:31], vcc
	s_cbranch_execz .LBB6_6695
; %bb.6692:                             ;   in Loop: Header=BB6_4406 Depth=4
	v_bfe_u32 v5, v50, 24, 7
	v_cmp_ne_u32_e32 vcc, s86, v5
	v_mov_b32_e32 v4, 0x7f800001
	s_and_saveexec_b64 s[34:35], vcc
	s_cbranch_execz .LBB6_6694
; %bb.6693:                             ;   in Loop: Header=BB6_4406 Depth=4
	v_and_b32_e32 v17, 7, v16
	v_ffbh_u32_e32 v4, v17
	v_min_u32_e32 v21, 32, v4
	v_subrev_u32_e32 v4, 28, v21
	v_lshrrev_b32_e32 v20, 3, v5
	v_cmp_gt_u32_e32 vcc, 8, v5
	v_lshlrev_b64 v[4:5], v4, v[16:17]
	v_sub_u32_e32 v5, 29, v21
	v_and_b32_e32 v4, 7, v4
	v_mov_b32_e32 v16, 24
	v_cndmask_b32_e32 v5, v20, v5, vcc
	v_cndmask_b32_e32 v4, v17, v4, vcc
	v_lshlrev_b32_sdwa v16, v16, v50 dst_sel:DWORD dst_unused:UNUSED_PAD src0_sel:DWORD src1_sel:BYTE_3
	v_bfrev_b32_e32 v17, 60
	v_lshlrev_b32_e32 v4, 20, v4
	v_and_b32_e32 v16, 0x80000000, v16
	v_lshl_add_u32 v5, v5, 23, v17
	v_or3_b32 v4, v16, v5, v4
.LBB6_6694:                             ;   in Loop: Header=BB6_4406 Depth=4
	s_or_b64 exec, exec, s[34:35]
.LBB6_6695:                             ;   in Loop: Header=BB6_4406 Depth=4
	s_or_b64 exec, exec, s[30:31]
.LBB6_6696:                             ;   in Loop: Header=BB6_4406 Depth=4
	s_or_b64 exec, exec, s[28:29]
	v_cmp_lt_u64_e32 vcc, s[56:57], v[18:19]
	s_and_saveexec_b64 s[28:29], vcc
	s_cbranch_execz .LBB6_6702
; %bb.6697:                             ;   in Loop: Header=BB6_4406 Depth=4
	v_lshrrev_b32_e32 v16, 24, v19
	v_cmp_ne_u32_e32 vcc, s96, v16
	v_bfrev_b32_e32 v3, 1
	s_and_saveexec_b64 s[30:31], vcc
	s_cbranch_execz .LBB6_6701
; %bb.6698:                             ;   in Loop: Header=BB6_4406 Depth=4
	v_bfe_u32 v5, v19, 24, 7
	v_cmp_ne_u32_e32 vcc, s86, v5
	v_mov_b32_e32 v3, 0x7f800001
	s_and_saveexec_b64 s[34:35], vcc
	s_cbranch_execz .LBB6_6700
; %bb.6699:                             ;   in Loop: Header=BB6_4406 Depth=4
	v_and_b32_e32 v3, 7, v16
	v_lshrrev_b32_e32 v19, 3, v5
	v_cmp_gt_u32_e32 vcc, 8, v5
	v_ffbh_u32_e32 v5, v3
	v_min_u32_e32 v5, 32, v5
	v_subrev_u32_e32 v17, 28, v5
	v_lshlrev_b64 v[17:18], v17, v[16:17]
	v_sub_u32_e32 v5, 29, v5
	v_and_b32_e32 v17, 7, v17
	v_cndmask_b32_e32 v5, v19, v5, vcc
	v_cndmask_b32_e32 v3, v3, v17, vcc
	v_lshlrev_b32_e32 v16, 24, v16
	v_bfrev_b32_e32 v17, 60
	v_lshlrev_b32_e32 v3, 20, v3
	v_and_b32_e32 v16, 0x80000000, v16
	v_lshl_add_u32 v5, v5, 23, v17
	v_or3_b32 v3, v16, v5, v3
.LBB6_6700:                             ;   in Loop: Header=BB6_4406 Depth=4
	s_or_b64 exec, exec, s[34:35]
.LBB6_6701:                             ;   in Loop: Header=BB6_4406 Depth=4
	s_or_b64 exec, exec, s[30:31]
.LBB6_6702:                             ;   in Loop: Header=BB6_4406 Depth=4
	s_or_b64 exec, exec, s[28:29]
	v_add_f32_e32 v4, v4, v3
	v_and_b32_e32 v50, 0x7f800000, v4
	v_cmp_ne_u64_e32 vcc, s[76:77], v[50:51]
                                        ; implicit-def: $vgpr18
	s_and_saveexec_b64 s[28:29], vcc
	s_xor_b64 s[30:31], exec, s[28:29]
	s_cbranch_execz .LBB6_6716
; %bb.6703:                             ;   in Loop: Header=BB6_4406 Depth=4
	v_and_b32_e32 v50, 0x7fffffff, v4
	v_cmp_gt_u64_e32 vcc, s[78:79], v[50:51]
	v_and_b32_sdwa v3, v4, s96 dst_sel:DWORD dst_unused:UNUSED_PAD src0_sel:BYTE_3 src1_sel:DWORD
                                        ; implicit-def: $vgpr18
	s_and_saveexec_b64 s[28:29], vcc
	s_xor_b64 s[34:35], exec, s[28:29]
	s_cbranch_execz .LBB6_6713
; %bb.6704:                             ;   in Loop: Header=BB6_4406 Depth=4
	v_mov_b32_e32 v18, 0
	v_cmp_ne_u32_e32 vcc, 0, v4
	s_and_saveexec_b64 s[36:37], vcc
	s_cbranch_execz .LBB6_6712
; %bb.6705:                             ;   in Loop: Header=BB6_4406 Depth=4
	v_bfe_u32 v18, v4, 23, 8
	v_and_b32_e32 v5, 0x7fffff, v4
	v_cmp_gt_u32_e64 s[28:29], s97, v18
	v_sub_u32_e32 v4, 0x79, v18
	v_cmp_eq_u32_e32 vcc, 0, v18
	v_cndmask_b32_e64 v4, 0, v4, s[28:29]
	v_mov_b32_e32 v17, 0x78
	v_cndmask_b32_e32 v19, v4, v17, vcc
	v_or_b32_e32 v16, 0x800000, v5
	v_add_u32_e32 v4, 20, v19
	v_cndmask_b32_e32 v50, v16, v5, vcc
	v_lshlrev_b64 v[4:5], v4, -1
	v_add_u32_e32 v16, 19, v19
	v_lshlrev_b64 v[16:17], v16, 1
	v_bfi_b32 v5, v5, 0, 0
	v_bfi_b32 v4, v4, 0, v50
	v_cmp_eq_u64_e64 s[28:29], v[4:5], v[16:17]
	v_lshrrev_b64 v[16:17], v19, v[50:51]
	v_mov_b32_e32 v4, v16
	v_mov_b32_e32 v5, v17
	s_and_saveexec_b64 s[38:39], s[28:29]
; %bb.6706:                             ;   in Loop: Header=BB6_4406 Depth=4
	v_bfe_u32 v4, v16, 20, 1
	v_add_co_u32_e64 v4, s[28:29], v16, v4
	v_add_co_u32_e64 v4, s[28:29], -1, v4
; %bb.6707:                             ;   in Loop: Header=BB6_4406 Depth=4
	s_or_b64 exec, exec, s[38:39]
	v_add_u32_e32 v5, 0xffffff81, v18
	v_mov_b32_e32 v17, 0xffffff82
	v_cndmask_b32_e32 v5, v5, v17, vcc
	v_lshrrev_b32_e32 v17, 23, v16
	v_add3_u32 v18, v19, v5, v17
	v_add_u32_e32 v5, 6, v18
	v_and_b32_e32 v4, 0xfffff, v4
	v_add_u32_e32 v50, v4, v16
	v_cmp_ne_u32_e32 vcc, 0, v5
                                        ; implicit-def: $vgpr16_vgpr17
                                        ; implicit-def: $vgpr4
	s_and_saveexec_b64 s[28:29], vcc
	s_xor_b64 s[28:29], exec, s[28:29]
; %bb.6708:                             ;   in Loop: Header=BB6_4406 Depth=4
	v_cmp_lt_u64_e32 vcc, s[88:89], v[50:51]
	v_add_u32_e32 v4, 7, v18
	v_cndmask_b32_e32 v4, v5, v4, vcc
	v_cndmask_b32_e64 v5, 0, 1, vcc
	v_lshrrev_b64 v[16:17], v5, v[50:51]
; %bb.6709:                             ;   in Loop: Header=BB6_4406 Depth=4
	s_andn2_saveexec_b64 s[28:29], s[28:29]
; %bb.6710:                             ;   in Loop: Header=BB6_4406 Depth=4
	v_mov_b32_e32 v16, v50
	v_bfe_u32 v4, v50, 23, 1
	v_mov_b32_e32 v17, v51
; %bb.6711:                             ;   in Loop: Header=BB6_4406 Depth=4
	s_or_b64 exec, exec, s[28:29]
	v_lshrrev_b64 v[16:17], 20, v[16:17]
	v_cmp_gt_i32_e32 vcc, 16, v4
	v_cndmask_b32_e32 v17, 0, v17, vcc
	v_cndmask_b32_e32 v16, 7, v16, vcc
	v_cmp_eq_u32_e32 vcc, 0, v4
	v_min_i32_e32 v4, 15, v4
	v_cmp_eq_u64_e64 s[28:29], 0, v[16:17]
	v_lshlrev_b32_e32 v4, 3, v4
	v_and_b32_e32 v4, 0xf8, v4
	v_and_or_b32 v4, v16, 7, v4
	s_and_b64 s[28:29], vcc, s[28:29]
	v_cndmask_b32_e64 v4, v4, 0, s[28:29]
	v_or_b32_e32 v18, v4, v3
.LBB6_6712:                             ;   in Loop: Header=BB6_4406 Depth=4
	s_or_b64 exec, exec, s[36:37]
                                        ; implicit-def: $vgpr3
.LBB6_6713:                             ;   in Loop: Header=BB6_4406 Depth=4
	s_andn2_saveexec_b64 s[28:29], s[34:35]
; %bb.6714:                             ;   in Loop: Header=BB6_4406 Depth=4
	v_or_b32_e32 v18, 0x7e, v3
; %bb.6715:                             ;   in Loop: Header=BB6_4406 Depth=4
	s_or_b64 exec, exec, s[28:29]
                                        ; implicit-def: $vgpr4
.LBB6_6716:                             ;   in Loop: Header=BB6_4406 Depth=4
	s_andn2_saveexec_b64 s[28:29], s[30:31]
; %bb.6717:                             ;   in Loop: Header=BB6_4406 Depth=4
	v_or_b32_sdwa v18, v4, s86 dst_sel:DWORD dst_unused:UNUSED_PAD src0_sel:BYTE_3 src1_sel:DWORD
; %bb.6718:                             ;   in Loop: Header=BB6_4406 Depth=4
	s_or_b64 exec, exec, s[28:29]
	buffer_load_dword v4, off, s[0:3], s33 offset:204 ; 4-byte Folded Reload
	buffer_load_dword v5, off, s[0:3], s33 offset:224 ; 4-byte Folded Reload
	v_lshl_or_b32 v3, v39, 8, v37
	v_cmp_ne_u32_e32 vcc, 0, v37
	s_waitcnt vmcnt(1)
	v_lshlrev_b32_e32 v4, 16, v4
	s_waitcnt vmcnt(0)
	v_lshlrev_b32_e32 v5, 24, v5
	v_or3_b32 v50, v4, v5, v3
	v_mov_b32_e32 v4, 0
	v_mov_b32_e32 v5, 0
	s_and_saveexec_b64 s[28:29], vcc
	s_cbranch_execz .LBB6_6724
; %bb.6719:                             ;   in Loop: Header=BB6_4406 Depth=4
	v_cmp_ne_u32_e32 vcc, s96, v37
	v_bfrev_b32_e32 v5, 1
	s_and_saveexec_b64 s[30:31], vcc
	s_cbranch_execz .LBB6_6723
; %bb.6720:                             ;   in Loop: Header=BB6_4406 Depth=4
	v_and_b32_e32 v16, 0x7f, v37
	v_cmp_ne_u32_e32 vcc, s86, v16
	v_mov_b32_e32 v5, 0x7f800001
	s_and_saveexec_b64 s[34:35], vcc
	s_cbranch_execz .LBB6_6722
; %bb.6721:                             ;   in Loop: Header=BB6_4406 Depth=4
	v_and_b32_e32 v5, 7, v37
	v_ffbh_u32_e32 v5, v5
	v_min_u32_e32 v5, 32, v5
	v_lshrrev_b32_e32 v17, 3, v16
	v_cmp_gt_u32_e32 vcc, 8, v16
	v_subrev_u32_e32 v16, 28, v5
	v_sub_u32_e32 v5, 29, v5
	v_cndmask_b32_e32 v16, 0, v16, vcc
	v_cndmask_b32_e32 v5, v17, v5, vcc
	v_lshlrev_b64 v[16:17], v16, v[50:51]
	v_lshlrev_b32_e32 v17, 24, v50
	v_lshlrev_b32_e32 v16, 20, v16
	v_bfrev_b32_e32 v19, 60
	v_and_b32_e32 v16, 0x700000, v16
	v_and_b32_e32 v17, 0x80000000, v17
	v_lshl_add_u32 v5, v5, 23, v19
	v_or3_b32 v5, v17, v5, v16
.LBB6_6722:                             ;   in Loop: Header=BB6_4406 Depth=4
	s_or_b64 exec, exec, s[34:35]
.LBB6_6723:                             ;   in Loop: Header=BB6_4406 Depth=4
	s_or_b64 exec, exec, s[30:31]
.LBB6_6724:                             ;   in Loop: Header=BB6_4406 Depth=4
	s_or_b64 exec, exec, s[28:29]
	v_cmp_ne_u16_sdwa vcc, v12, v51 src0_sel:BYTE_0 src1_sel:DWORD
	s_and_saveexec_b64 s[28:29], vcc
	s_cbranch_execz .LBB6_6730
; %bb.6725:                             ;   in Loop: Header=BB6_4406 Depth=4
	v_cmp_ne_u16_sdwa vcc, v12, s96 src0_sel:BYTE_0 src1_sel:DWORD
	v_bfrev_b32_e32 v4, 1
	s_and_saveexec_b64 s[30:31], vcc
	s_cbranch_execz .LBB6_6729
; %bb.6726:                             ;   in Loop: Header=BB6_4406 Depth=4
	v_and_b32_e32 v16, 0x7f, v12
	v_cmp_ne_u32_e32 vcc, s86, v16
	v_mov_b32_e32 v4, 0x7f800001
	s_and_saveexec_b64 s[34:35], vcc
	s_cbranch_execz .LBB6_6728
; %bb.6727:                             ;   in Loop: Header=BB6_4406 Depth=4
	v_and_b32_e32 v4, 7, v12
	v_ffbh_u32_e32 v4, v4
	v_min_u32_e32 v4, 32, v4
	v_lshrrev_b32_e32 v17, 3, v16
	v_cmp_gt_u32_e32 vcc, 8, v16
	v_subrev_u32_e32 v16, 28, v4
	v_sub_u32_e32 v4, 29, v4
	v_cndmask_b32_e32 v16, 0, v16, vcc
	v_cndmask_b32_e32 v4, v17, v4, vcc
	v_lshlrev_b64 v[16:17], v16, v[12:13]
	v_lshlrev_b32_e32 v17, 24, v12
	v_lshlrev_b32_e32 v16, 20, v16
	v_bfrev_b32_e32 v19, 60
	v_and_b32_e32 v16, 0x700000, v16
	v_and_b32_e32 v17, 0x80000000, v17
	v_lshl_add_u32 v4, v4, 23, v19
	v_or3_b32 v4, v17, v4, v16
.LBB6_6728:                             ;   in Loop: Header=BB6_4406 Depth=4
	s_or_b64 exec, exec, s[34:35]
.LBB6_6729:                             ;   in Loop: Header=BB6_4406 Depth=4
	s_or_b64 exec, exec, s[30:31]
.LBB6_6730:                             ;   in Loop: Header=BB6_4406 Depth=4
	s_or_b64 exec, exec, s[28:29]
	v_add_f32_e32 v4, v5, v4
	v_and_b32_e32 v16, 0x7f800000, v4
	v_mov_b32_e32 v17, v51
	v_cmp_ne_u64_e32 vcc, s[76:77], v[16:17]
                                        ; implicit-def: $vgpr19
	s_and_saveexec_b64 s[28:29], vcc
	s_xor_b64 s[30:31], exec, s[28:29]
	s_cbranch_execz .LBB6_6744
; %bb.6731:                             ;   in Loop: Header=BB6_4406 Depth=4
	v_and_b32_e32 v16, 0x7fffffff, v4
	v_mov_b32_e32 v17, v51
	v_cmp_gt_u64_e32 vcc, s[78:79], v[16:17]
	v_and_b32_sdwa v22, v4, s96 dst_sel:DWORD dst_unused:UNUSED_PAD src0_sel:BYTE_3 src1_sel:DWORD
                                        ; implicit-def: $vgpr19
	s_and_saveexec_b64 s[28:29], vcc
	s_xor_b64 s[34:35], exec, s[28:29]
	s_cbranch_execz .LBB6_6741
; %bb.6732:                             ;   in Loop: Header=BB6_4406 Depth=4
	v_mov_b32_e32 v19, 0
	v_cmp_ne_u32_e32 vcc, 0, v4
	s_and_saveexec_b64 s[36:37], vcc
	s_cbranch_execz .LBB6_6740
; %bb.6733:                             ;   in Loop: Header=BB6_4406 Depth=4
	v_bfe_u32 v19, v4, 23, 8
	v_and_b32_e32 v5, 0x7fffff, v4
	v_cmp_gt_u32_e64 s[28:29], s97, v19
	v_sub_u32_e32 v4, 0x79, v19
	v_cmp_eq_u32_e32 vcc, 0, v19
	v_cndmask_b32_e64 v4, 0, v4, s[28:29]
	v_mov_b32_e32 v17, 0x78
	v_or_b32_e32 v16, 0x800000, v5
	v_cndmask_b32_e32 v23, v4, v17, vcc
	v_cndmask_b32_e32 v4, v16, v5, vcc
	v_add_u32_e32 v16, 20, v23
	v_lshlrev_b64 v[16:17], v16, -1
	v_add_u32_e32 v20, 19, v23
	v_lshlrev_b64 v[24:25], v20, 1
	v_mov_b32_e32 v5, v51
	v_bfi_b32 v17, v17, 0, 0
	v_bfi_b32 v16, v16, 0, v4
	v_cmp_eq_u64_e64 s[28:29], v[16:17], v[24:25]
	v_lshrrev_b64 v[16:17], v23, v[4:5]
	v_mov_b32_e32 v4, v16
	v_mov_b32_e32 v5, v17
	s_and_saveexec_b64 s[38:39], s[28:29]
; %bb.6734:                             ;   in Loop: Header=BB6_4406 Depth=4
	v_bfe_u32 v4, v16, 20, 1
	v_add_co_u32_e64 v4, s[28:29], v16, v4
	v_add_co_u32_e64 v4, s[28:29], -1, v4
; %bb.6735:                             ;   in Loop: Header=BB6_4406 Depth=4
	s_or_b64 exec, exec, s[38:39]
	v_add_u32_e32 v5, 0xffffff81, v19
	v_mov_b32_e32 v17, 0xffffff82
	v_cndmask_b32_e32 v5, v5, v17, vcc
	v_lshrrev_b32_e32 v17, 23, v16
	v_add3_u32 v19, v23, v5, v17
	v_add_u32_e32 v5, 6, v19
	v_and_b32_e32 v4, 0xfffff, v4
	v_add_u32_e32 v16, v4, v16
	v_mov_b32_e32 v17, v51
	v_cmp_ne_u32_e32 vcc, 0, v5
                                        ; implicit-def: $vgpr4
	s_and_saveexec_b64 s[28:29], vcc
	s_xor_b64 s[28:29], exec, s[28:29]
; %bb.6736:                             ;   in Loop: Header=BB6_4406 Depth=4
	v_cmp_lt_u64_e32 vcc, s[88:89], v[16:17]
	v_add_u32_e32 v4, 7, v19
	v_cndmask_b32_e32 v4, v5, v4, vcc
	v_cndmask_b32_e64 v5, 0, 1, vcc
	v_lshrrev_b64 v[16:17], v5, v[16:17]
; %bb.6737:                             ;   in Loop: Header=BB6_4406 Depth=4
	s_andn2_saveexec_b64 s[28:29], s[28:29]
; %bb.6738:                             ;   in Loop: Header=BB6_4406 Depth=4
	v_bfe_u32 v4, v16, 23, 1
; %bb.6739:                             ;   in Loop: Header=BB6_4406 Depth=4
	s_or_b64 exec, exec, s[28:29]
	v_lshrrev_b64 v[16:17], 20, v[16:17]
	v_cmp_gt_i32_e32 vcc, 16, v4
	v_cndmask_b32_e32 v17, 0, v17, vcc
	v_cndmask_b32_e32 v16, 7, v16, vcc
	v_cmp_eq_u32_e32 vcc, 0, v4
	v_min_i32_e32 v4, 15, v4
	v_cmp_eq_u64_e64 s[28:29], 0, v[16:17]
	v_lshlrev_b32_e32 v4, 3, v4
	v_and_b32_e32 v4, 0xf8, v4
	v_and_or_b32 v4, v16, 7, v4
	s_and_b64 s[28:29], vcc, s[28:29]
	v_cndmask_b32_e64 v4, v4, 0, s[28:29]
	v_or_b32_e32 v19, v4, v22
.LBB6_6740:                             ;   in Loop: Header=BB6_4406 Depth=4
	s_or_b64 exec, exec, s[36:37]
                                        ; implicit-def: $vgpr22
.LBB6_6741:                             ;   in Loop: Header=BB6_4406 Depth=4
	s_andn2_saveexec_b64 s[28:29], s[34:35]
; %bb.6742:                             ;   in Loop: Header=BB6_4406 Depth=4
	v_or_b32_e32 v19, 0x7e, v22
; %bb.6743:                             ;   in Loop: Header=BB6_4406 Depth=4
	s_or_b64 exec, exec, s[28:29]
                                        ; implicit-def: $vgpr4
.LBB6_6744:                             ;   in Loop: Header=BB6_4406 Depth=4
	s_andn2_saveexec_b64 s[28:29], s[30:31]
; %bb.6745:                             ;   in Loop: Header=BB6_4406 Depth=4
	v_or_b32_sdwa v19, v4, s86 dst_sel:DWORD dst_unused:UNUSED_PAD src0_sel:BYTE_3 src1_sel:DWORD
; %bb.6746:                             ;   in Loop: Header=BB6_4406 Depth=4
	s_or_b64 exec, exec, s[28:29]
	v_lshrrev_b16_e32 v16, 8, v3
	v_cmp_ne_u16_e32 vcc, 0, v16
	v_mov_b32_e32 v4, 0
	v_mov_b32_e32 v5, 0
	s_and_saveexec_b64 s[28:29], vcc
	s_cbranch_execz .LBB6_6752
; %bb.6747:                             ;   in Loop: Header=BB6_4406 Depth=4
	v_cmp_ne_u16_e32 vcc, s96, v16
	v_bfrev_b32_e32 v5, 1
	s_and_saveexec_b64 s[30:31], vcc
	s_cbranch_execz .LBB6_6751
; %bb.6748:                             ;   in Loop: Header=BB6_4406 Depth=4
	v_and_b32_e32 v17, 0x7f, v16
	v_cmp_ne_u32_e32 vcc, s86, v17
	v_mov_b32_e32 v5, 0x7f800001
	s_and_saveexec_b64 s[34:35], vcc
	s_cbranch_execz .LBB6_6750
; %bb.6749:                             ;   in Loop: Header=BB6_4406 Depth=4
	v_and_b32_e32 v5, 7, v16
	v_lshrrev_b32_e32 v20, 3, v17
	v_cmp_gt_u32_e32 vcc, 8, v17
	v_ffbh_u32_e32 v17, v5
	v_min_u32_e32 v21, 32, v17
	v_subrev_u32_e32 v17, 28, v21
	v_lshlrev_b64 v[16:17], v17, v[16:17]
	v_sub_u32_e32 v17, 29, v21
	v_and_b32_e32 v16, 7, v16
	v_cndmask_b32_e32 v17, v20, v17, vcc
	v_cndmask_b32_e32 v5, v5, v16, vcc
	v_lshlrev_b32_e32 v3, 16, v3
	v_bfrev_b32_e32 v16, 60
	v_lshlrev_b32_e32 v5, 20, v5
	v_and_b32_e32 v3, 0x80000000, v3
	v_lshl_add_u32 v16, v17, 23, v16
	v_or3_b32 v5, v3, v16, v5
.LBB6_6750:                             ;   in Loop: Header=BB6_4406 Depth=4
	s_or_b64 exec, exec, s[34:35]
.LBB6_6751:                             ;   in Loop: Header=BB6_4406 Depth=4
	s_or_b64 exec, exec, s[30:31]
.LBB6_6752:                             ;   in Loop: Header=BB6_4406 Depth=4
	s_or_b64 exec, exec, s[28:29]
	v_lshrrev_b16_e32 v16, 8, v12
	v_cmp_ne_u16_e32 vcc, 0, v16
	s_and_saveexec_b64 s[28:29], vcc
	s_cbranch_execz .LBB6_6758
; %bb.6753:                             ;   in Loop: Header=BB6_4406 Depth=4
	v_cmp_ne_u16_e32 vcc, s96, v16
	v_bfrev_b32_e32 v4, 1
	s_and_saveexec_b64 s[30:31], vcc
	s_cbranch_execz .LBB6_6757
; %bb.6754:                             ;   in Loop: Header=BB6_4406 Depth=4
	v_and_b32_e32 v3, 0x7f, v16
	v_cmp_ne_u32_e32 vcc, s86, v3
	v_mov_b32_e32 v4, 0x7f800001
	s_and_saveexec_b64 s[34:35], vcc
	s_cbranch_execz .LBB6_6756
; %bb.6755:                             ;   in Loop: Header=BB6_4406 Depth=4
	v_and_b32_e32 v17, 7, v16
	v_lshrrev_b32_e32 v20, 3, v3
	v_cmp_gt_u32_e32 vcc, 8, v3
	v_ffbh_u32_e32 v3, v17
	v_min_u32_e32 v21, 32, v3
	v_subrev_u32_e32 v3, 28, v21
	v_lshlrev_b64 v[3:4], v3, v[16:17]
	v_sub_u32_e32 v4, 29, v21
	v_and_b32_e32 v3, 7, v3
	v_cndmask_b32_e32 v4, v20, v4, vcc
	v_cndmask_b32_e32 v3, v17, v3, vcc
	v_lshlrev_b32_e32 v16, 16, v12
	v_bfrev_b32_e32 v17, 60
	v_lshlrev_b32_e32 v3, 20, v3
	v_and_b32_e32 v16, 0x80000000, v16
	v_lshl_add_u32 v4, v4, 23, v17
	v_or3_b32 v4, v16, v4, v3
.LBB6_6756:                             ;   in Loop: Header=BB6_4406 Depth=4
	s_or_b64 exec, exec, s[34:35]
.LBB6_6757:                             ;   in Loop: Header=BB6_4406 Depth=4
	s_or_b64 exec, exec, s[30:31]
.LBB6_6758:                             ;   in Loop: Header=BB6_4406 Depth=4
	s_or_b64 exec, exec, s[28:29]
	v_add_f32_e32 v4, v5, v4
	v_and_b32_e32 v16, 0x7f800000, v4
	v_mov_b32_e32 v17, v51
	v_cmp_ne_u64_e32 vcc, s[76:77], v[16:17]
                                        ; implicit-def: $vgpr37
	s_and_saveexec_b64 s[28:29], vcc
	s_xor_b64 s[30:31], exec, s[28:29]
	s_cbranch_execz .LBB6_6772
; %bb.6759:                             ;   in Loop: Header=BB6_4406 Depth=4
	v_and_b32_e32 v16, 0x7fffffff, v4
	v_mov_b32_e32 v17, v51
	v_cmp_gt_u64_e32 vcc, s[78:79], v[16:17]
	v_and_b32_sdwa v3, v4, s96 dst_sel:DWORD dst_unused:UNUSED_PAD src0_sel:BYTE_3 src1_sel:DWORD
                                        ; implicit-def: $vgpr37
	s_and_saveexec_b64 s[28:29], vcc
	s_xor_b64 s[34:35], exec, s[28:29]
	s_cbranch_execz .LBB6_6769
; %bb.6760:                             ;   in Loop: Header=BB6_4406 Depth=4
	v_mov_b32_e32 v37, 0
	v_cmp_ne_u32_e32 vcc, 0, v4
	s_and_saveexec_b64 s[36:37], vcc
	s_cbranch_execz .LBB6_6768
; %bb.6761:                             ;   in Loop: Header=BB6_4406 Depth=4
	v_bfe_u32 v22, v4, 23, 8
	v_and_b32_e32 v5, 0x7fffff, v4
	v_cmp_gt_u32_e64 s[28:29], s97, v22
	v_sub_u32_e32 v4, 0x79, v22
	v_cmp_eq_u32_e32 vcc, 0, v22
	v_cndmask_b32_e64 v4, 0, v4, s[28:29]
	v_mov_b32_e32 v17, 0x78
	v_or_b32_e32 v16, 0x800000, v5
	v_cndmask_b32_e32 v23, v4, v17, vcc
	v_cndmask_b32_e32 v4, v16, v5, vcc
	v_add_u32_e32 v16, 20, v23
	v_lshlrev_b64 v[16:17], v16, -1
	v_add_u32_e32 v20, 19, v23
	v_lshlrev_b64 v[24:25], v20, 1
	v_mov_b32_e32 v5, v51
	v_bfi_b32 v17, v17, 0, 0
	v_bfi_b32 v16, v16, 0, v4
	v_cmp_eq_u64_e64 s[28:29], v[16:17], v[24:25]
	v_lshrrev_b64 v[16:17], v23, v[4:5]
	v_mov_b32_e32 v4, v16
	v_mov_b32_e32 v5, v17
	s_and_saveexec_b64 s[38:39], s[28:29]
; %bb.6762:                             ;   in Loop: Header=BB6_4406 Depth=4
	v_bfe_u32 v4, v16, 20, 1
	v_add_co_u32_e64 v4, s[28:29], v16, v4
	v_add_co_u32_e64 v4, s[28:29], -1, v4
; %bb.6763:                             ;   in Loop: Header=BB6_4406 Depth=4
	s_or_b64 exec, exec, s[38:39]
	v_add_u32_e32 v5, 0xffffff81, v22
	v_mov_b32_e32 v17, 0xffffff82
	v_cndmask_b32_e32 v5, v5, v17, vcc
	v_lshrrev_b32_e32 v17, 23, v16
	v_add3_u32 v22, v23, v5, v17
	v_add_u32_e32 v5, 6, v22
	v_and_b32_e32 v4, 0xfffff, v4
	v_add_u32_e32 v16, v4, v16
	v_mov_b32_e32 v17, v51
	v_cmp_ne_u32_e32 vcc, 0, v5
                                        ; implicit-def: $vgpr4
	s_and_saveexec_b64 s[28:29], vcc
	s_xor_b64 s[28:29], exec, s[28:29]
; %bb.6764:                             ;   in Loop: Header=BB6_4406 Depth=4
	v_cmp_lt_u64_e32 vcc, s[88:89], v[16:17]
	v_add_u32_e32 v4, 7, v22
	v_cndmask_b32_e32 v4, v5, v4, vcc
	v_cndmask_b32_e64 v5, 0, 1, vcc
	v_lshrrev_b64 v[16:17], v5, v[16:17]
; %bb.6765:                             ;   in Loop: Header=BB6_4406 Depth=4
	s_andn2_saveexec_b64 s[28:29], s[28:29]
; %bb.6766:                             ;   in Loop: Header=BB6_4406 Depth=4
	v_bfe_u32 v4, v16, 23, 1
; %bb.6767:                             ;   in Loop: Header=BB6_4406 Depth=4
	s_or_b64 exec, exec, s[28:29]
	v_lshrrev_b64 v[16:17], 20, v[16:17]
	v_cmp_gt_i32_e32 vcc, 16, v4
	v_cndmask_b32_e32 v17, 0, v17, vcc
	v_cndmask_b32_e32 v16, 7, v16, vcc
	v_cmp_eq_u32_e32 vcc, 0, v4
	v_min_i32_e32 v4, 15, v4
	v_cmp_eq_u64_e64 s[28:29], 0, v[16:17]
	v_lshlrev_b32_e32 v4, 3, v4
	v_and_b32_e32 v4, 0xf8, v4
	v_and_or_b32 v4, v16, 7, v4
	s_and_b64 s[28:29], vcc, s[28:29]
	v_cndmask_b32_e64 v4, v4, 0, s[28:29]
	v_or_b32_e32 v37, v4, v3
.LBB6_6768:                             ;   in Loop: Header=BB6_4406 Depth=4
	s_or_b64 exec, exec, s[36:37]
                                        ; implicit-def: $vgpr3
.LBB6_6769:                             ;   in Loop: Header=BB6_4406 Depth=4
	s_andn2_saveexec_b64 s[28:29], s[34:35]
; %bb.6770:                             ;   in Loop: Header=BB6_4406 Depth=4
	v_or_b32_e32 v37, 0x7e, v3
; %bb.6771:                             ;   in Loop: Header=BB6_4406 Depth=4
	s_or_b64 exec, exec, s[28:29]
                                        ; implicit-def: $vgpr4
.LBB6_6772:                             ;   in Loop: Header=BB6_4406 Depth=4
	s_andn2_saveexec_b64 s[28:29], s[30:31]
; %bb.6773:                             ;   in Loop: Header=BB6_4406 Depth=4
	v_or_b32_sdwa v37, v4, s86 dst_sel:DWORD dst_unused:UNUSED_PAD src0_sel:BYTE_3 src1_sel:DWORD
; %bb.6774:                             ;   in Loop: Header=BB6_4406 Depth=4
	s_or_b64 exec, exec, s[28:29]
	v_lshrrev_b32_e32 v16, 16, v50
	v_cmp_ne_u16_sdwa vcc, v16, v51 src0_sel:BYTE_0 src1_sel:DWORD
	v_mov_b32_e32 v3, 0
	v_mov_b32_e32 v4, 0
	s_and_saveexec_b64 s[28:29], vcc
	s_cbranch_execz .LBB6_6780
; %bb.6775:                             ;   in Loop: Header=BB6_4406 Depth=4
	v_cmp_ne_u16_sdwa vcc, v16, s96 src0_sel:BYTE_0 src1_sel:DWORD
	v_bfrev_b32_e32 v4, 1
	s_and_saveexec_b64 s[30:31], vcc
	s_cbranch_execz .LBB6_6779
; %bb.6776:                             ;   in Loop: Header=BB6_4406 Depth=4
	v_bfe_u32 v5, v50, 16, 7
	v_cmp_ne_u32_e32 vcc, s86, v5
	v_mov_b32_e32 v4, 0x7f800001
	s_and_saveexec_b64 s[34:35], vcc
	s_cbranch_execz .LBB6_6778
; %bb.6777:                             ;   in Loop: Header=BB6_4406 Depth=4
	v_and_b32_e32 v17, 7, v16
	v_ffbh_u32_e32 v4, v17
	v_min_u32_e32 v21, 32, v4
	v_subrev_u32_e32 v4, 28, v21
	v_lshrrev_b32_e32 v20, 3, v5
	v_cmp_gt_u32_e32 vcc, 8, v5
	v_lshlrev_b64 v[4:5], v4, v[16:17]
	v_sub_u32_e32 v5, 29, v21
	v_and_b32_e32 v4, 7, v4
	v_cndmask_b32_e32 v5, v20, v5, vcc
	v_cndmask_b32_e32 v4, v17, v4, vcc
	v_lshlrev_b32_e32 v16, 24, v16
	v_bfrev_b32_e32 v17, 60
	v_lshlrev_b32_e32 v4, 20, v4
	v_and_b32_e32 v16, 0x80000000, v16
	v_lshl_add_u32 v5, v5, 23, v17
	v_or3_b32 v4, v16, v5, v4
.LBB6_6778:                             ;   in Loop: Header=BB6_4406 Depth=4
	s_or_b64 exec, exec, s[34:35]
.LBB6_6779:                             ;   in Loop: Header=BB6_4406 Depth=4
	s_or_b64 exec, exec, s[30:31]
.LBB6_6780:                             ;   in Loop: Header=BB6_4406 Depth=4
	s_or_b64 exec, exec, s[28:29]
	v_lshrrev_b32_e32 v16, 16, v12
	v_cmp_ne_u16_sdwa vcc, v16, v51 src0_sel:BYTE_0 src1_sel:DWORD
	s_and_saveexec_b64 s[28:29], vcc
	s_cbranch_execz .LBB6_6786
; %bb.6781:                             ;   in Loop: Header=BB6_4406 Depth=4
	v_cmp_ne_u16_sdwa vcc, v16, s96 src0_sel:BYTE_0 src1_sel:DWORD
	v_bfrev_b32_e32 v3, 1
	s_and_saveexec_b64 s[30:31], vcc
	s_cbranch_execz .LBB6_6785
; %bb.6782:                             ;   in Loop: Header=BB6_4406 Depth=4
	v_bfe_u32 v5, v12, 16, 7
	v_cmp_ne_u32_e32 vcc, s86, v5
	v_mov_b32_e32 v3, 0x7f800001
	s_and_saveexec_b64 s[34:35], vcc
	s_cbranch_execz .LBB6_6784
; %bb.6783:                             ;   in Loop: Header=BB6_4406 Depth=4
	v_and_b32_e32 v3, 7, v16
	v_lshrrev_b32_e32 v20, 3, v5
	v_cmp_gt_u32_e32 vcc, 8, v5
	v_ffbh_u32_e32 v5, v3
	v_min_u32_e32 v5, 32, v5
	v_subrev_u32_e32 v17, 28, v5
	v_lshlrev_b64 v[16:17], v17, v[16:17]
	v_sub_u32_e32 v5, 29, v5
	v_and_b32_e32 v16, 7, v16
	v_cndmask_b32_e32 v5, v20, v5, vcc
	v_cndmask_b32_e32 v3, v3, v16, vcc
	v_lshlrev_b32_e32 v16, 8, v12
	v_bfrev_b32_e32 v17, 60
	v_lshlrev_b32_e32 v3, 20, v3
	v_and_b32_e32 v16, 0x80000000, v16
	v_lshl_add_u32 v5, v5, 23, v17
	v_or3_b32 v3, v16, v5, v3
.LBB6_6784:                             ;   in Loop: Header=BB6_4406 Depth=4
	s_or_b64 exec, exec, s[34:35]
.LBB6_6785:                             ;   in Loop: Header=BB6_4406 Depth=4
	s_or_b64 exec, exec, s[30:31]
.LBB6_6786:                             ;   in Loop: Header=BB6_4406 Depth=4
	s_or_b64 exec, exec, s[28:29]
	v_add_f32_e32 v4, v4, v3
	v_and_b32_e32 v16, 0x7f800000, v4
	v_mov_b32_e32 v17, v51
	v_cmp_ne_u64_e32 vcc, s[76:77], v[16:17]
                                        ; implicit-def: $vgpr42
	s_and_saveexec_b64 s[28:29], vcc
	s_xor_b64 s[30:31], exec, s[28:29]
	s_cbranch_execz .LBB6_6800
; %bb.6787:                             ;   in Loop: Header=BB6_4406 Depth=4
	v_and_b32_e32 v16, 0x7fffffff, v4
	v_mov_b32_e32 v17, v51
	v_cmp_gt_u64_e32 vcc, s[78:79], v[16:17]
	v_and_b32_sdwa v3, v4, s96 dst_sel:DWORD dst_unused:UNUSED_PAD src0_sel:BYTE_3 src1_sel:DWORD
                                        ; implicit-def: $vgpr42
	s_and_saveexec_b64 s[28:29], vcc
	s_xor_b64 s[34:35], exec, s[28:29]
	s_cbranch_execz .LBB6_6797
; %bb.6788:                             ;   in Loop: Header=BB6_4406 Depth=4
	v_mov_b32_e32 v42, 0
	v_cmp_ne_u32_e32 vcc, 0, v4
	s_and_saveexec_b64 s[36:37], vcc
	s_cbranch_execz .LBB6_6796
; %bb.6789:                             ;   in Loop: Header=BB6_4406 Depth=4
	v_bfe_u32 v22, v4, 23, 8
	v_and_b32_e32 v5, 0x7fffff, v4
	v_cmp_gt_u32_e64 s[28:29], s97, v22
	v_sub_u32_e32 v4, 0x79, v22
	v_cmp_eq_u32_e32 vcc, 0, v22
	v_cndmask_b32_e64 v4, 0, v4, s[28:29]
	v_mov_b32_e32 v17, 0x78
	v_or_b32_e32 v16, 0x800000, v5
	v_cndmask_b32_e32 v23, v4, v17, vcc
	v_cndmask_b32_e32 v4, v16, v5, vcc
	v_add_u32_e32 v16, 20, v23
	v_lshlrev_b64 v[16:17], v16, -1
	v_add_u32_e32 v20, 19, v23
	v_lshlrev_b64 v[24:25], v20, 1
	v_mov_b32_e32 v5, v51
	v_bfi_b32 v17, v17, 0, 0
	v_bfi_b32 v16, v16, 0, v4
	v_cmp_eq_u64_e64 s[28:29], v[16:17], v[24:25]
	v_lshrrev_b64 v[16:17], v23, v[4:5]
	v_mov_b32_e32 v4, v16
	v_mov_b32_e32 v5, v17
	s_and_saveexec_b64 s[38:39], s[28:29]
; %bb.6790:                             ;   in Loop: Header=BB6_4406 Depth=4
	v_bfe_u32 v4, v16, 20, 1
	v_add_co_u32_e64 v4, s[28:29], v16, v4
	v_add_co_u32_e64 v4, s[28:29], -1, v4
; %bb.6791:                             ;   in Loop: Header=BB6_4406 Depth=4
	s_or_b64 exec, exec, s[38:39]
	v_add_u32_e32 v5, 0xffffff81, v22
	v_mov_b32_e32 v17, 0xffffff82
	v_cndmask_b32_e32 v5, v5, v17, vcc
	v_lshrrev_b32_e32 v17, 23, v16
	v_add3_u32 v22, v23, v5, v17
	v_add_u32_e32 v5, 6, v22
	v_and_b32_e32 v4, 0xfffff, v4
	v_add_u32_e32 v16, v4, v16
	v_mov_b32_e32 v17, v51
	v_cmp_ne_u32_e32 vcc, 0, v5
                                        ; implicit-def: $vgpr4
	s_and_saveexec_b64 s[28:29], vcc
	s_xor_b64 s[28:29], exec, s[28:29]
; %bb.6792:                             ;   in Loop: Header=BB6_4406 Depth=4
	v_cmp_lt_u64_e32 vcc, s[88:89], v[16:17]
	v_add_u32_e32 v4, 7, v22
	v_cndmask_b32_e32 v4, v5, v4, vcc
	v_cndmask_b32_e64 v5, 0, 1, vcc
	v_lshrrev_b64 v[16:17], v5, v[16:17]
; %bb.6793:                             ;   in Loop: Header=BB6_4406 Depth=4
	s_andn2_saveexec_b64 s[28:29], s[28:29]
; %bb.6794:                             ;   in Loop: Header=BB6_4406 Depth=4
	v_bfe_u32 v4, v16, 23, 1
; %bb.6795:                             ;   in Loop: Header=BB6_4406 Depth=4
	s_or_b64 exec, exec, s[28:29]
	v_lshrrev_b64 v[16:17], 20, v[16:17]
	v_cmp_gt_i32_e32 vcc, 16, v4
	v_cndmask_b32_e32 v17, 0, v17, vcc
	v_cndmask_b32_e32 v16, 7, v16, vcc
	v_cmp_eq_u32_e32 vcc, 0, v4
	v_min_i32_e32 v4, 15, v4
	v_cmp_eq_u64_e64 s[28:29], 0, v[16:17]
	v_lshlrev_b32_e32 v4, 3, v4
	v_and_b32_e32 v4, 0xf8, v4
	v_and_or_b32 v4, v16, 7, v4
	s_and_b64 s[28:29], vcc, s[28:29]
	v_cndmask_b32_e64 v4, v4, 0, s[28:29]
	v_or_b32_e32 v42, v4, v3
.LBB6_6796:                             ;   in Loop: Header=BB6_4406 Depth=4
	s_or_b64 exec, exec, s[36:37]
                                        ; implicit-def: $vgpr3
.LBB6_6797:                             ;   in Loop: Header=BB6_4406 Depth=4
	s_andn2_saveexec_b64 s[28:29], s[34:35]
; %bb.6798:                             ;   in Loop: Header=BB6_4406 Depth=4
	v_or_b32_e32 v42, 0x7e, v3
; %bb.6799:                             ;   in Loop: Header=BB6_4406 Depth=4
	s_or_b64 exec, exec, s[28:29]
                                        ; implicit-def: $vgpr4
.LBB6_6800:                             ;   in Loop: Header=BB6_4406 Depth=4
	s_andn2_saveexec_b64 s[28:29], s[30:31]
; %bb.6801:                             ;   in Loop: Header=BB6_4406 Depth=4
	v_or_b32_sdwa v42, v4, s86 dst_sel:DWORD dst_unused:UNUSED_PAD src0_sel:BYTE_3 src1_sel:DWORD
; %bb.6802:                             ;   in Loop: Header=BB6_4406 Depth=4
	s_or_b64 exec, exec, s[28:29]
	v_cmp_lt_u32_e32 vcc, s57, v50
	v_mov_b32_e32 v3, 0
	v_mov_b32_e32 v4, 0
	s_and_saveexec_b64 s[28:29], vcc
	s_cbranch_execz .LBB6_6808
; %bb.6803:                             ;   in Loop: Header=BB6_4406 Depth=4
	v_lshrrev_b32_e32 v16, 24, v50
	v_cmp_ne_u32_sdwa vcc, v50, s96 src0_sel:BYTE_3 src1_sel:DWORD
	v_bfrev_b32_e32 v4, 1
	s_and_saveexec_b64 s[30:31], vcc
	s_cbranch_execz .LBB6_6807
; %bb.6804:                             ;   in Loop: Header=BB6_4406 Depth=4
	v_bfe_u32 v5, v50, 24, 7
	v_cmp_ne_u32_e32 vcc, s86, v5
	v_mov_b32_e32 v4, 0x7f800001
	s_and_saveexec_b64 s[34:35], vcc
	s_cbranch_execz .LBB6_6806
; %bb.6805:                             ;   in Loop: Header=BB6_4406 Depth=4
	v_and_b32_e32 v17, 7, v16
	v_ffbh_u32_e32 v4, v17
	v_min_u32_e32 v21, 32, v4
	v_subrev_u32_e32 v4, 28, v21
	v_lshrrev_b32_e32 v20, 3, v5
	v_cmp_gt_u32_e32 vcc, 8, v5
	v_lshlrev_b64 v[4:5], v4, v[16:17]
	v_sub_u32_e32 v5, 29, v21
	v_and_b32_e32 v4, 7, v4
	v_mov_b32_e32 v16, 24
	v_cndmask_b32_e32 v5, v20, v5, vcc
	v_cndmask_b32_e32 v4, v17, v4, vcc
	v_lshlrev_b32_sdwa v16, v16, v50 dst_sel:DWORD dst_unused:UNUSED_PAD src0_sel:DWORD src1_sel:BYTE_3
	v_bfrev_b32_e32 v17, 60
	v_lshlrev_b32_e32 v4, 20, v4
	v_and_b32_e32 v16, 0x80000000, v16
	v_lshl_add_u32 v5, v5, 23, v17
	v_or3_b32 v4, v16, v5, v4
.LBB6_6806:                             ;   in Loop: Header=BB6_4406 Depth=4
	s_or_b64 exec, exec, s[34:35]
.LBB6_6807:                             ;   in Loop: Header=BB6_4406 Depth=4
	s_or_b64 exec, exec, s[30:31]
.LBB6_6808:                             ;   in Loop: Header=BB6_4406 Depth=4
	s_or_b64 exec, exec, s[28:29]
	v_cmp_lt_u32_e32 vcc, s57, v12
	s_and_saveexec_b64 s[28:29], vcc
	s_cbranch_execz .LBB6_6814
; %bb.6809:                             ;   in Loop: Header=BB6_4406 Depth=4
	v_lshrrev_b32_e32 v16, 24, v12
	v_cmp_ne_u32_e32 vcc, s96, v16
	v_bfrev_b32_e32 v3, 1
	s_and_saveexec_b64 s[30:31], vcc
	s_cbranch_execz .LBB6_6813
; %bb.6810:                             ;   in Loop: Header=BB6_4406 Depth=4
	v_bfe_u32 v5, v12, 24, 7
	v_cmp_ne_u32_e32 vcc, s86, v5
	v_mov_b32_e32 v3, 0x7f800001
	s_and_saveexec_b64 s[34:35], vcc
	s_cbranch_execz .LBB6_6812
; %bb.6811:                             ;   in Loop: Header=BB6_4406 Depth=4
	v_and_b32_e32 v3, 7, v16
	v_lshrrev_b32_e32 v17, 3, v5
	v_cmp_gt_u32_e32 vcc, 8, v5
	v_ffbh_u32_e32 v5, v3
	v_min_u32_e32 v5, 32, v5
	v_subrev_u32_e32 v20, 28, v5
	v_lshlrev_b64 v[22:23], v20, v[16:17]
	v_sub_u32_e32 v5, 29, v5
	v_and_b32_e32 v20, 7, v22
	v_cndmask_b32_e32 v5, v17, v5, vcc
	v_cndmask_b32_e32 v3, v3, v20, vcc
	v_lshlrev_b32_e32 v16, 24, v16
	v_bfrev_b32_e32 v17, 60
	v_lshlrev_b32_e32 v3, 20, v3
	v_and_b32_e32 v16, 0x80000000, v16
	v_lshl_add_u32 v5, v5, 23, v17
	v_or3_b32 v3, v16, v5, v3
.LBB6_6812:                             ;   in Loop: Header=BB6_4406 Depth=4
	s_or_b64 exec, exec, s[34:35]
.LBB6_6813:                             ;   in Loop: Header=BB6_4406 Depth=4
	s_or_b64 exec, exec, s[30:31]
.LBB6_6814:                             ;   in Loop: Header=BB6_4406 Depth=4
	s_or_b64 exec, exec, s[28:29]
	v_add_f32_e32 v4, v4, v3
	v_and_b32_e32 v50, 0x7f800000, v4
	v_cmp_ne_u64_e32 vcc, s[76:77], v[50:51]
                                        ; implicit-def: $vgpr43
	s_and_saveexec_b64 s[28:29], vcc
	s_xor_b64 s[30:31], exec, s[28:29]
	s_cbranch_execz .LBB6_6828
; %bb.6815:                             ;   in Loop: Header=BB6_4406 Depth=4
	v_and_b32_e32 v50, 0x7fffffff, v4
	v_cmp_gt_u64_e32 vcc, s[78:79], v[50:51]
	v_and_b32_sdwa v3, v4, s96 dst_sel:DWORD dst_unused:UNUSED_PAD src0_sel:BYTE_3 src1_sel:DWORD
                                        ; implicit-def: $vgpr43
	s_and_saveexec_b64 s[28:29], vcc
	s_xor_b64 s[34:35], exec, s[28:29]
	s_cbranch_execz .LBB6_6825
; %bb.6816:                             ;   in Loop: Header=BB6_4406 Depth=4
	v_mov_b32_e32 v43, 0
	v_cmp_ne_u32_e32 vcc, 0, v4
	s_and_saveexec_b64 s[36:37], vcc
	s_cbranch_execz .LBB6_6824
; %bb.6817:                             ;   in Loop: Header=BB6_4406 Depth=4
	v_bfe_u32 v22, v4, 23, 8
	v_and_b32_e32 v5, 0x7fffff, v4
	v_cmp_gt_u32_e64 s[28:29], s97, v22
	v_sub_u32_e32 v4, 0x79, v22
	v_cmp_eq_u32_e32 vcc, 0, v22
	v_cndmask_b32_e64 v4, 0, v4, s[28:29]
	v_mov_b32_e32 v17, 0x78
	v_cndmask_b32_e32 v23, v4, v17, vcc
	v_or_b32_e32 v16, 0x800000, v5
	v_add_u32_e32 v4, 20, v23
	v_cndmask_b32_e32 v50, v16, v5, vcc
	v_lshlrev_b64 v[4:5], v4, -1
	v_add_u32_e32 v16, 19, v23
	v_lshlrev_b64 v[16:17], v16, 1
	v_bfi_b32 v5, v5, 0, 0
	v_bfi_b32 v4, v4, 0, v50
	v_cmp_eq_u64_e64 s[28:29], v[4:5], v[16:17]
	v_lshrrev_b64 v[16:17], v23, v[50:51]
	v_mov_b32_e32 v4, v16
	v_mov_b32_e32 v5, v17
	s_and_saveexec_b64 s[38:39], s[28:29]
; %bb.6818:                             ;   in Loop: Header=BB6_4406 Depth=4
	v_bfe_u32 v4, v16, 20, 1
	v_add_co_u32_e64 v4, s[28:29], v16, v4
	v_add_co_u32_e64 v4, s[28:29], -1, v4
; %bb.6819:                             ;   in Loop: Header=BB6_4406 Depth=4
	s_or_b64 exec, exec, s[38:39]
	v_add_u32_e32 v5, 0xffffff81, v22
	v_mov_b32_e32 v17, 0xffffff82
	v_cndmask_b32_e32 v5, v5, v17, vcc
	v_lshrrev_b32_e32 v17, 23, v16
	v_add3_u32 v22, v23, v5, v17
	v_add_u32_e32 v5, 6, v22
	v_and_b32_e32 v4, 0xfffff, v4
	v_add_u32_e32 v50, v4, v16
	v_cmp_ne_u32_e32 vcc, 0, v5
                                        ; implicit-def: $vgpr16_vgpr17
                                        ; implicit-def: $vgpr4
	s_and_saveexec_b64 s[28:29], vcc
	s_xor_b64 s[28:29], exec, s[28:29]
; %bb.6820:                             ;   in Loop: Header=BB6_4406 Depth=4
	v_cmp_lt_u64_e32 vcc, s[88:89], v[50:51]
	v_add_u32_e32 v4, 7, v22
	v_cndmask_b32_e32 v4, v5, v4, vcc
	v_cndmask_b32_e64 v5, 0, 1, vcc
	v_lshrrev_b64 v[16:17], v5, v[50:51]
; %bb.6821:                             ;   in Loop: Header=BB6_4406 Depth=4
	s_andn2_saveexec_b64 s[28:29], s[28:29]
; %bb.6822:                             ;   in Loop: Header=BB6_4406 Depth=4
	v_mov_b32_e32 v16, v50
	v_bfe_u32 v4, v50, 23, 1
	v_mov_b32_e32 v17, v51
; %bb.6823:                             ;   in Loop: Header=BB6_4406 Depth=4
	s_or_b64 exec, exec, s[28:29]
	v_lshrrev_b64 v[16:17], 20, v[16:17]
	v_cmp_gt_i32_e32 vcc, 16, v4
	v_cndmask_b32_e32 v17, 0, v17, vcc
	v_cndmask_b32_e32 v16, 7, v16, vcc
	v_cmp_eq_u32_e32 vcc, 0, v4
	v_min_i32_e32 v4, 15, v4
	v_cmp_eq_u64_e64 s[28:29], 0, v[16:17]
	v_lshlrev_b32_e32 v4, 3, v4
	v_and_b32_e32 v4, 0xf8, v4
	v_and_or_b32 v4, v16, 7, v4
	s_and_b64 s[28:29], vcc, s[28:29]
	v_cndmask_b32_e64 v4, v4, 0, s[28:29]
	v_or_b32_e32 v43, v4, v3
.LBB6_6824:                             ;   in Loop: Header=BB6_4406 Depth=4
	s_or_b64 exec, exec, s[36:37]
                                        ; implicit-def: $vgpr3
.LBB6_6825:                             ;   in Loop: Header=BB6_4406 Depth=4
	s_andn2_saveexec_b64 s[28:29], s[34:35]
; %bb.6826:                             ;   in Loop: Header=BB6_4406 Depth=4
	v_or_b32_e32 v43, 0x7e, v3
; %bb.6827:                             ;   in Loop: Header=BB6_4406 Depth=4
	s_or_b64 exec, exec, s[28:29]
                                        ; implicit-def: $vgpr4
.LBB6_6828:                             ;   in Loop: Header=BB6_4406 Depth=4
	s_andn2_saveexec_b64 s[28:29], s[30:31]
; %bb.6829:                             ;   in Loop: Header=BB6_4406 Depth=4
	v_or_b32_sdwa v43, v4, s86 dst_sel:DWORD dst_unused:UNUSED_PAD src0_sel:BYTE_3 src1_sel:DWORD
; %bb.6830:                             ;   in Loop: Header=BB6_4406 Depth=4
	s_or_b64 exec, exec, s[28:29]
	buffer_load_dword v3, off, s[0:3], s33 offset:176 ; 4-byte Folded Reload
	buffer_load_dword v4, off, s[0:3], s33 offset:192 ; 4-byte Folded Reload
	;; [unrolled: 1-line block ×3, first 2 shown]
	v_cmp_ne_u32_e32 vcc, 0, v44
	s_waitcnt vmcnt(2)
	v_lshl_or_b32 v3, v3, 8, v44
	s_waitcnt vmcnt(1)
	v_lshlrev_b32_e32 v4, 16, v4
	s_waitcnt vmcnt(0)
	v_lshlrev_b32_e32 v5, 24, v5
	v_or3_b32 v50, v4, v5, v3
	v_mov_b32_e32 v5, 0
	v_mov_b32_e32 v4, 0
	s_and_saveexec_b64 s[28:29], vcc
	s_cbranch_execz .LBB6_6836
; %bb.6831:                             ;   in Loop: Header=BB6_4406 Depth=4
	v_cmp_ne_u32_e32 vcc, s96, v44
	v_bfrev_b32_e32 v4, 1
	s_and_saveexec_b64 s[30:31], vcc
	s_cbranch_execz .LBB6_6835
; %bb.6832:                             ;   in Loop: Header=BB6_4406 Depth=4
	v_and_b32_e32 v16, 0x7f, v44
	v_cmp_ne_u32_e32 vcc, s86, v16
	v_mov_b32_e32 v4, 0x7f800001
	s_and_saveexec_b64 s[34:35], vcc
	s_cbranch_execz .LBB6_6834
; %bb.6833:                             ;   in Loop: Header=BB6_4406 Depth=4
	v_and_b32_e32 v4, 7, v44
	v_ffbh_u32_e32 v4, v4
	v_min_u32_e32 v4, 32, v4
	v_lshrrev_b32_e32 v17, 3, v16
	v_cmp_gt_u32_e32 vcc, 8, v16
	v_subrev_u32_e32 v16, 28, v4
	v_sub_u32_e32 v4, 29, v4
	v_cndmask_b32_e32 v16, 0, v16, vcc
	v_cndmask_b32_e32 v4, v17, v4, vcc
	v_lshlrev_b64 v[16:17], v16, v[50:51]
	v_lshlrev_b32_e32 v17, 24, v50
	v_lshlrev_b32_e32 v16, 20, v16
	v_bfrev_b32_e32 v20, 60
	v_and_b32_e32 v16, 0x700000, v16
	v_and_b32_e32 v17, 0x80000000, v17
	v_lshl_add_u32 v4, v4, 23, v20
	v_or3_b32 v4, v17, v4, v16
.LBB6_6834:                             ;   in Loop: Header=BB6_4406 Depth=4
	s_or_b64 exec, exec, s[34:35]
.LBB6_6835:                             ;   in Loop: Header=BB6_4406 Depth=4
	s_or_b64 exec, exec, s[30:31]
.LBB6_6836:                             ;   in Loop: Header=BB6_4406 Depth=4
	s_or_b64 exec, exec, s[28:29]
	v_cmp_ne_u16_sdwa vcc, v13, v51 src0_sel:BYTE_0 src1_sel:DWORD
	s_and_saveexec_b64 s[28:29], vcc
	s_cbranch_execz .LBB6_6842
; %bb.6837:                             ;   in Loop: Header=BB6_4406 Depth=4
	v_cmp_ne_u16_sdwa vcc, v13, s96 src0_sel:BYTE_0 src1_sel:DWORD
	v_bfrev_b32_e32 v5, 1
	s_and_saveexec_b64 s[30:31], vcc
	s_cbranch_execz .LBB6_6841
; %bb.6838:                             ;   in Loop: Header=BB6_4406 Depth=4
	v_and_b32_e32 v16, 0x7f, v13
	v_cmp_ne_u32_e32 vcc, s86, v16
	v_mov_b32_e32 v5, 0x7f800001
	s_and_saveexec_b64 s[34:35], vcc
	s_cbranch_execz .LBB6_6840
; %bb.6839:                             ;   in Loop: Header=BB6_4406 Depth=4
	v_and_b32_e32 v5, 7, v13
	v_ffbh_u32_e32 v5, v5
	v_min_u32_e32 v5, 32, v5
	v_lshrrev_b32_e32 v17, 3, v16
	v_cmp_gt_u32_e32 vcc, 8, v16
	v_subrev_u32_e32 v16, 28, v5
	v_mov_b32_e32 v22, v13
	v_mov_b32_e32 v23, v51
	v_sub_u32_e32 v5, 29, v5
	v_cndmask_b32_e32 v16, 0, v16, vcc
	v_cndmask_b32_e32 v5, v17, v5, vcc
	v_lshlrev_b64 v[16:17], v16, v[22:23]
	v_lshlrev_b32_e32 v17, 24, v22
	v_lshlrev_b32_e32 v16, 20, v16
	v_bfrev_b32_e32 v20, 60
	v_and_b32_e32 v16, 0x700000, v16
	v_and_b32_e32 v17, 0x80000000, v17
	v_lshl_add_u32 v5, v5, 23, v20
	v_or3_b32 v5, v17, v5, v16
.LBB6_6840:                             ;   in Loop: Header=BB6_4406 Depth=4
	s_or_b64 exec, exec, s[34:35]
.LBB6_6841:                             ;   in Loop: Header=BB6_4406 Depth=4
	s_or_b64 exec, exec, s[30:31]
.LBB6_6842:                             ;   in Loop: Header=BB6_4406 Depth=4
	s_or_b64 exec, exec, s[28:29]
	v_add_f32_e32 v4, v4, v5
	v_and_b32_e32 v16, 0x7f800000, v4
	v_mov_b32_e32 v17, v51
	v_cmp_ne_u64_e32 vcc, s[76:77], v[16:17]
                                        ; implicit-def: $vgpr44
	s_and_saveexec_b64 s[28:29], vcc
	s_xor_b64 s[30:31], exec, s[28:29]
	s_cbranch_execz .LBB6_6856
; %bb.6843:                             ;   in Loop: Header=BB6_4406 Depth=4
	v_and_b32_e32 v16, 0x7fffffff, v4
	v_mov_b32_e32 v17, v51
	v_cmp_gt_u64_e32 vcc, s[78:79], v[16:17]
	v_and_b32_sdwa v22, v4, s96 dst_sel:DWORD dst_unused:UNUSED_PAD src0_sel:BYTE_3 src1_sel:DWORD
                                        ; implicit-def: $vgpr44
	s_and_saveexec_b64 s[28:29], vcc
	s_xor_b64 s[34:35], exec, s[28:29]
	s_cbranch_execz .LBB6_6853
; %bb.6844:                             ;   in Loop: Header=BB6_4406 Depth=4
	v_mov_b32_e32 v44, 0
	v_cmp_ne_u32_e32 vcc, 0, v4
	s_and_saveexec_b64 s[36:37], vcc
	s_cbranch_execz .LBB6_6852
; %bb.6845:                             ;   in Loop: Header=BB6_4406 Depth=4
	v_bfe_u32 v23, v4, 23, 8
	v_and_b32_e32 v5, 0x7fffff, v4
	v_cmp_gt_u32_e64 s[28:29], s97, v23
	v_sub_u32_e32 v4, 0x79, v23
	v_cmp_eq_u32_e32 vcc, 0, v23
	v_cndmask_b32_e64 v4, 0, v4, s[28:29]
	v_mov_b32_e32 v17, 0x78
	v_or_b32_e32 v16, 0x800000, v5
	v_cndmask_b32_e32 v24, v4, v17, vcc
	v_cndmask_b32_e32 v4, v16, v5, vcc
	v_add_u32_e32 v16, 20, v24
	v_lshlrev_b64 v[16:17], v16, -1
	v_add_u32_e32 v20, 19, v24
	v_lshlrev_b64 v[38:39], v20, 1
	v_mov_b32_e32 v5, v51
	v_bfi_b32 v17, v17, 0, 0
	v_bfi_b32 v16, v16, 0, v4
	v_cmp_eq_u64_e64 s[28:29], v[16:17], v[38:39]
	v_lshrrev_b64 v[16:17], v24, v[4:5]
	v_mov_b32_e32 v4, v16
	v_mov_b32_e32 v5, v17
	s_and_saveexec_b64 s[38:39], s[28:29]
; %bb.6846:                             ;   in Loop: Header=BB6_4406 Depth=4
	v_bfe_u32 v4, v16, 20, 1
	v_add_co_u32_e64 v4, s[28:29], v16, v4
	v_add_co_u32_e64 v4, s[28:29], -1, v4
; %bb.6847:                             ;   in Loop: Header=BB6_4406 Depth=4
	s_or_b64 exec, exec, s[38:39]
	v_add_u32_e32 v5, 0xffffff81, v23
	v_mov_b32_e32 v17, 0xffffff82
	v_cndmask_b32_e32 v5, v5, v17, vcc
	v_lshrrev_b32_e32 v17, 23, v16
	v_add3_u32 v23, v24, v5, v17
	v_add_u32_e32 v5, 6, v23
	v_and_b32_e32 v4, 0xfffff, v4
	v_add_u32_e32 v16, v4, v16
	v_mov_b32_e32 v17, v51
	v_cmp_ne_u32_e32 vcc, 0, v5
                                        ; implicit-def: $vgpr4
	s_and_saveexec_b64 s[28:29], vcc
	s_xor_b64 s[28:29], exec, s[28:29]
; %bb.6848:                             ;   in Loop: Header=BB6_4406 Depth=4
	v_cmp_lt_u64_e32 vcc, s[88:89], v[16:17]
	v_add_u32_e32 v4, 7, v23
	v_cndmask_b32_e32 v4, v5, v4, vcc
	v_cndmask_b32_e64 v5, 0, 1, vcc
	v_lshrrev_b64 v[16:17], v5, v[16:17]
; %bb.6849:                             ;   in Loop: Header=BB6_4406 Depth=4
	s_andn2_saveexec_b64 s[28:29], s[28:29]
; %bb.6850:                             ;   in Loop: Header=BB6_4406 Depth=4
	v_bfe_u32 v4, v16, 23, 1
; %bb.6851:                             ;   in Loop: Header=BB6_4406 Depth=4
	s_or_b64 exec, exec, s[28:29]
	v_lshrrev_b64 v[16:17], 20, v[16:17]
	v_cmp_gt_i32_e32 vcc, 16, v4
	v_cndmask_b32_e32 v17, 0, v17, vcc
	v_cndmask_b32_e32 v16, 7, v16, vcc
	v_cmp_eq_u32_e32 vcc, 0, v4
	v_min_i32_e32 v4, 15, v4
	v_cmp_eq_u64_e64 s[28:29], 0, v[16:17]
	v_lshlrev_b32_e32 v4, 3, v4
	v_and_b32_e32 v4, 0xf8, v4
	v_and_or_b32 v4, v16, 7, v4
	s_and_b64 s[28:29], vcc, s[28:29]
	v_cndmask_b32_e64 v4, v4, 0, s[28:29]
	v_or_b32_e32 v44, v4, v22
.LBB6_6852:                             ;   in Loop: Header=BB6_4406 Depth=4
	s_or_b64 exec, exec, s[36:37]
                                        ; implicit-def: $vgpr22
.LBB6_6853:                             ;   in Loop: Header=BB6_4406 Depth=4
	s_andn2_saveexec_b64 s[28:29], s[34:35]
; %bb.6854:                             ;   in Loop: Header=BB6_4406 Depth=4
	v_or_b32_e32 v44, 0x7e, v22
; %bb.6855:                             ;   in Loop: Header=BB6_4406 Depth=4
	s_or_b64 exec, exec, s[28:29]
                                        ; implicit-def: $vgpr4
.LBB6_6856:                             ;   in Loop: Header=BB6_4406 Depth=4
	s_andn2_saveexec_b64 s[28:29], s[30:31]
; %bb.6857:                             ;   in Loop: Header=BB6_4406 Depth=4
	v_or_b32_sdwa v44, v4, s86 dst_sel:DWORD dst_unused:UNUSED_PAD src0_sel:BYTE_3 src1_sel:DWORD
; %bb.6858:                             ;   in Loop: Header=BB6_4406 Depth=4
	s_or_b64 exec, exec, s[28:29]
	v_lshrrev_b16_e32 v16, 8, v3
	v_cmp_ne_u16_e32 vcc, 0, v16
	v_mov_b32_e32 v4, 0
	v_mov_b32_e32 v5, 0
	s_and_saveexec_b64 s[28:29], vcc
	s_cbranch_execz .LBB6_6864
; %bb.6859:                             ;   in Loop: Header=BB6_4406 Depth=4
	v_cmp_ne_u16_e32 vcc, s96, v16
	v_bfrev_b32_e32 v5, 1
	s_and_saveexec_b64 s[30:31], vcc
	s_cbranch_execz .LBB6_6863
; %bb.6860:                             ;   in Loop: Header=BB6_4406 Depth=4
	v_and_b32_e32 v17, 0x7f, v16
	v_cmp_ne_u32_e32 vcc, s86, v17
	v_mov_b32_e32 v5, 0x7f800001
	s_and_saveexec_b64 s[34:35], vcc
	s_cbranch_execz .LBB6_6862
; %bb.6861:                             ;   in Loop: Header=BB6_4406 Depth=4
	v_and_b32_e32 v5, 7, v16
	v_lshrrev_b32_e32 v20, 3, v17
	v_cmp_gt_u32_e32 vcc, 8, v17
	v_ffbh_u32_e32 v17, v5
	v_min_u32_e32 v21, 32, v17
	v_subrev_u32_e32 v17, 28, v21
	v_lshlrev_b64 v[16:17], v17, v[16:17]
	v_sub_u32_e32 v17, 29, v21
	v_and_b32_e32 v16, 7, v16
	v_cndmask_b32_e32 v17, v20, v17, vcc
	v_cndmask_b32_e32 v5, v5, v16, vcc
	v_lshlrev_b32_e32 v3, 16, v3
	v_bfrev_b32_e32 v16, 60
	v_lshlrev_b32_e32 v5, 20, v5
	v_and_b32_e32 v3, 0x80000000, v3
	v_lshl_add_u32 v16, v17, 23, v16
	v_or3_b32 v5, v3, v16, v5
.LBB6_6862:                             ;   in Loop: Header=BB6_4406 Depth=4
	s_or_b64 exec, exec, s[34:35]
.LBB6_6863:                             ;   in Loop: Header=BB6_4406 Depth=4
	s_or_b64 exec, exec, s[30:31]
.LBB6_6864:                             ;   in Loop: Header=BB6_4406 Depth=4
	s_or_b64 exec, exec, s[28:29]
	v_lshrrev_b16_e32 v16, 8, v13
	v_cmp_ne_u16_e32 vcc, 0, v16
	s_and_saveexec_b64 s[28:29], vcc
	s_cbranch_execz .LBB6_6870
; %bb.6865:                             ;   in Loop: Header=BB6_4406 Depth=4
	v_cmp_ne_u16_e32 vcc, s96, v16
	v_bfrev_b32_e32 v4, 1
	s_and_saveexec_b64 s[30:31], vcc
	s_cbranch_execz .LBB6_6869
; %bb.6866:                             ;   in Loop: Header=BB6_4406 Depth=4
	v_and_b32_e32 v3, 0x7f, v16
	v_cmp_ne_u32_e32 vcc, s86, v3
	v_mov_b32_e32 v4, 0x7f800001
	s_and_saveexec_b64 s[34:35], vcc
	s_cbranch_execz .LBB6_6868
; %bb.6867:                             ;   in Loop: Header=BB6_4406 Depth=4
	v_and_b32_e32 v17, 7, v16
	v_lshrrev_b32_e32 v20, 3, v3
	v_cmp_gt_u32_e32 vcc, 8, v3
	v_ffbh_u32_e32 v3, v17
	v_min_u32_e32 v21, 32, v3
	v_subrev_u32_e32 v3, 28, v21
	v_lshlrev_b64 v[3:4], v3, v[16:17]
	v_sub_u32_e32 v4, 29, v21
	v_and_b32_e32 v3, 7, v3
	v_cndmask_b32_e32 v4, v20, v4, vcc
	v_cndmask_b32_e32 v3, v17, v3, vcc
	v_lshlrev_b32_e32 v16, 16, v13
	v_bfrev_b32_e32 v17, 60
	v_lshlrev_b32_e32 v3, 20, v3
	v_and_b32_e32 v16, 0x80000000, v16
	v_lshl_add_u32 v4, v4, 23, v17
	v_or3_b32 v4, v16, v4, v3
.LBB6_6868:                             ;   in Loop: Header=BB6_4406 Depth=4
	s_or_b64 exec, exec, s[34:35]
.LBB6_6869:                             ;   in Loop: Header=BB6_4406 Depth=4
	s_or_b64 exec, exec, s[30:31]
.LBB6_6870:                             ;   in Loop: Header=BB6_4406 Depth=4
	s_or_b64 exec, exec, s[28:29]
	v_add_f32_e32 v4, v5, v4
	v_and_b32_e32 v16, 0x7f800000, v4
	v_mov_b32_e32 v17, v51
	v_cmp_ne_u64_e32 vcc, s[76:77], v[16:17]
                                        ; implicit-def: $vgpr45
	s_and_saveexec_b64 s[28:29], vcc
	s_xor_b64 s[30:31], exec, s[28:29]
	s_cbranch_execz .LBB6_6884
; %bb.6871:                             ;   in Loop: Header=BB6_4406 Depth=4
	v_and_b32_e32 v16, 0x7fffffff, v4
	v_mov_b32_e32 v17, v51
	v_cmp_gt_u64_e32 vcc, s[78:79], v[16:17]
	v_and_b32_sdwa v3, v4, s96 dst_sel:DWORD dst_unused:UNUSED_PAD src0_sel:BYTE_3 src1_sel:DWORD
                                        ; implicit-def: $vgpr45
	s_and_saveexec_b64 s[28:29], vcc
	s_xor_b64 s[34:35], exec, s[28:29]
	s_cbranch_execz .LBB6_6881
; %bb.6872:                             ;   in Loop: Header=BB6_4406 Depth=4
	v_mov_b32_e32 v45, 0
	v_cmp_ne_u32_e32 vcc, 0, v4
	s_and_saveexec_b64 s[36:37], vcc
	s_cbranch_execz .LBB6_6880
; %bb.6873:                             ;   in Loop: Header=BB6_4406 Depth=4
	v_bfe_u32 v22, v4, 23, 8
	v_and_b32_e32 v5, 0x7fffff, v4
	v_cmp_gt_u32_e64 s[28:29], s97, v22
	v_sub_u32_e32 v4, 0x79, v22
	v_cmp_eq_u32_e32 vcc, 0, v22
	v_cndmask_b32_e64 v4, 0, v4, s[28:29]
	v_mov_b32_e32 v17, 0x78
	v_or_b32_e32 v16, 0x800000, v5
	v_cndmask_b32_e32 v23, v4, v17, vcc
	v_cndmask_b32_e32 v4, v16, v5, vcc
	v_add_u32_e32 v16, 20, v23
	v_lshlrev_b64 v[16:17], v16, -1
	v_add_u32_e32 v20, 19, v23
	v_lshlrev_b64 v[24:25], v20, 1
	v_mov_b32_e32 v5, v51
	v_bfi_b32 v17, v17, 0, 0
	v_bfi_b32 v16, v16, 0, v4
	v_cmp_eq_u64_e64 s[28:29], v[16:17], v[24:25]
	v_lshrrev_b64 v[16:17], v23, v[4:5]
	v_mov_b32_e32 v4, v16
	v_mov_b32_e32 v5, v17
	s_and_saveexec_b64 s[38:39], s[28:29]
; %bb.6874:                             ;   in Loop: Header=BB6_4406 Depth=4
	v_bfe_u32 v4, v16, 20, 1
	v_add_co_u32_e64 v4, s[28:29], v16, v4
	v_add_co_u32_e64 v4, s[28:29], -1, v4
; %bb.6875:                             ;   in Loop: Header=BB6_4406 Depth=4
	s_or_b64 exec, exec, s[38:39]
	v_add_u32_e32 v5, 0xffffff81, v22
	v_mov_b32_e32 v17, 0xffffff82
	v_cndmask_b32_e32 v5, v5, v17, vcc
	v_lshrrev_b32_e32 v17, 23, v16
	v_add3_u32 v22, v23, v5, v17
	v_add_u32_e32 v5, 6, v22
	v_and_b32_e32 v4, 0xfffff, v4
	v_add_u32_e32 v16, v4, v16
	v_mov_b32_e32 v17, v51
	v_cmp_ne_u32_e32 vcc, 0, v5
                                        ; implicit-def: $vgpr4
	s_and_saveexec_b64 s[28:29], vcc
	s_xor_b64 s[28:29], exec, s[28:29]
; %bb.6876:                             ;   in Loop: Header=BB6_4406 Depth=4
	v_cmp_lt_u64_e32 vcc, s[88:89], v[16:17]
	v_add_u32_e32 v4, 7, v22
	v_cndmask_b32_e32 v4, v5, v4, vcc
	v_cndmask_b32_e64 v5, 0, 1, vcc
	v_lshrrev_b64 v[16:17], v5, v[16:17]
; %bb.6877:                             ;   in Loop: Header=BB6_4406 Depth=4
	s_andn2_saveexec_b64 s[28:29], s[28:29]
; %bb.6878:                             ;   in Loop: Header=BB6_4406 Depth=4
	v_bfe_u32 v4, v16, 23, 1
; %bb.6879:                             ;   in Loop: Header=BB6_4406 Depth=4
	s_or_b64 exec, exec, s[28:29]
	v_lshrrev_b64 v[16:17], 20, v[16:17]
	v_cmp_gt_i32_e32 vcc, 16, v4
	v_cndmask_b32_e32 v17, 0, v17, vcc
	v_cndmask_b32_e32 v16, 7, v16, vcc
	v_cmp_eq_u32_e32 vcc, 0, v4
	v_min_i32_e32 v4, 15, v4
	v_cmp_eq_u64_e64 s[28:29], 0, v[16:17]
	v_lshlrev_b32_e32 v4, 3, v4
	v_and_b32_e32 v4, 0xf8, v4
	v_and_or_b32 v4, v16, 7, v4
	s_and_b64 s[28:29], vcc, s[28:29]
	v_cndmask_b32_e64 v4, v4, 0, s[28:29]
	v_or_b32_e32 v45, v4, v3
.LBB6_6880:                             ;   in Loop: Header=BB6_4406 Depth=4
	s_or_b64 exec, exec, s[36:37]
                                        ; implicit-def: $vgpr3
.LBB6_6881:                             ;   in Loop: Header=BB6_4406 Depth=4
	s_andn2_saveexec_b64 s[28:29], s[34:35]
; %bb.6882:                             ;   in Loop: Header=BB6_4406 Depth=4
	v_or_b32_e32 v45, 0x7e, v3
; %bb.6883:                             ;   in Loop: Header=BB6_4406 Depth=4
	s_or_b64 exec, exec, s[28:29]
                                        ; implicit-def: $vgpr4
.LBB6_6884:                             ;   in Loop: Header=BB6_4406 Depth=4
	s_andn2_saveexec_b64 s[28:29], s[30:31]
; %bb.6885:                             ;   in Loop: Header=BB6_4406 Depth=4
	v_or_b32_sdwa v45, v4, s86 dst_sel:DWORD dst_unused:UNUSED_PAD src0_sel:BYTE_3 src1_sel:DWORD
; %bb.6886:                             ;   in Loop: Header=BB6_4406 Depth=4
	s_or_b64 exec, exec, s[28:29]
	v_lshrrev_b32_e32 v16, 16, v50
	v_cmp_ne_u16_sdwa vcc, v16, v51 src0_sel:BYTE_0 src1_sel:DWORD
	v_mov_b32_e32 v3, 0
	v_mov_b32_e32 v4, 0
	s_and_saveexec_b64 s[28:29], vcc
	s_cbranch_execz .LBB6_6892
; %bb.6887:                             ;   in Loop: Header=BB6_4406 Depth=4
	v_cmp_ne_u16_sdwa vcc, v16, s96 src0_sel:BYTE_0 src1_sel:DWORD
	v_bfrev_b32_e32 v4, 1
	s_and_saveexec_b64 s[30:31], vcc
	s_cbranch_execz .LBB6_6891
; %bb.6888:                             ;   in Loop: Header=BB6_4406 Depth=4
	v_bfe_u32 v5, v50, 16, 7
	v_cmp_ne_u32_e32 vcc, s86, v5
	v_mov_b32_e32 v4, 0x7f800001
	s_and_saveexec_b64 s[34:35], vcc
	s_cbranch_execz .LBB6_6890
; %bb.6889:                             ;   in Loop: Header=BB6_4406 Depth=4
	v_and_b32_e32 v17, 7, v16
	v_ffbh_u32_e32 v4, v17
	v_min_u32_e32 v21, 32, v4
	v_subrev_u32_e32 v4, 28, v21
	v_lshrrev_b32_e32 v20, 3, v5
	v_cmp_gt_u32_e32 vcc, 8, v5
	v_lshlrev_b64 v[4:5], v4, v[16:17]
	v_sub_u32_e32 v5, 29, v21
	v_and_b32_e32 v4, 7, v4
	v_cndmask_b32_e32 v5, v20, v5, vcc
	v_cndmask_b32_e32 v4, v17, v4, vcc
	v_lshlrev_b32_e32 v16, 24, v16
	v_bfrev_b32_e32 v17, 60
	v_lshlrev_b32_e32 v4, 20, v4
	v_and_b32_e32 v16, 0x80000000, v16
	v_lshl_add_u32 v5, v5, 23, v17
	v_or3_b32 v4, v16, v5, v4
.LBB6_6890:                             ;   in Loop: Header=BB6_4406 Depth=4
	s_or_b64 exec, exec, s[34:35]
.LBB6_6891:                             ;   in Loop: Header=BB6_4406 Depth=4
	s_or_b64 exec, exec, s[30:31]
.LBB6_6892:                             ;   in Loop: Header=BB6_4406 Depth=4
	s_or_b64 exec, exec, s[28:29]
	v_lshrrev_b32_e32 v16, 16, v13
	v_cmp_ne_u16_sdwa vcc, v16, v51 src0_sel:BYTE_0 src1_sel:DWORD
	s_and_saveexec_b64 s[28:29], vcc
	s_cbranch_execz .LBB6_6898
; %bb.6893:                             ;   in Loop: Header=BB6_4406 Depth=4
	v_cmp_ne_u16_sdwa vcc, v16, s96 src0_sel:BYTE_0 src1_sel:DWORD
	v_bfrev_b32_e32 v3, 1
	s_and_saveexec_b64 s[30:31], vcc
	s_cbranch_execz .LBB6_6897
; %bb.6894:                             ;   in Loop: Header=BB6_4406 Depth=4
	v_bfe_u32 v5, v13, 16, 7
	v_cmp_ne_u32_e32 vcc, s86, v5
	v_mov_b32_e32 v3, 0x7f800001
	s_and_saveexec_b64 s[34:35], vcc
	s_cbranch_execz .LBB6_6896
; %bb.6895:                             ;   in Loop: Header=BB6_4406 Depth=4
	v_and_b32_e32 v3, 7, v16
	v_lshrrev_b32_e32 v20, 3, v5
	v_cmp_gt_u32_e32 vcc, 8, v5
	v_ffbh_u32_e32 v5, v3
	v_min_u32_e32 v5, 32, v5
	v_subrev_u32_e32 v17, 28, v5
	v_lshlrev_b64 v[16:17], v17, v[16:17]
	v_sub_u32_e32 v5, 29, v5
	v_and_b32_e32 v16, 7, v16
	v_cndmask_b32_e32 v5, v20, v5, vcc
	v_cndmask_b32_e32 v3, v3, v16, vcc
	v_lshlrev_b32_e32 v16, 8, v13
	v_bfrev_b32_e32 v17, 60
	v_lshlrev_b32_e32 v3, 20, v3
	v_and_b32_e32 v16, 0x80000000, v16
	v_lshl_add_u32 v5, v5, 23, v17
	v_or3_b32 v3, v16, v5, v3
.LBB6_6896:                             ;   in Loop: Header=BB6_4406 Depth=4
	s_or_b64 exec, exec, s[34:35]
.LBB6_6897:                             ;   in Loop: Header=BB6_4406 Depth=4
	s_or_b64 exec, exec, s[30:31]
.LBB6_6898:                             ;   in Loop: Header=BB6_4406 Depth=4
	s_or_b64 exec, exec, s[28:29]
	v_add_f32_e32 v4, v4, v3
	v_and_b32_e32 v16, 0x7f800000, v4
	v_mov_b32_e32 v17, v51
	v_cmp_ne_u64_e32 vcc, s[76:77], v[16:17]
                                        ; implicit-def: $vgpr17
	s_and_saveexec_b64 s[28:29], vcc
	s_xor_b64 s[30:31], exec, s[28:29]
	s_cbranch_execz .LBB6_6912
; %bb.6899:                             ;   in Loop: Header=BB6_4406 Depth=4
	v_and_b32_e32 v16, 0x7fffffff, v4
	v_mov_b32_e32 v17, v51
	v_cmp_gt_u64_e32 vcc, s[78:79], v[16:17]
	v_and_b32_sdwa v3, v4, s96 dst_sel:DWORD dst_unused:UNUSED_PAD src0_sel:BYTE_3 src1_sel:DWORD
                                        ; implicit-def: $vgpr17
	s_and_saveexec_b64 s[28:29], vcc
	s_xor_b64 s[34:35], exec, s[28:29]
	s_cbranch_execz .LBB6_6909
; %bb.6900:                             ;   in Loop: Header=BB6_4406 Depth=4
	v_mov_b32_e32 v17, 0
	v_cmp_ne_u32_e32 vcc, 0, v4
	s_and_saveexec_b64 s[36:37], vcc
	s_cbranch_execz .LBB6_6908
; %bb.6901:                             ;   in Loop: Header=BB6_4406 Depth=4
	v_bfe_u32 v22, v4, 23, 8
	v_and_b32_e32 v5, 0x7fffff, v4
	v_cmp_gt_u32_e64 s[28:29], s97, v22
	v_sub_u32_e32 v4, 0x79, v22
	v_cmp_eq_u32_e32 vcc, 0, v22
	v_cndmask_b32_e64 v4, 0, v4, s[28:29]
	v_mov_b32_e32 v17, 0x78
	v_or_b32_e32 v16, 0x800000, v5
	v_cndmask_b32_e32 v23, v4, v17, vcc
	v_cndmask_b32_e32 v4, v16, v5, vcc
	v_add_u32_e32 v16, 20, v23
	v_lshlrev_b64 v[16:17], v16, -1
	v_add_u32_e32 v20, 19, v23
	v_lshlrev_b64 v[24:25], v20, 1
	v_mov_b32_e32 v5, v51
	v_bfi_b32 v17, v17, 0, 0
	v_bfi_b32 v16, v16, 0, v4
	v_cmp_eq_u64_e64 s[28:29], v[16:17], v[24:25]
	v_lshrrev_b64 v[16:17], v23, v[4:5]
	v_mov_b32_e32 v4, v16
	v_mov_b32_e32 v5, v17
	s_and_saveexec_b64 s[38:39], s[28:29]
; %bb.6902:                             ;   in Loop: Header=BB6_4406 Depth=4
	v_bfe_u32 v4, v16, 20, 1
	v_add_co_u32_e64 v4, s[28:29], v16, v4
	v_add_co_u32_e64 v4, s[28:29], -1, v4
; %bb.6903:                             ;   in Loop: Header=BB6_4406 Depth=4
	s_or_b64 exec, exec, s[38:39]
	v_add_u32_e32 v5, 0xffffff81, v22
	v_mov_b32_e32 v17, 0xffffff82
	v_cndmask_b32_e32 v5, v5, v17, vcc
	v_lshrrev_b32_e32 v17, 23, v16
	v_add3_u32 v22, v23, v5, v17
	v_add_u32_e32 v5, 6, v22
	v_and_b32_e32 v4, 0xfffff, v4
	v_add_u32_e32 v16, v4, v16
	v_mov_b32_e32 v17, v51
	v_cmp_ne_u32_e32 vcc, 0, v5
                                        ; implicit-def: $vgpr4
	s_and_saveexec_b64 s[28:29], vcc
	s_xor_b64 s[28:29], exec, s[28:29]
; %bb.6904:                             ;   in Loop: Header=BB6_4406 Depth=4
	v_cmp_lt_u64_e32 vcc, s[88:89], v[16:17]
	v_add_u32_e32 v4, 7, v22
	v_cndmask_b32_e32 v4, v5, v4, vcc
	v_cndmask_b32_e64 v5, 0, 1, vcc
	v_lshrrev_b64 v[16:17], v5, v[16:17]
; %bb.6905:                             ;   in Loop: Header=BB6_4406 Depth=4
	s_andn2_saveexec_b64 s[28:29], s[28:29]
; %bb.6906:                             ;   in Loop: Header=BB6_4406 Depth=4
	v_bfe_u32 v4, v16, 23, 1
; %bb.6907:                             ;   in Loop: Header=BB6_4406 Depth=4
	s_or_b64 exec, exec, s[28:29]
	v_lshrrev_b64 v[16:17], 20, v[16:17]
	v_cmp_gt_i32_e32 vcc, 16, v4
	v_cndmask_b32_e32 v17, 0, v17, vcc
	v_cndmask_b32_e32 v16, 7, v16, vcc
	v_cmp_eq_u32_e32 vcc, 0, v4
	v_min_i32_e32 v4, 15, v4
	v_cmp_eq_u64_e64 s[28:29], 0, v[16:17]
	v_lshlrev_b32_e32 v4, 3, v4
	v_and_b32_e32 v4, 0xf8, v4
	v_and_or_b32 v4, v16, 7, v4
	s_and_b64 s[28:29], vcc, s[28:29]
	v_cndmask_b32_e64 v4, v4, 0, s[28:29]
	v_or_b32_e32 v17, v4, v3
.LBB6_6908:                             ;   in Loop: Header=BB6_4406 Depth=4
	s_or_b64 exec, exec, s[36:37]
                                        ; implicit-def: $vgpr3
.LBB6_6909:                             ;   in Loop: Header=BB6_4406 Depth=4
	s_andn2_saveexec_b64 s[28:29], s[34:35]
; %bb.6910:                             ;   in Loop: Header=BB6_4406 Depth=4
	v_or_b32_e32 v17, 0x7e, v3
; %bb.6911:                             ;   in Loop: Header=BB6_4406 Depth=4
	s_or_b64 exec, exec, s[28:29]
                                        ; implicit-def: $vgpr4
.LBB6_6912:                             ;   in Loop: Header=BB6_4406 Depth=4
	s_andn2_saveexec_b64 s[28:29], s[30:31]
; %bb.6913:                             ;   in Loop: Header=BB6_4406 Depth=4
	v_or_b32_sdwa v17, v4, s86 dst_sel:DWORD dst_unused:UNUSED_PAD src0_sel:BYTE_3 src1_sel:DWORD
; %bb.6914:                             ;   in Loop: Header=BB6_4406 Depth=4
	s_or_b64 exec, exec, s[28:29]
	v_cmp_lt_u32_e32 vcc, s57, v50
	v_mov_b32_e32 v3, 0
	v_mov_b32_e32 v4, 0
	s_and_saveexec_b64 s[28:29], vcc
	s_cbranch_execz .LBB6_6920
; %bb.6915:                             ;   in Loop: Header=BB6_4406 Depth=4
	v_lshrrev_b32_e32 v16, 24, v50
	v_cmp_ne_u32_sdwa vcc, v50, s96 src0_sel:BYTE_3 src1_sel:DWORD
	v_bfrev_b32_e32 v4, 1
	s_and_saveexec_b64 s[30:31], vcc
	s_cbranch_execz .LBB6_6919
; %bb.6916:                             ;   in Loop: Header=BB6_4406 Depth=4
	v_bfe_u32 v5, v50, 24, 7
	v_cmp_ne_u32_e32 vcc, s86, v5
	v_mov_b32_e32 v4, 0x7f800001
	s_and_saveexec_b64 s[34:35], vcc
	s_cbranch_execz .LBB6_6918
; %bb.6917:                             ;   in Loop: Header=BB6_4406 Depth=4
	v_and_b32_e32 v20, 7, v16
	v_ffbh_u32_e32 v4, v20
	v_min_u32_e32 v22, 32, v4
	v_subrev_u32_e32 v4, 28, v22
	v_lshrrev_b32_e32 v21, 3, v5
	v_cmp_gt_u32_e32 vcc, 8, v5
	v_lshlrev_b64 v[4:5], v4, v[16:17]
	v_sub_u32_e32 v5, 29, v22
	v_and_b32_e32 v4, 7, v4
	v_mov_b32_e32 v16, 24
	v_cndmask_b32_e32 v5, v21, v5, vcc
	v_cndmask_b32_e32 v4, v20, v4, vcc
	v_lshlrev_b32_sdwa v16, v16, v50 dst_sel:DWORD dst_unused:UNUSED_PAD src0_sel:DWORD src1_sel:BYTE_3
	v_bfrev_b32_e32 v20, 60
	v_lshlrev_b32_e32 v4, 20, v4
	v_and_b32_e32 v16, 0x80000000, v16
	v_lshl_add_u32 v5, v5, 23, v20
	v_or3_b32 v4, v16, v5, v4
.LBB6_6918:                             ;   in Loop: Header=BB6_4406 Depth=4
	s_or_b64 exec, exec, s[34:35]
.LBB6_6919:                             ;   in Loop: Header=BB6_4406 Depth=4
	s_or_b64 exec, exec, s[30:31]
.LBB6_6920:                             ;   in Loop: Header=BB6_4406 Depth=4
	s_or_b64 exec, exec, s[28:29]
	v_cmp_lt_u64_e32 vcc, s[56:57], v[12:13]
	s_and_saveexec_b64 s[28:29], vcc
	s_cbranch_execz .LBB6_6926
; %bb.6921:                             ;   in Loop: Header=BB6_4406 Depth=4
	v_lshrrev_b32_e32 v12, 24, v13
	v_cmp_ne_u32_e32 vcc, s96, v12
	v_bfrev_b32_e32 v3, 1
	s_and_saveexec_b64 s[30:31], vcc
	s_cbranch_execz .LBB6_6925
; %bb.6922:                             ;   in Loop: Header=BB6_4406 Depth=4
	v_bfe_u32 v5, v13, 24, 7
	v_cmp_ne_u32_e32 vcc, s86, v5
	v_mov_b32_e32 v3, 0x7f800001
	s_and_saveexec_b64 s[34:35], vcc
	s_cbranch_execz .LBB6_6924
; %bb.6923:                             ;   in Loop: Header=BB6_4406 Depth=4
	v_and_b32_e32 v3, 7, v12
	v_lshrrev_b32_e32 v13, 3, v5
	v_cmp_gt_u32_e32 vcc, 8, v5
	v_ffbh_u32_e32 v5, v3
	v_min_u32_e32 v5, 32, v5
	v_subrev_u32_e32 v16, 28, v5
	v_lshlrev_b64 v[22:23], v16, v[12:13]
	v_sub_u32_e32 v5, 29, v5
	v_and_b32_e32 v16, 7, v22
	v_cndmask_b32_e32 v5, v13, v5, vcc
	v_cndmask_b32_e32 v3, v3, v16, vcc
	v_lshlrev_b32_e32 v12, 24, v12
	v_bfrev_b32_e32 v13, 60
	v_lshlrev_b32_e32 v3, 20, v3
	v_and_b32_e32 v12, 0x80000000, v12
	v_lshl_add_u32 v5, v5, 23, v13
	v_or3_b32 v3, v12, v5, v3
.LBB6_6924:                             ;   in Loop: Header=BB6_4406 Depth=4
	s_or_b64 exec, exec, s[34:35]
.LBB6_6925:                             ;   in Loop: Header=BB6_4406 Depth=4
	s_or_b64 exec, exec, s[30:31]
.LBB6_6926:                             ;   in Loop: Header=BB6_4406 Depth=4
	s_or_b64 exec, exec, s[28:29]
	v_add_f32_e32 v4, v4, v3
	v_and_b32_e32 v50, 0x7f800000, v4
	v_cmp_ne_u64_e32 vcc, s[76:77], v[50:51]
                                        ; implicit-def: $vgpr16
	s_and_saveexec_b64 s[28:29], vcc
	s_xor_b64 s[30:31], exec, s[28:29]
	s_cbranch_execz .LBB6_6940
; %bb.6927:                             ;   in Loop: Header=BB6_4406 Depth=4
	v_and_b32_e32 v50, 0x7fffffff, v4
	v_cmp_gt_u64_e32 vcc, s[78:79], v[50:51]
	v_and_b32_sdwa v3, v4, s96 dst_sel:DWORD dst_unused:UNUSED_PAD src0_sel:BYTE_3 src1_sel:DWORD
                                        ; implicit-def: $vgpr16
	s_and_saveexec_b64 s[28:29], vcc
	s_xor_b64 s[34:35], exec, s[28:29]
	s_cbranch_execz .LBB6_6937
; %bb.6928:                             ;   in Loop: Header=BB6_4406 Depth=4
	v_mov_b32_e32 v16, 0
	v_cmp_ne_u32_e32 vcc, 0, v4
	s_and_saveexec_b64 s[36:37], vcc
	s_cbranch_execz .LBB6_6936
; %bb.6929:                             ;   in Loop: Header=BB6_4406 Depth=4
	v_bfe_u32 v16, v4, 23, 8
	v_and_b32_e32 v5, 0x7fffff, v4
	v_cmp_gt_u32_e64 s[28:29], s97, v16
	v_sub_u32_e32 v4, 0x79, v16
	v_cmp_eq_u32_e32 vcc, 0, v16
	v_cndmask_b32_e64 v4, 0, v4, s[28:29]
	v_mov_b32_e32 v13, 0x78
	v_cndmask_b32_e32 v22, v4, v13, vcc
	v_or_b32_e32 v12, 0x800000, v5
	v_add_u32_e32 v4, 20, v22
	v_cndmask_b32_e32 v50, v12, v5, vcc
	v_lshlrev_b64 v[4:5], v4, -1
	v_add_u32_e32 v12, 19, v22
	v_lshlrev_b64 v[12:13], v12, 1
	v_bfi_b32 v5, v5, 0, 0
	v_bfi_b32 v4, v4, 0, v50
	v_cmp_eq_u64_e64 s[28:29], v[4:5], v[12:13]
	v_lshrrev_b64 v[12:13], v22, v[50:51]
	v_mov_b32_e32 v4, v12
	v_mov_b32_e32 v5, v13
	s_and_saveexec_b64 s[38:39], s[28:29]
; %bb.6930:                             ;   in Loop: Header=BB6_4406 Depth=4
	v_bfe_u32 v4, v12, 20, 1
	v_add_co_u32_e64 v4, s[28:29], v12, v4
	v_add_co_u32_e64 v4, s[28:29], -1, v4
; %bb.6931:                             ;   in Loop: Header=BB6_4406 Depth=4
	s_or_b64 exec, exec, s[38:39]
	v_add_u32_e32 v5, 0xffffff81, v16
	v_mov_b32_e32 v13, 0xffffff82
	v_cndmask_b32_e32 v5, v5, v13, vcc
	v_lshrrev_b32_e32 v13, 23, v12
	v_add3_u32 v16, v22, v5, v13
	v_add_u32_e32 v5, 6, v16
	v_and_b32_e32 v4, 0xfffff, v4
	v_add_u32_e32 v50, v4, v12
	v_cmp_ne_u32_e32 vcc, 0, v5
                                        ; implicit-def: $vgpr12_vgpr13
                                        ; implicit-def: $vgpr4
	s_and_saveexec_b64 s[28:29], vcc
	s_xor_b64 s[28:29], exec, s[28:29]
; %bb.6932:                             ;   in Loop: Header=BB6_4406 Depth=4
	v_cmp_lt_u64_e32 vcc, s[88:89], v[50:51]
	v_add_u32_e32 v4, 7, v16
	v_cndmask_b32_e32 v4, v5, v4, vcc
	v_cndmask_b32_e64 v5, 0, 1, vcc
	v_lshrrev_b64 v[12:13], v5, v[50:51]
; %bb.6933:                             ;   in Loop: Header=BB6_4406 Depth=4
	s_andn2_saveexec_b64 s[28:29], s[28:29]
; %bb.6934:                             ;   in Loop: Header=BB6_4406 Depth=4
	v_mov_b32_e32 v12, v50
	v_bfe_u32 v4, v50, 23, 1
	v_mov_b32_e32 v13, v51
; %bb.6935:                             ;   in Loop: Header=BB6_4406 Depth=4
	s_or_b64 exec, exec, s[28:29]
	v_lshrrev_b64 v[12:13], 20, v[12:13]
	v_cmp_gt_i32_e32 vcc, 16, v4
	v_cndmask_b32_e32 v13, 0, v13, vcc
	v_cndmask_b32_e32 v12, 7, v12, vcc
	v_cmp_eq_u32_e32 vcc, 0, v4
	v_min_i32_e32 v4, 15, v4
	v_cmp_eq_u64_e64 s[28:29], 0, v[12:13]
	v_lshlrev_b32_e32 v4, 3, v4
	v_and_b32_e32 v4, 0xf8, v4
	v_and_or_b32 v4, v12, 7, v4
	s_and_b64 s[28:29], vcc, s[28:29]
	v_cndmask_b32_e64 v4, v4, 0, s[28:29]
	v_or_b32_e32 v16, v4, v3
.LBB6_6936:                             ;   in Loop: Header=BB6_4406 Depth=4
	s_or_b64 exec, exec, s[36:37]
                                        ; implicit-def: $vgpr3
.LBB6_6937:                             ;   in Loop: Header=BB6_4406 Depth=4
	s_andn2_saveexec_b64 s[28:29], s[34:35]
; %bb.6938:                             ;   in Loop: Header=BB6_4406 Depth=4
	v_or_b32_e32 v16, 0x7e, v3
; %bb.6939:                             ;   in Loop: Header=BB6_4406 Depth=4
	s_or_b64 exec, exec, s[28:29]
                                        ; implicit-def: $vgpr4
.LBB6_6940:                             ;   in Loop: Header=BB6_4406 Depth=4
	s_andn2_saveexec_b64 s[28:29], s[30:31]
; %bb.6941:                             ;   in Loop: Header=BB6_4406 Depth=4
	v_or_b32_sdwa v16, v4, s86 dst_sel:DWORD dst_unused:UNUSED_PAD src0_sel:BYTE_3 src1_sel:DWORD
; %bb.6942:                             ;   in Loop: Header=BB6_4406 Depth=4
	s_or_b64 exec, exec, s[28:29]
	buffer_load_dword v3, off, s[0:3], s33 offset:164 ; 4-byte Folded Reload
	buffer_load_dword v4, off, s[0:3], s33 offset:184 ; 4-byte Folded Reload
	;; [unrolled: 1-line block ×3, first 2 shown]
	v_cmp_ne_u32_e32 vcc, 0, v40
	s_waitcnt vmcnt(2)
	v_lshl_or_b32 v3, v3, 8, v40
	s_waitcnt vmcnt(1)
	v_lshlrev_b32_e32 v4, 16, v4
	s_waitcnt vmcnt(0)
	v_lshlrev_b32_e32 v5, 24, v5
	v_or3_b32 v50, v4, v5, v3
	v_mov_b32_e32 v4, 0
	v_mov_b32_e32 v5, 0
	s_and_saveexec_b64 s[28:29], vcc
	s_cbranch_execz .LBB6_6948
; %bb.6943:                             ;   in Loop: Header=BB6_4406 Depth=4
	v_cmp_ne_u32_e32 vcc, s96, v40
	v_bfrev_b32_e32 v5, 1
	s_and_saveexec_b64 s[30:31], vcc
	s_cbranch_execz .LBB6_6947
; %bb.6944:                             ;   in Loop: Header=BB6_4406 Depth=4
	v_and_b32_e32 v12, 0x7f, v40
	v_cmp_ne_u32_e32 vcc, s86, v12
	v_mov_b32_e32 v5, 0x7f800001
	s_and_saveexec_b64 s[34:35], vcc
	s_cbranch_execz .LBB6_6946
; %bb.6945:                             ;   in Loop: Header=BB6_4406 Depth=4
	v_and_b32_e32 v5, 7, v40
	v_ffbh_u32_e32 v5, v5
	v_min_u32_e32 v5, 32, v5
	v_lshrrev_b32_e32 v13, 3, v12
	v_cmp_gt_u32_e32 vcc, 8, v12
	v_subrev_u32_e32 v12, 28, v5
	v_sub_u32_e32 v5, 29, v5
	v_cndmask_b32_e32 v12, 0, v12, vcc
	v_cndmask_b32_e32 v5, v13, v5, vcc
	v_lshlrev_b64 v[12:13], v12, v[50:51]
	v_lshlrev_b32_e32 v13, 24, v50
	v_lshlrev_b32_e32 v12, 20, v12
	v_bfrev_b32_e32 v20, 60
	v_and_b32_e32 v12, 0x700000, v12
	v_and_b32_e32 v13, 0x80000000, v13
	v_lshl_add_u32 v5, v5, 23, v20
	v_or3_b32 v5, v13, v5, v12
.LBB6_6946:                             ;   in Loop: Header=BB6_4406 Depth=4
	s_or_b64 exec, exec, s[34:35]
.LBB6_6947:                             ;   in Loop: Header=BB6_4406 Depth=4
	s_or_b64 exec, exec, s[30:31]
.LBB6_6948:                             ;   in Loop: Header=BB6_4406 Depth=4
	s_or_b64 exec, exec, s[28:29]
	v_cmp_ne_u16_sdwa vcc, v14, v51 src0_sel:BYTE_0 src1_sel:DWORD
	s_and_saveexec_b64 s[28:29], vcc
	s_cbranch_execz .LBB6_6954
; %bb.6949:                             ;   in Loop: Header=BB6_4406 Depth=4
	v_cmp_ne_u16_sdwa vcc, v14, s96 src0_sel:BYTE_0 src1_sel:DWORD
	v_bfrev_b32_e32 v4, 1
	s_and_saveexec_b64 s[30:31], vcc
	s_cbranch_execz .LBB6_6953
; %bb.6950:                             ;   in Loop: Header=BB6_4406 Depth=4
	v_and_b32_e32 v12, 0x7f, v14
	v_cmp_ne_u32_e32 vcc, s86, v12
	v_mov_b32_e32 v4, 0x7f800001
	s_and_saveexec_b64 s[34:35], vcc
	s_cbranch_execz .LBB6_6952
; %bb.6951:                             ;   in Loop: Header=BB6_4406 Depth=4
	v_and_b32_e32 v4, 7, v14
	v_ffbh_u32_e32 v4, v4
	v_min_u32_e32 v4, 32, v4
	v_lshrrev_b32_e32 v13, 3, v12
	v_cmp_gt_u32_e32 vcc, 8, v12
	v_subrev_u32_e32 v12, 28, v4
	v_sub_u32_e32 v4, 29, v4
	v_cndmask_b32_e32 v12, 0, v12, vcc
	v_cndmask_b32_e32 v4, v13, v4, vcc
	v_lshlrev_b64 v[12:13], v12, v[14:15]
	v_lshlrev_b32_e32 v13, 24, v14
	v_lshlrev_b32_e32 v12, 20, v12
	v_bfrev_b32_e32 v20, 60
	v_and_b32_e32 v12, 0x700000, v12
	v_and_b32_e32 v13, 0x80000000, v13
	v_lshl_add_u32 v4, v4, 23, v20
	v_or3_b32 v4, v13, v4, v12
.LBB6_6952:                             ;   in Loop: Header=BB6_4406 Depth=4
	s_or_b64 exec, exec, s[34:35]
.LBB6_6953:                             ;   in Loop: Header=BB6_4406 Depth=4
	s_or_b64 exec, exec, s[30:31]
.LBB6_6954:                             ;   in Loop: Header=BB6_4406 Depth=4
	s_or_b64 exec, exec, s[28:29]
	v_add_f32_e32 v4, v5, v4
	v_and_b32_e32 v12, 0x7f800000, v4
	v_mov_b32_e32 v13, v51
	v_cmp_ne_u64_e32 vcc, s[76:77], v[12:13]
                                        ; implicit-def: $vgpr40
	s_and_saveexec_b64 s[28:29], vcc
	s_xor_b64 s[30:31], exec, s[28:29]
	s_cbranch_execz .LBB6_6968
; %bb.6955:                             ;   in Loop: Header=BB6_4406 Depth=4
	v_and_b32_e32 v12, 0x7fffffff, v4
	v_mov_b32_e32 v13, v51
	v_cmp_gt_u64_e32 vcc, s[78:79], v[12:13]
	v_and_b32_sdwa v22, v4, s96 dst_sel:DWORD dst_unused:UNUSED_PAD src0_sel:BYTE_3 src1_sel:DWORD
                                        ; implicit-def: $vgpr40
	s_and_saveexec_b64 s[28:29], vcc
	s_xor_b64 s[34:35], exec, s[28:29]
	s_cbranch_execz .LBB6_6965
; %bb.6956:                             ;   in Loop: Header=BB6_4406 Depth=4
	v_mov_b32_e32 v40, 0
	v_cmp_ne_u32_e32 vcc, 0, v4
	s_and_saveexec_b64 s[36:37], vcc
	s_cbranch_execz .LBB6_6964
; %bb.6957:                             ;   in Loop: Header=BB6_4406 Depth=4
	v_bfe_u32 v23, v4, 23, 8
	v_and_b32_e32 v5, 0x7fffff, v4
	v_cmp_gt_u32_e64 s[28:29], s97, v23
	v_sub_u32_e32 v4, 0x79, v23
	v_cmp_eq_u32_e32 vcc, 0, v23
	v_cndmask_b32_e64 v4, 0, v4, s[28:29]
	v_mov_b32_e32 v13, 0x78
	v_or_b32_e32 v12, 0x800000, v5
	v_cndmask_b32_e32 v24, v4, v13, vcc
	v_cndmask_b32_e32 v4, v12, v5, vcc
	v_add_u32_e32 v12, 20, v24
	v_lshlrev_b64 v[12:13], v12, -1
	v_add_u32_e32 v20, 19, v24
	v_lshlrev_b64 v[38:39], v20, 1
	v_mov_b32_e32 v5, v51
	v_bfi_b32 v13, v13, 0, 0
	v_bfi_b32 v12, v12, 0, v4
	v_cmp_eq_u64_e64 s[28:29], v[12:13], v[38:39]
	v_lshrrev_b64 v[12:13], v24, v[4:5]
	v_mov_b32_e32 v4, v12
	v_mov_b32_e32 v5, v13
	s_and_saveexec_b64 s[38:39], s[28:29]
; %bb.6958:                             ;   in Loop: Header=BB6_4406 Depth=4
	v_bfe_u32 v4, v12, 20, 1
	v_add_co_u32_e64 v4, s[28:29], v12, v4
	v_add_co_u32_e64 v4, s[28:29], -1, v4
; %bb.6959:                             ;   in Loop: Header=BB6_4406 Depth=4
	s_or_b64 exec, exec, s[38:39]
	v_add_u32_e32 v5, 0xffffff81, v23
	v_mov_b32_e32 v13, 0xffffff82
	v_cndmask_b32_e32 v5, v5, v13, vcc
	v_lshrrev_b32_e32 v13, 23, v12
	v_add3_u32 v23, v24, v5, v13
	v_add_u32_e32 v5, 6, v23
	v_and_b32_e32 v4, 0xfffff, v4
	v_add_u32_e32 v12, v4, v12
	v_mov_b32_e32 v13, v51
	v_cmp_ne_u32_e32 vcc, 0, v5
                                        ; implicit-def: $vgpr4
	s_and_saveexec_b64 s[28:29], vcc
	s_xor_b64 s[28:29], exec, s[28:29]
; %bb.6960:                             ;   in Loop: Header=BB6_4406 Depth=4
	v_cmp_lt_u64_e32 vcc, s[88:89], v[12:13]
	v_add_u32_e32 v4, 7, v23
	v_cndmask_b32_e32 v4, v5, v4, vcc
	v_cndmask_b32_e64 v5, 0, 1, vcc
	v_lshrrev_b64 v[12:13], v5, v[12:13]
; %bb.6961:                             ;   in Loop: Header=BB6_4406 Depth=4
	s_andn2_saveexec_b64 s[28:29], s[28:29]
; %bb.6962:                             ;   in Loop: Header=BB6_4406 Depth=4
	v_bfe_u32 v4, v12, 23, 1
; %bb.6963:                             ;   in Loop: Header=BB6_4406 Depth=4
	s_or_b64 exec, exec, s[28:29]
	v_lshrrev_b64 v[12:13], 20, v[12:13]
	v_cmp_gt_i32_e32 vcc, 16, v4
	v_cndmask_b32_e32 v13, 0, v13, vcc
	v_cndmask_b32_e32 v12, 7, v12, vcc
	v_cmp_eq_u32_e32 vcc, 0, v4
	v_min_i32_e32 v4, 15, v4
	v_cmp_eq_u64_e64 s[28:29], 0, v[12:13]
	v_lshlrev_b32_e32 v4, 3, v4
	v_and_b32_e32 v4, 0xf8, v4
	v_and_or_b32 v4, v12, 7, v4
	s_and_b64 s[28:29], vcc, s[28:29]
	v_cndmask_b32_e64 v4, v4, 0, s[28:29]
	v_or_b32_e32 v40, v4, v22
.LBB6_6964:                             ;   in Loop: Header=BB6_4406 Depth=4
	s_or_b64 exec, exec, s[36:37]
                                        ; implicit-def: $vgpr22
.LBB6_6965:                             ;   in Loop: Header=BB6_4406 Depth=4
	s_andn2_saveexec_b64 s[28:29], s[34:35]
; %bb.6966:                             ;   in Loop: Header=BB6_4406 Depth=4
	v_or_b32_e32 v40, 0x7e, v22
; %bb.6967:                             ;   in Loop: Header=BB6_4406 Depth=4
	s_or_b64 exec, exec, s[28:29]
                                        ; implicit-def: $vgpr4
.LBB6_6968:                             ;   in Loop: Header=BB6_4406 Depth=4
	s_andn2_saveexec_b64 s[28:29], s[30:31]
; %bb.6969:                             ;   in Loop: Header=BB6_4406 Depth=4
	v_or_b32_sdwa v40, v4, s86 dst_sel:DWORD dst_unused:UNUSED_PAD src0_sel:BYTE_3 src1_sel:DWORD
; %bb.6970:                             ;   in Loop: Header=BB6_4406 Depth=4
	s_or_b64 exec, exec, s[28:29]
	v_lshrrev_b16_e32 v12, 8, v3
	v_cmp_ne_u16_e32 vcc, 0, v12
	v_mov_b32_e32 v4, 0
	v_mov_b32_e32 v5, 0
	s_and_saveexec_b64 s[28:29], vcc
	s_cbranch_execz .LBB6_6976
; %bb.6971:                             ;   in Loop: Header=BB6_4406 Depth=4
	v_cmp_ne_u16_e32 vcc, s96, v12
	v_bfrev_b32_e32 v5, 1
	s_and_saveexec_b64 s[30:31], vcc
	s_cbranch_execz .LBB6_6975
; %bb.6972:                             ;   in Loop: Header=BB6_4406 Depth=4
	v_and_b32_e32 v13, 0x7f, v12
	v_cmp_ne_u32_e32 vcc, s86, v13
	v_mov_b32_e32 v5, 0x7f800001
	s_and_saveexec_b64 s[34:35], vcc
	s_cbranch_execz .LBB6_6974
; %bb.6973:                             ;   in Loop: Header=BB6_4406 Depth=4
	v_and_b32_e32 v5, 7, v12
	v_lshrrev_b32_e32 v20, 3, v13
	v_cmp_gt_u32_e32 vcc, 8, v13
	v_ffbh_u32_e32 v13, v5
	v_min_u32_e32 v21, 32, v13
	v_subrev_u32_e32 v13, 28, v21
	v_lshlrev_b64 v[12:13], v13, v[12:13]
	v_sub_u32_e32 v13, 29, v21
	v_and_b32_e32 v12, 7, v12
	v_cndmask_b32_e32 v13, v20, v13, vcc
	v_cndmask_b32_e32 v5, v5, v12, vcc
	v_lshlrev_b32_e32 v3, 16, v3
	v_bfrev_b32_e32 v12, 60
	v_lshlrev_b32_e32 v5, 20, v5
	v_and_b32_e32 v3, 0x80000000, v3
	v_lshl_add_u32 v12, v13, 23, v12
	v_or3_b32 v5, v3, v12, v5
.LBB6_6974:                             ;   in Loop: Header=BB6_4406 Depth=4
	s_or_b64 exec, exec, s[34:35]
.LBB6_6975:                             ;   in Loop: Header=BB6_4406 Depth=4
	s_or_b64 exec, exec, s[30:31]
.LBB6_6976:                             ;   in Loop: Header=BB6_4406 Depth=4
	s_or_b64 exec, exec, s[28:29]
	v_lshrrev_b16_e32 v12, 8, v14
	v_cmp_ne_u16_e32 vcc, 0, v12
	s_and_saveexec_b64 s[28:29], vcc
	s_cbranch_execz .LBB6_6982
; %bb.6977:                             ;   in Loop: Header=BB6_4406 Depth=4
	v_cmp_ne_u16_e32 vcc, s96, v12
	v_bfrev_b32_e32 v4, 1
	s_and_saveexec_b64 s[30:31], vcc
	s_cbranch_execz .LBB6_6981
; %bb.6978:                             ;   in Loop: Header=BB6_4406 Depth=4
	v_and_b32_e32 v3, 0x7f, v12
	v_cmp_ne_u32_e32 vcc, s86, v3
	v_mov_b32_e32 v4, 0x7f800001
	s_and_saveexec_b64 s[34:35], vcc
	s_cbranch_execz .LBB6_6980
; %bb.6979:                             ;   in Loop: Header=BB6_4406 Depth=4
	v_and_b32_e32 v13, 7, v12
	v_lshrrev_b32_e32 v20, 3, v3
	v_cmp_gt_u32_e32 vcc, 8, v3
	v_ffbh_u32_e32 v3, v13
	v_min_u32_e32 v21, 32, v3
	v_subrev_u32_e32 v3, 28, v21
	v_lshlrev_b64 v[3:4], v3, v[12:13]
	v_sub_u32_e32 v4, 29, v21
	v_and_b32_e32 v3, 7, v3
	v_cndmask_b32_e32 v4, v20, v4, vcc
	v_cndmask_b32_e32 v3, v13, v3, vcc
	v_lshlrev_b32_e32 v12, 16, v14
	v_bfrev_b32_e32 v13, 60
	v_lshlrev_b32_e32 v3, 20, v3
	v_and_b32_e32 v12, 0x80000000, v12
	v_lshl_add_u32 v4, v4, 23, v13
	v_or3_b32 v4, v12, v4, v3
.LBB6_6980:                             ;   in Loop: Header=BB6_4406 Depth=4
	s_or_b64 exec, exec, s[34:35]
.LBB6_6981:                             ;   in Loop: Header=BB6_4406 Depth=4
	s_or_b64 exec, exec, s[30:31]
.LBB6_6982:                             ;   in Loop: Header=BB6_4406 Depth=4
	s_or_b64 exec, exec, s[28:29]
	v_add_f32_e32 v4, v5, v4
	v_and_b32_e32 v12, 0x7f800000, v4
	v_mov_b32_e32 v13, v51
	v_cmp_ne_u64_e32 vcc, s[76:77], v[12:13]
                                        ; implicit-def: $vgpr47
	s_and_saveexec_b64 s[28:29], vcc
	s_xor_b64 s[30:31], exec, s[28:29]
	s_cbranch_execz .LBB6_6996
; %bb.6983:                             ;   in Loop: Header=BB6_4406 Depth=4
	v_and_b32_e32 v12, 0x7fffffff, v4
	v_mov_b32_e32 v13, v51
	v_cmp_gt_u64_e32 vcc, s[78:79], v[12:13]
	v_and_b32_sdwa v3, v4, s96 dst_sel:DWORD dst_unused:UNUSED_PAD src0_sel:BYTE_3 src1_sel:DWORD
                                        ; implicit-def: $vgpr47
	s_and_saveexec_b64 s[28:29], vcc
	s_xor_b64 s[34:35], exec, s[28:29]
	s_cbranch_execz .LBB6_6993
; %bb.6984:                             ;   in Loop: Header=BB6_4406 Depth=4
	v_mov_b32_e32 v47, 0
	v_cmp_ne_u32_e32 vcc, 0, v4
	s_and_saveexec_b64 s[36:37], vcc
	s_cbranch_execz .LBB6_6992
; %bb.6985:                             ;   in Loop: Header=BB6_4406 Depth=4
	v_bfe_u32 v22, v4, 23, 8
	v_and_b32_e32 v5, 0x7fffff, v4
	v_cmp_gt_u32_e64 s[28:29], s97, v22
	v_sub_u32_e32 v4, 0x79, v22
	v_cmp_eq_u32_e32 vcc, 0, v22
	v_cndmask_b32_e64 v4, 0, v4, s[28:29]
	v_mov_b32_e32 v13, 0x78
	v_or_b32_e32 v12, 0x800000, v5
	v_cndmask_b32_e32 v23, v4, v13, vcc
	v_cndmask_b32_e32 v4, v12, v5, vcc
	v_add_u32_e32 v12, 20, v23
	v_lshlrev_b64 v[12:13], v12, -1
	v_add_u32_e32 v20, 19, v23
	v_lshlrev_b64 v[24:25], v20, 1
	v_mov_b32_e32 v5, v51
	v_bfi_b32 v13, v13, 0, 0
	v_bfi_b32 v12, v12, 0, v4
	v_cmp_eq_u64_e64 s[28:29], v[12:13], v[24:25]
	v_lshrrev_b64 v[12:13], v23, v[4:5]
	v_mov_b32_e32 v4, v12
	v_mov_b32_e32 v5, v13
	s_and_saveexec_b64 s[38:39], s[28:29]
; %bb.6986:                             ;   in Loop: Header=BB6_4406 Depth=4
	v_bfe_u32 v4, v12, 20, 1
	v_add_co_u32_e64 v4, s[28:29], v12, v4
	v_add_co_u32_e64 v4, s[28:29], -1, v4
; %bb.6987:                             ;   in Loop: Header=BB6_4406 Depth=4
	s_or_b64 exec, exec, s[38:39]
	v_add_u32_e32 v5, 0xffffff81, v22
	v_mov_b32_e32 v13, 0xffffff82
	v_cndmask_b32_e32 v5, v5, v13, vcc
	v_lshrrev_b32_e32 v13, 23, v12
	v_add3_u32 v22, v23, v5, v13
	v_add_u32_e32 v5, 6, v22
	v_and_b32_e32 v4, 0xfffff, v4
	v_add_u32_e32 v12, v4, v12
	v_mov_b32_e32 v13, v51
	v_cmp_ne_u32_e32 vcc, 0, v5
                                        ; implicit-def: $vgpr4
	s_and_saveexec_b64 s[28:29], vcc
	s_xor_b64 s[28:29], exec, s[28:29]
; %bb.6988:                             ;   in Loop: Header=BB6_4406 Depth=4
	v_cmp_lt_u64_e32 vcc, s[88:89], v[12:13]
	v_add_u32_e32 v4, 7, v22
	v_cndmask_b32_e32 v4, v5, v4, vcc
	v_cndmask_b32_e64 v5, 0, 1, vcc
	v_lshrrev_b64 v[12:13], v5, v[12:13]
; %bb.6989:                             ;   in Loop: Header=BB6_4406 Depth=4
	s_andn2_saveexec_b64 s[28:29], s[28:29]
; %bb.6990:                             ;   in Loop: Header=BB6_4406 Depth=4
	v_bfe_u32 v4, v12, 23, 1
; %bb.6991:                             ;   in Loop: Header=BB6_4406 Depth=4
	s_or_b64 exec, exec, s[28:29]
	v_lshrrev_b64 v[12:13], 20, v[12:13]
	v_cmp_gt_i32_e32 vcc, 16, v4
	v_cndmask_b32_e32 v13, 0, v13, vcc
	v_cndmask_b32_e32 v12, 7, v12, vcc
	v_cmp_eq_u32_e32 vcc, 0, v4
	v_min_i32_e32 v4, 15, v4
	v_cmp_eq_u64_e64 s[28:29], 0, v[12:13]
	v_lshlrev_b32_e32 v4, 3, v4
	v_and_b32_e32 v4, 0xf8, v4
	v_and_or_b32 v4, v12, 7, v4
	s_and_b64 s[28:29], vcc, s[28:29]
	v_cndmask_b32_e64 v4, v4, 0, s[28:29]
	v_or_b32_e32 v47, v4, v3
.LBB6_6992:                             ;   in Loop: Header=BB6_4406 Depth=4
	s_or_b64 exec, exec, s[36:37]
                                        ; implicit-def: $vgpr3
.LBB6_6993:                             ;   in Loop: Header=BB6_4406 Depth=4
	s_andn2_saveexec_b64 s[28:29], s[34:35]
; %bb.6994:                             ;   in Loop: Header=BB6_4406 Depth=4
	v_or_b32_e32 v47, 0x7e, v3
; %bb.6995:                             ;   in Loop: Header=BB6_4406 Depth=4
	s_or_b64 exec, exec, s[28:29]
                                        ; implicit-def: $vgpr4
.LBB6_6996:                             ;   in Loop: Header=BB6_4406 Depth=4
	s_andn2_saveexec_b64 s[28:29], s[30:31]
; %bb.6997:                             ;   in Loop: Header=BB6_4406 Depth=4
	v_or_b32_sdwa v47, v4, s86 dst_sel:DWORD dst_unused:UNUSED_PAD src0_sel:BYTE_3 src1_sel:DWORD
; %bb.6998:                             ;   in Loop: Header=BB6_4406 Depth=4
	s_or_b64 exec, exec, s[28:29]
	v_lshrrev_b32_e32 v12, 16, v50
	v_cmp_ne_u16_sdwa vcc, v12, v51 src0_sel:BYTE_0 src1_sel:DWORD
	v_mov_b32_e32 v3, 0
	v_mov_b32_e32 v4, 0
	s_and_saveexec_b64 s[28:29], vcc
	s_cbranch_execz .LBB6_7004
; %bb.6999:                             ;   in Loop: Header=BB6_4406 Depth=4
	v_cmp_ne_u16_sdwa vcc, v12, s96 src0_sel:BYTE_0 src1_sel:DWORD
	v_bfrev_b32_e32 v4, 1
	s_and_saveexec_b64 s[30:31], vcc
	s_cbranch_execz .LBB6_7003
; %bb.7000:                             ;   in Loop: Header=BB6_4406 Depth=4
	v_bfe_u32 v5, v50, 16, 7
	v_cmp_ne_u32_e32 vcc, s86, v5
	v_mov_b32_e32 v4, 0x7f800001
	s_and_saveexec_b64 s[34:35], vcc
	s_cbranch_execz .LBB6_7002
; %bb.7001:                             ;   in Loop: Header=BB6_4406 Depth=4
	v_and_b32_e32 v13, 7, v12
	v_ffbh_u32_e32 v4, v13
	v_min_u32_e32 v21, 32, v4
	v_subrev_u32_e32 v4, 28, v21
	v_lshrrev_b32_e32 v20, 3, v5
	v_cmp_gt_u32_e32 vcc, 8, v5
	v_lshlrev_b64 v[4:5], v4, v[12:13]
	v_sub_u32_e32 v5, 29, v21
	v_and_b32_e32 v4, 7, v4
	v_cndmask_b32_e32 v5, v20, v5, vcc
	v_cndmask_b32_e32 v4, v13, v4, vcc
	v_lshlrev_b32_e32 v12, 24, v12
	v_bfrev_b32_e32 v13, 60
	v_lshlrev_b32_e32 v4, 20, v4
	v_and_b32_e32 v12, 0x80000000, v12
	v_lshl_add_u32 v5, v5, 23, v13
	v_or3_b32 v4, v12, v5, v4
.LBB6_7002:                             ;   in Loop: Header=BB6_4406 Depth=4
	s_or_b64 exec, exec, s[34:35]
.LBB6_7003:                             ;   in Loop: Header=BB6_4406 Depth=4
	s_or_b64 exec, exec, s[30:31]
.LBB6_7004:                             ;   in Loop: Header=BB6_4406 Depth=4
	s_or_b64 exec, exec, s[28:29]
	v_lshrrev_b32_e32 v12, 16, v14
	v_cmp_ne_u16_sdwa vcc, v12, v51 src0_sel:BYTE_0 src1_sel:DWORD
	s_and_saveexec_b64 s[28:29], vcc
	s_cbranch_execz .LBB6_7010
; %bb.7005:                             ;   in Loop: Header=BB6_4406 Depth=4
	v_cmp_ne_u16_sdwa vcc, v12, s96 src0_sel:BYTE_0 src1_sel:DWORD
	v_bfrev_b32_e32 v3, 1
	s_and_saveexec_b64 s[30:31], vcc
	s_cbranch_execz .LBB6_7009
; %bb.7006:                             ;   in Loop: Header=BB6_4406 Depth=4
	v_bfe_u32 v5, v14, 16, 7
	v_cmp_ne_u32_e32 vcc, s86, v5
	v_mov_b32_e32 v3, 0x7f800001
	s_and_saveexec_b64 s[34:35], vcc
	s_cbranch_execz .LBB6_7008
; %bb.7007:                             ;   in Loop: Header=BB6_4406 Depth=4
	v_and_b32_e32 v3, 7, v12
	v_lshrrev_b32_e32 v20, 3, v5
	v_cmp_gt_u32_e32 vcc, 8, v5
	v_ffbh_u32_e32 v5, v3
	v_min_u32_e32 v5, 32, v5
	v_subrev_u32_e32 v13, 28, v5
	v_lshlrev_b64 v[12:13], v13, v[12:13]
	v_sub_u32_e32 v5, 29, v5
	v_and_b32_e32 v12, 7, v12
	v_cndmask_b32_e32 v5, v20, v5, vcc
	v_cndmask_b32_e32 v3, v3, v12, vcc
	v_lshlrev_b32_e32 v12, 8, v14
	v_bfrev_b32_e32 v13, 60
	v_lshlrev_b32_e32 v3, 20, v3
	v_and_b32_e32 v12, 0x80000000, v12
	v_lshl_add_u32 v5, v5, 23, v13
	v_or3_b32 v3, v12, v5, v3
.LBB6_7008:                             ;   in Loop: Header=BB6_4406 Depth=4
	s_or_b64 exec, exec, s[34:35]
.LBB6_7009:                             ;   in Loop: Header=BB6_4406 Depth=4
	s_or_b64 exec, exec, s[30:31]
.LBB6_7010:                             ;   in Loop: Header=BB6_4406 Depth=4
	s_or_b64 exec, exec, s[28:29]
	v_add_f32_e32 v4, v4, v3
	v_and_b32_e32 v12, 0x7f800000, v4
	v_mov_b32_e32 v13, v51
	v_cmp_ne_u64_e32 vcc, s[76:77], v[12:13]
                                        ; implicit-def: $vgpr56
	s_and_saveexec_b64 s[28:29], vcc
	s_xor_b64 s[30:31], exec, s[28:29]
	s_cbranch_execz .LBB6_7024
; %bb.7011:                             ;   in Loop: Header=BB6_4406 Depth=4
	v_and_b32_e32 v12, 0x7fffffff, v4
	v_mov_b32_e32 v13, v51
	v_cmp_gt_u64_e32 vcc, s[78:79], v[12:13]
	v_and_b32_sdwa v3, v4, s96 dst_sel:DWORD dst_unused:UNUSED_PAD src0_sel:BYTE_3 src1_sel:DWORD
                                        ; implicit-def: $vgpr56
	s_and_saveexec_b64 s[28:29], vcc
	s_xor_b64 s[34:35], exec, s[28:29]
	s_cbranch_execz .LBB6_7021
; %bb.7012:                             ;   in Loop: Header=BB6_4406 Depth=4
	v_mov_b32_e32 v56, 0
	v_cmp_ne_u32_e32 vcc, 0, v4
	s_and_saveexec_b64 s[36:37], vcc
	s_cbranch_execz .LBB6_7020
; %bb.7013:                             ;   in Loop: Header=BB6_4406 Depth=4
	v_bfe_u32 v22, v4, 23, 8
	v_and_b32_e32 v5, 0x7fffff, v4
	v_cmp_gt_u32_e64 s[28:29], s97, v22
	v_sub_u32_e32 v4, 0x79, v22
	v_cmp_eq_u32_e32 vcc, 0, v22
	v_cndmask_b32_e64 v4, 0, v4, s[28:29]
	v_mov_b32_e32 v13, 0x78
	v_or_b32_e32 v12, 0x800000, v5
	v_cndmask_b32_e32 v23, v4, v13, vcc
	v_cndmask_b32_e32 v4, v12, v5, vcc
	v_add_u32_e32 v12, 20, v23
	v_lshlrev_b64 v[12:13], v12, -1
	v_add_u32_e32 v20, 19, v23
	v_lshlrev_b64 v[24:25], v20, 1
	v_mov_b32_e32 v5, v51
	v_bfi_b32 v13, v13, 0, 0
	v_bfi_b32 v12, v12, 0, v4
	v_cmp_eq_u64_e64 s[28:29], v[12:13], v[24:25]
	v_lshrrev_b64 v[12:13], v23, v[4:5]
	v_mov_b32_e32 v4, v12
	v_mov_b32_e32 v5, v13
	s_and_saveexec_b64 s[38:39], s[28:29]
; %bb.7014:                             ;   in Loop: Header=BB6_4406 Depth=4
	v_bfe_u32 v4, v12, 20, 1
	v_add_co_u32_e64 v4, s[28:29], v12, v4
	v_add_co_u32_e64 v4, s[28:29], -1, v4
; %bb.7015:                             ;   in Loop: Header=BB6_4406 Depth=4
	s_or_b64 exec, exec, s[38:39]
	v_add_u32_e32 v5, 0xffffff81, v22
	v_mov_b32_e32 v13, 0xffffff82
	v_cndmask_b32_e32 v5, v5, v13, vcc
	v_lshrrev_b32_e32 v13, 23, v12
	v_add3_u32 v22, v23, v5, v13
	v_add_u32_e32 v5, 6, v22
	v_and_b32_e32 v4, 0xfffff, v4
	v_add_u32_e32 v12, v4, v12
	v_mov_b32_e32 v13, v51
	v_cmp_ne_u32_e32 vcc, 0, v5
                                        ; implicit-def: $vgpr4
	s_and_saveexec_b64 s[28:29], vcc
	s_xor_b64 s[28:29], exec, s[28:29]
; %bb.7016:                             ;   in Loop: Header=BB6_4406 Depth=4
	v_cmp_lt_u64_e32 vcc, s[88:89], v[12:13]
	v_add_u32_e32 v4, 7, v22
	v_cndmask_b32_e32 v4, v5, v4, vcc
	v_cndmask_b32_e64 v5, 0, 1, vcc
	v_lshrrev_b64 v[12:13], v5, v[12:13]
; %bb.7017:                             ;   in Loop: Header=BB6_4406 Depth=4
	s_andn2_saveexec_b64 s[28:29], s[28:29]
; %bb.7018:                             ;   in Loop: Header=BB6_4406 Depth=4
	v_bfe_u32 v4, v12, 23, 1
; %bb.7019:                             ;   in Loop: Header=BB6_4406 Depth=4
	s_or_b64 exec, exec, s[28:29]
	v_lshrrev_b64 v[12:13], 20, v[12:13]
	v_cmp_gt_i32_e32 vcc, 16, v4
	v_cndmask_b32_e32 v13, 0, v13, vcc
	v_cndmask_b32_e32 v12, 7, v12, vcc
	v_cmp_eq_u32_e32 vcc, 0, v4
	v_min_i32_e32 v4, 15, v4
	v_cmp_eq_u64_e64 s[28:29], 0, v[12:13]
	v_lshlrev_b32_e32 v4, 3, v4
	v_and_b32_e32 v4, 0xf8, v4
	v_and_or_b32 v4, v12, 7, v4
	s_and_b64 s[28:29], vcc, s[28:29]
	v_cndmask_b32_e64 v4, v4, 0, s[28:29]
	v_or_b32_e32 v56, v4, v3
.LBB6_7020:                             ;   in Loop: Header=BB6_4406 Depth=4
	s_or_b64 exec, exec, s[36:37]
                                        ; implicit-def: $vgpr3
.LBB6_7021:                             ;   in Loop: Header=BB6_4406 Depth=4
	s_andn2_saveexec_b64 s[28:29], s[34:35]
; %bb.7022:                             ;   in Loop: Header=BB6_4406 Depth=4
	v_or_b32_e32 v56, 0x7e, v3
; %bb.7023:                             ;   in Loop: Header=BB6_4406 Depth=4
	s_or_b64 exec, exec, s[28:29]
                                        ; implicit-def: $vgpr4
.LBB6_7024:                             ;   in Loop: Header=BB6_4406 Depth=4
	s_andn2_saveexec_b64 s[28:29], s[30:31]
; %bb.7025:                             ;   in Loop: Header=BB6_4406 Depth=4
	v_or_b32_sdwa v56, v4, s86 dst_sel:DWORD dst_unused:UNUSED_PAD src0_sel:BYTE_3 src1_sel:DWORD
; %bb.7026:                             ;   in Loop: Header=BB6_4406 Depth=4
	s_or_b64 exec, exec, s[28:29]
	v_cmp_lt_u32_e32 vcc, s57, v50
	v_mov_b32_e32 v3, 0
	v_mov_b32_e32 v4, 0
	s_and_saveexec_b64 s[28:29], vcc
	s_cbranch_execz .LBB6_7032
; %bb.7027:                             ;   in Loop: Header=BB6_4406 Depth=4
	v_lshrrev_b32_e32 v12, 24, v50
	v_cmp_ne_u32_sdwa vcc, v50, s96 src0_sel:BYTE_3 src1_sel:DWORD
	v_bfrev_b32_e32 v4, 1
	s_and_saveexec_b64 s[30:31], vcc
	s_cbranch_execz .LBB6_7031
; %bb.7028:                             ;   in Loop: Header=BB6_4406 Depth=4
	v_bfe_u32 v5, v50, 24, 7
	v_cmp_ne_u32_e32 vcc, s86, v5
	v_mov_b32_e32 v4, 0x7f800001
	s_and_saveexec_b64 s[34:35], vcc
	s_cbranch_execz .LBB6_7030
; %bb.7029:                             ;   in Loop: Header=BB6_4406 Depth=4
	v_and_b32_e32 v13, 7, v12
	v_ffbh_u32_e32 v4, v13
	v_min_u32_e32 v21, 32, v4
	v_subrev_u32_e32 v4, 28, v21
	v_lshrrev_b32_e32 v20, 3, v5
	v_cmp_gt_u32_e32 vcc, 8, v5
	v_lshlrev_b64 v[4:5], v4, v[12:13]
	v_sub_u32_e32 v5, 29, v21
	v_and_b32_e32 v4, 7, v4
	v_mov_b32_e32 v12, 24
	v_cndmask_b32_e32 v5, v20, v5, vcc
	v_cndmask_b32_e32 v4, v13, v4, vcc
	v_lshlrev_b32_sdwa v12, v12, v50 dst_sel:DWORD dst_unused:UNUSED_PAD src0_sel:DWORD src1_sel:BYTE_3
	v_bfrev_b32_e32 v13, 60
	v_lshlrev_b32_e32 v4, 20, v4
	v_and_b32_e32 v12, 0x80000000, v12
	v_lshl_add_u32 v5, v5, 23, v13
	v_or3_b32 v4, v12, v5, v4
.LBB6_7030:                             ;   in Loop: Header=BB6_4406 Depth=4
	s_or_b64 exec, exec, s[34:35]
.LBB6_7031:                             ;   in Loop: Header=BB6_4406 Depth=4
	s_or_b64 exec, exec, s[30:31]
.LBB6_7032:                             ;   in Loop: Header=BB6_4406 Depth=4
	s_or_b64 exec, exec, s[28:29]
	v_cmp_lt_u32_e32 vcc, s57, v14
	s_and_saveexec_b64 s[28:29], vcc
	s_cbranch_execz .LBB6_7038
; %bb.7033:                             ;   in Loop: Header=BB6_4406 Depth=4
	v_lshrrev_b32_e32 v12, 24, v14
	v_cmp_ne_u32_e32 vcc, s96, v12
	v_bfrev_b32_e32 v3, 1
	s_and_saveexec_b64 s[30:31], vcc
	s_cbranch_execz .LBB6_7037
; %bb.7034:                             ;   in Loop: Header=BB6_4406 Depth=4
	v_bfe_u32 v5, v14, 24, 7
	v_cmp_ne_u32_e32 vcc, s86, v5
	v_mov_b32_e32 v3, 0x7f800001
	s_and_saveexec_b64 s[34:35], vcc
	s_cbranch_execz .LBB6_7036
; %bb.7035:                             ;   in Loop: Header=BB6_4406 Depth=4
	v_and_b32_e32 v3, 7, v12
	v_lshrrev_b32_e32 v13, 3, v5
	v_cmp_gt_u32_e32 vcc, 8, v5
	v_ffbh_u32_e32 v5, v3
	v_min_u32_e32 v5, 32, v5
	v_subrev_u32_e32 v20, 28, v5
	v_lshlrev_b64 v[22:23], v20, v[12:13]
	v_sub_u32_e32 v5, 29, v5
	v_and_b32_e32 v20, 7, v22
	v_cndmask_b32_e32 v5, v13, v5, vcc
	v_cndmask_b32_e32 v3, v3, v20, vcc
	v_lshlrev_b32_e32 v12, 24, v12
	v_bfrev_b32_e32 v13, 60
	v_lshlrev_b32_e32 v3, 20, v3
	v_and_b32_e32 v12, 0x80000000, v12
	v_lshl_add_u32 v5, v5, 23, v13
	v_or3_b32 v3, v12, v5, v3
.LBB6_7036:                             ;   in Loop: Header=BB6_4406 Depth=4
	s_or_b64 exec, exec, s[34:35]
.LBB6_7037:                             ;   in Loop: Header=BB6_4406 Depth=4
	s_or_b64 exec, exec, s[30:31]
.LBB6_7038:                             ;   in Loop: Header=BB6_4406 Depth=4
	s_or_b64 exec, exec, s[28:29]
	v_add_f32_e32 v4, v4, v3
	v_and_b32_e32 v50, 0x7f800000, v4
	v_cmp_ne_u64_e32 vcc, s[76:77], v[50:51]
                                        ; implicit-def: $vgpr58
	s_and_saveexec_b64 s[28:29], vcc
	s_xor_b64 s[30:31], exec, s[28:29]
	s_cbranch_execz .LBB6_7052
; %bb.7039:                             ;   in Loop: Header=BB6_4406 Depth=4
	v_and_b32_e32 v50, 0x7fffffff, v4
	v_cmp_gt_u64_e32 vcc, s[78:79], v[50:51]
	v_and_b32_sdwa v3, v4, s96 dst_sel:DWORD dst_unused:UNUSED_PAD src0_sel:BYTE_3 src1_sel:DWORD
                                        ; implicit-def: $vgpr58
	s_and_saveexec_b64 s[28:29], vcc
	s_xor_b64 s[34:35], exec, s[28:29]
	s_cbranch_execz .LBB6_7049
; %bb.7040:                             ;   in Loop: Header=BB6_4406 Depth=4
	v_mov_b32_e32 v58, 0
	v_cmp_ne_u32_e32 vcc, 0, v4
	s_and_saveexec_b64 s[36:37], vcc
	s_cbranch_execz .LBB6_7048
; %bb.7041:                             ;   in Loop: Header=BB6_4406 Depth=4
	v_bfe_u32 v22, v4, 23, 8
	v_and_b32_e32 v5, 0x7fffff, v4
	v_cmp_gt_u32_e64 s[28:29], s97, v22
	v_sub_u32_e32 v4, 0x79, v22
	v_cmp_eq_u32_e32 vcc, 0, v22
	v_cndmask_b32_e64 v4, 0, v4, s[28:29]
	v_mov_b32_e32 v13, 0x78
	v_cndmask_b32_e32 v23, v4, v13, vcc
	v_or_b32_e32 v12, 0x800000, v5
	v_add_u32_e32 v4, 20, v23
	v_cndmask_b32_e32 v50, v12, v5, vcc
	v_lshlrev_b64 v[4:5], v4, -1
	v_add_u32_e32 v12, 19, v23
	v_lshlrev_b64 v[12:13], v12, 1
	v_bfi_b32 v5, v5, 0, 0
	v_bfi_b32 v4, v4, 0, v50
	v_cmp_eq_u64_e64 s[28:29], v[4:5], v[12:13]
	v_lshrrev_b64 v[12:13], v23, v[50:51]
	v_mov_b32_e32 v4, v12
	v_mov_b32_e32 v5, v13
	s_and_saveexec_b64 s[38:39], s[28:29]
; %bb.7042:                             ;   in Loop: Header=BB6_4406 Depth=4
	v_bfe_u32 v4, v12, 20, 1
	v_add_co_u32_e64 v4, s[28:29], v12, v4
	v_add_co_u32_e64 v4, s[28:29], -1, v4
; %bb.7043:                             ;   in Loop: Header=BB6_4406 Depth=4
	s_or_b64 exec, exec, s[38:39]
	v_add_u32_e32 v5, 0xffffff81, v22
	v_mov_b32_e32 v13, 0xffffff82
	v_cndmask_b32_e32 v5, v5, v13, vcc
	v_lshrrev_b32_e32 v13, 23, v12
	v_add3_u32 v22, v23, v5, v13
	v_add_u32_e32 v5, 6, v22
	v_and_b32_e32 v4, 0xfffff, v4
	v_add_u32_e32 v50, v4, v12
	v_cmp_ne_u32_e32 vcc, 0, v5
                                        ; implicit-def: $vgpr12_vgpr13
                                        ; implicit-def: $vgpr4
	s_and_saveexec_b64 s[28:29], vcc
	s_xor_b64 s[28:29], exec, s[28:29]
; %bb.7044:                             ;   in Loop: Header=BB6_4406 Depth=4
	v_cmp_lt_u64_e32 vcc, s[88:89], v[50:51]
	v_add_u32_e32 v4, 7, v22
	v_cndmask_b32_e32 v4, v5, v4, vcc
	v_cndmask_b32_e64 v5, 0, 1, vcc
	v_lshrrev_b64 v[12:13], v5, v[50:51]
; %bb.7045:                             ;   in Loop: Header=BB6_4406 Depth=4
	s_andn2_saveexec_b64 s[28:29], s[28:29]
; %bb.7046:                             ;   in Loop: Header=BB6_4406 Depth=4
	v_mov_b32_e32 v12, v50
	v_bfe_u32 v4, v50, 23, 1
	v_mov_b32_e32 v13, v51
; %bb.7047:                             ;   in Loop: Header=BB6_4406 Depth=4
	s_or_b64 exec, exec, s[28:29]
	v_lshrrev_b64 v[12:13], 20, v[12:13]
	v_cmp_gt_i32_e32 vcc, 16, v4
	v_cndmask_b32_e32 v13, 0, v13, vcc
	v_cndmask_b32_e32 v12, 7, v12, vcc
	v_cmp_eq_u32_e32 vcc, 0, v4
	v_min_i32_e32 v4, 15, v4
	v_cmp_eq_u64_e64 s[28:29], 0, v[12:13]
	v_lshlrev_b32_e32 v4, 3, v4
	v_and_b32_e32 v4, 0xf8, v4
	v_and_or_b32 v4, v12, 7, v4
	s_and_b64 s[28:29], vcc, s[28:29]
	v_cndmask_b32_e64 v4, v4, 0, s[28:29]
	v_or_b32_e32 v58, v4, v3
.LBB6_7048:                             ;   in Loop: Header=BB6_4406 Depth=4
	s_or_b64 exec, exec, s[36:37]
                                        ; implicit-def: $vgpr3
.LBB6_7049:                             ;   in Loop: Header=BB6_4406 Depth=4
	s_andn2_saveexec_b64 s[28:29], s[34:35]
; %bb.7050:                             ;   in Loop: Header=BB6_4406 Depth=4
	v_or_b32_e32 v58, 0x7e, v3
; %bb.7051:                             ;   in Loop: Header=BB6_4406 Depth=4
	s_or_b64 exec, exec, s[28:29]
                                        ; implicit-def: $vgpr4
.LBB6_7052:                             ;   in Loop: Header=BB6_4406 Depth=4
	s_andn2_saveexec_b64 s[28:29], s[30:31]
; %bb.7053:                             ;   in Loop: Header=BB6_4406 Depth=4
	v_or_b32_sdwa v58, v4, s86 dst_sel:DWORD dst_unused:UNUSED_PAD src0_sel:BYTE_3 src1_sel:DWORD
; %bb.7054:                             ;   in Loop: Header=BB6_4406 Depth=4
	s_or_b64 exec, exec, s[28:29]
	buffer_load_dword v3, off, s[0:3], s33 offset:188 ; 4-byte Folded Reload
	v_cmp_ne_u32_e32 vcc, 0, v57
	s_waitcnt vmcnt(0)
	v_lshlrev_b32_e32 v4, 24, v3
	buffer_load_dword v3, off, s[0:3], s33 offset:168 ; 4-byte Folded Reload
	s_waitcnt vmcnt(0)
	v_lshlrev_b32_e32 v5, 16, v3
	buffer_load_dword v3, off, s[0:3], s33 offset:148 ; 4-byte Folded Reload
	s_waitcnt vmcnt(0)
	v_lshl_or_b32 v3, v3, 8, v57
	v_or3_b32 v50, v5, v4, v3
	v_mov_b32_e32 v5, 0
	v_mov_b32_e32 v4, 0
	s_and_saveexec_b64 s[28:29], vcc
	s_cbranch_execz .LBB6_7060
; %bb.7055:                             ;   in Loop: Header=BB6_4406 Depth=4
	v_cmp_ne_u32_e32 vcc, s96, v57
	v_bfrev_b32_e32 v4, 1
	s_and_saveexec_b64 s[30:31], vcc
	s_cbranch_execz .LBB6_7059
; %bb.7056:                             ;   in Loop: Header=BB6_4406 Depth=4
	v_and_b32_e32 v12, 0x7f, v57
	v_cmp_ne_u32_e32 vcc, s86, v12
	v_mov_b32_e32 v4, 0x7f800001
	s_and_saveexec_b64 s[34:35], vcc
	s_cbranch_execz .LBB6_7058
; %bb.7057:                             ;   in Loop: Header=BB6_4406 Depth=4
	v_and_b32_e32 v4, 7, v57
	v_ffbh_u32_e32 v4, v4
	v_min_u32_e32 v4, 32, v4
	v_lshrrev_b32_e32 v13, 3, v12
	v_cmp_gt_u32_e32 vcc, 8, v12
	v_subrev_u32_e32 v12, 28, v4
	v_sub_u32_e32 v4, 29, v4
	v_cndmask_b32_e32 v12, 0, v12, vcc
	v_cndmask_b32_e32 v4, v13, v4, vcc
	v_lshlrev_b64 v[12:13], v12, v[50:51]
	v_lshlrev_b32_e32 v13, 24, v50
	v_lshlrev_b32_e32 v12, 20, v12
	v_bfrev_b32_e32 v20, 60
	v_and_b32_e32 v12, 0x700000, v12
	v_and_b32_e32 v13, 0x80000000, v13
	v_lshl_add_u32 v4, v4, 23, v20
	v_or3_b32 v4, v13, v4, v12
.LBB6_7058:                             ;   in Loop: Header=BB6_4406 Depth=4
	s_or_b64 exec, exec, s[34:35]
.LBB6_7059:                             ;   in Loop: Header=BB6_4406 Depth=4
	s_or_b64 exec, exec, s[30:31]
.LBB6_7060:                             ;   in Loop: Header=BB6_4406 Depth=4
	s_or_b64 exec, exec, s[28:29]
	v_cmp_ne_u16_sdwa vcc, v15, v51 src0_sel:BYTE_0 src1_sel:DWORD
	s_and_saveexec_b64 s[28:29], vcc
	s_cbranch_execz .LBB6_7066
; %bb.7061:                             ;   in Loop: Header=BB6_4406 Depth=4
	v_cmp_ne_u16_sdwa vcc, v15, s96 src0_sel:BYTE_0 src1_sel:DWORD
	v_bfrev_b32_e32 v5, 1
	s_and_saveexec_b64 s[30:31], vcc
	s_cbranch_execz .LBB6_7065
; %bb.7062:                             ;   in Loop: Header=BB6_4406 Depth=4
	v_and_b32_e32 v12, 0x7f, v15
	v_cmp_ne_u32_e32 vcc, s86, v12
	v_mov_b32_e32 v5, 0x7f800001
	s_and_saveexec_b64 s[34:35], vcc
	s_cbranch_execz .LBB6_7064
; %bb.7063:                             ;   in Loop: Header=BB6_4406 Depth=4
	v_and_b32_e32 v5, 7, v15
	v_ffbh_u32_e32 v5, v5
	v_min_u32_e32 v5, 32, v5
	v_lshrrev_b32_e32 v13, 3, v12
	v_cmp_gt_u32_e32 vcc, 8, v12
	v_subrev_u32_e32 v12, 28, v5
	v_mov_b32_e32 v22, v15
	v_mov_b32_e32 v23, v51
	v_sub_u32_e32 v5, 29, v5
	v_cndmask_b32_e32 v12, 0, v12, vcc
	v_cndmask_b32_e32 v5, v13, v5, vcc
	v_lshlrev_b64 v[12:13], v12, v[22:23]
	v_lshlrev_b32_e32 v13, 24, v22
	v_lshlrev_b32_e32 v12, 20, v12
	v_bfrev_b32_e32 v20, 60
	v_and_b32_e32 v12, 0x700000, v12
	v_and_b32_e32 v13, 0x80000000, v13
	v_lshl_add_u32 v5, v5, 23, v20
	v_or3_b32 v5, v13, v5, v12
.LBB6_7064:                             ;   in Loop: Header=BB6_4406 Depth=4
	s_or_b64 exec, exec, s[34:35]
.LBB6_7065:                             ;   in Loop: Header=BB6_4406 Depth=4
	s_or_b64 exec, exec, s[30:31]
.LBB6_7066:                             ;   in Loop: Header=BB6_4406 Depth=4
	s_or_b64 exec, exec, s[28:29]
	v_add_f32_e32 v4, v4, v5
	v_and_b32_e32 v12, 0x7f800000, v4
	v_mov_b32_e32 v13, v51
	v_cmp_ne_u64_e32 vcc, s[76:77], v[12:13]
                                        ; implicit-def: $vgpr57
	s_and_saveexec_b64 s[28:29], vcc
	s_xor_b64 s[30:31], exec, s[28:29]
	s_cbranch_execz .LBB6_7080
; %bb.7067:                             ;   in Loop: Header=BB6_4406 Depth=4
	v_and_b32_e32 v12, 0x7fffffff, v4
	v_mov_b32_e32 v13, v51
	v_cmp_gt_u64_e32 vcc, s[78:79], v[12:13]
	v_and_b32_sdwa v22, v4, s96 dst_sel:DWORD dst_unused:UNUSED_PAD src0_sel:BYTE_3 src1_sel:DWORD
                                        ; implicit-def: $vgpr57
	s_and_saveexec_b64 s[28:29], vcc
	s_xor_b64 s[34:35], exec, s[28:29]
	s_cbranch_execz .LBB6_7077
; %bb.7068:                             ;   in Loop: Header=BB6_4406 Depth=4
	v_mov_b32_e32 v57, 0
	v_cmp_ne_u32_e32 vcc, 0, v4
	s_and_saveexec_b64 s[36:37], vcc
	s_cbranch_execz .LBB6_7076
; %bb.7069:                             ;   in Loop: Header=BB6_4406 Depth=4
	v_bfe_u32 v23, v4, 23, 8
	v_and_b32_e32 v5, 0x7fffff, v4
	v_cmp_gt_u32_e64 s[28:29], s97, v23
	v_sub_u32_e32 v4, 0x79, v23
	v_cmp_eq_u32_e32 vcc, 0, v23
	v_cndmask_b32_e64 v4, 0, v4, s[28:29]
	v_mov_b32_e32 v13, 0x78
	v_or_b32_e32 v12, 0x800000, v5
	v_cndmask_b32_e32 v24, v4, v13, vcc
	v_cndmask_b32_e32 v4, v12, v5, vcc
	v_add_u32_e32 v12, 20, v24
	v_lshlrev_b64 v[12:13], v12, -1
	v_add_u32_e32 v20, 19, v24
	v_lshlrev_b64 v[38:39], v20, 1
	v_mov_b32_e32 v5, v51
	v_bfi_b32 v13, v13, 0, 0
	v_bfi_b32 v12, v12, 0, v4
	v_cmp_eq_u64_e64 s[28:29], v[12:13], v[38:39]
	v_lshrrev_b64 v[12:13], v24, v[4:5]
	v_mov_b32_e32 v4, v12
	v_mov_b32_e32 v5, v13
	s_and_saveexec_b64 s[38:39], s[28:29]
; %bb.7070:                             ;   in Loop: Header=BB6_4406 Depth=4
	v_bfe_u32 v4, v12, 20, 1
	v_add_co_u32_e64 v4, s[28:29], v12, v4
	v_add_co_u32_e64 v4, s[28:29], -1, v4
; %bb.7071:                             ;   in Loop: Header=BB6_4406 Depth=4
	s_or_b64 exec, exec, s[38:39]
	v_add_u32_e32 v5, 0xffffff81, v23
	v_mov_b32_e32 v13, 0xffffff82
	v_cndmask_b32_e32 v5, v5, v13, vcc
	v_lshrrev_b32_e32 v13, 23, v12
	v_add3_u32 v23, v24, v5, v13
	v_add_u32_e32 v5, 6, v23
	v_and_b32_e32 v4, 0xfffff, v4
	v_add_u32_e32 v12, v4, v12
	v_mov_b32_e32 v13, v51
	v_cmp_ne_u32_e32 vcc, 0, v5
                                        ; implicit-def: $vgpr4
	s_and_saveexec_b64 s[28:29], vcc
	s_xor_b64 s[28:29], exec, s[28:29]
; %bb.7072:                             ;   in Loop: Header=BB6_4406 Depth=4
	v_cmp_lt_u64_e32 vcc, s[88:89], v[12:13]
	v_add_u32_e32 v4, 7, v23
	v_cndmask_b32_e32 v4, v5, v4, vcc
	v_cndmask_b32_e64 v5, 0, 1, vcc
	v_lshrrev_b64 v[12:13], v5, v[12:13]
; %bb.7073:                             ;   in Loop: Header=BB6_4406 Depth=4
	s_andn2_saveexec_b64 s[28:29], s[28:29]
; %bb.7074:                             ;   in Loop: Header=BB6_4406 Depth=4
	v_bfe_u32 v4, v12, 23, 1
; %bb.7075:                             ;   in Loop: Header=BB6_4406 Depth=4
	s_or_b64 exec, exec, s[28:29]
	v_lshrrev_b64 v[12:13], 20, v[12:13]
	v_cmp_gt_i32_e32 vcc, 16, v4
	v_cndmask_b32_e32 v13, 0, v13, vcc
	v_cndmask_b32_e32 v12, 7, v12, vcc
	v_cmp_eq_u32_e32 vcc, 0, v4
	v_min_i32_e32 v4, 15, v4
	v_cmp_eq_u64_e64 s[28:29], 0, v[12:13]
	v_lshlrev_b32_e32 v4, 3, v4
	v_and_b32_e32 v4, 0xf8, v4
	v_and_or_b32 v4, v12, 7, v4
	s_and_b64 s[28:29], vcc, s[28:29]
	v_cndmask_b32_e64 v4, v4, 0, s[28:29]
	v_or_b32_e32 v57, v4, v22
.LBB6_7076:                             ;   in Loop: Header=BB6_4406 Depth=4
	s_or_b64 exec, exec, s[36:37]
                                        ; implicit-def: $vgpr22
.LBB6_7077:                             ;   in Loop: Header=BB6_4406 Depth=4
	s_andn2_saveexec_b64 s[28:29], s[34:35]
; %bb.7078:                             ;   in Loop: Header=BB6_4406 Depth=4
	v_or_b32_e32 v57, 0x7e, v22
; %bb.7079:                             ;   in Loop: Header=BB6_4406 Depth=4
	s_or_b64 exec, exec, s[28:29]
                                        ; implicit-def: $vgpr4
.LBB6_7080:                             ;   in Loop: Header=BB6_4406 Depth=4
	s_andn2_saveexec_b64 s[28:29], s[30:31]
; %bb.7081:                             ;   in Loop: Header=BB6_4406 Depth=4
	v_or_b32_sdwa v57, v4, s86 dst_sel:DWORD dst_unused:UNUSED_PAD src0_sel:BYTE_3 src1_sel:DWORD
; %bb.7082:                             ;   in Loop: Header=BB6_4406 Depth=4
	s_or_b64 exec, exec, s[28:29]
	v_lshrrev_b16_e32 v12, 8, v3
	v_cmp_ne_u16_e32 vcc, 0, v12
	v_mov_b32_e32 v4, 0
	v_mov_b32_e32 v5, 0
	s_and_saveexec_b64 s[28:29], vcc
	s_cbranch_execz .LBB6_7088
; %bb.7083:                             ;   in Loop: Header=BB6_4406 Depth=4
	v_cmp_ne_u16_e32 vcc, s96, v12
	v_bfrev_b32_e32 v5, 1
	s_and_saveexec_b64 s[30:31], vcc
	s_cbranch_execz .LBB6_7087
; %bb.7084:                             ;   in Loop: Header=BB6_4406 Depth=4
	v_and_b32_e32 v13, 0x7f, v12
	v_cmp_ne_u32_e32 vcc, s86, v13
	v_mov_b32_e32 v5, 0x7f800001
	s_and_saveexec_b64 s[34:35], vcc
	s_cbranch_execz .LBB6_7086
; %bb.7085:                             ;   in Loop: Header=BB6_4406 Depth=4
	v_and_b32_e32 v5, 7, v12
	v_lshrrev_b32_e32 v20, 3, v13
	v_cmp_gt_u32_e32 vcc, 8, v13
	v_ffbh_u32_e32 v13, v5
	v_min_u32_e32 v21, 32, v13
	v_subrev_u32_e32 v13, 28, v21
	v_lshlrev_b64 v[12:13], v13, v[12:13]
	v_sub_u32_e32 v13, 29, v21
	v_and_b32_e32 v12, 7, v12
	v_cndmask_b32_e32 v13, v20, v13, vcc
	v_cndmask_b32_e32 v5, v5, v12, vcc
	v_lshlrev_b32_e32 v3, 16, v3
	v_bfrev_b32_e32 v12, 60
	v_lshlrev_b32_e32 v5, 20, v5
	v_and_b32_e32 v3, 0x80000000, v3
	v_lshl_add_u32 v12, v13, 23, v12
	v_or3_b32 v5, v3, v12, v5
.LBB6_7086:                             ;   in Loop: Header=BB6_4406 Depth=4
	s_or_b64 exec, exec, s[34:35]
.LBB6_7087:                             ;   in Loop: Header=BB6_4406 Depth=4
	s_or_b64 exec, exec, s[30:31]
.LBB6_7088:                             ;   in Loop: Header=BB6_4406 Depth=4
	s_or_b64 exec, exec, s[28:29]
	v_lshrrev_b16_e32 v12, 8, v15
	v_cmp_ne_u16_e32 vcc, 0, v12
	s_and_saveexec_b64 s[28:29], vcc
	s_cbranch_execz .LBB6_7094
; %bb.7089:                             ;   in Loop: Header=BB6_4406 Depth=4
	v_cmp_ne_u16_e32 vcc, s96, v12
	v_bfrev_b32_e32 v4, 1
	s_and_saveexec_b64 s[30:31], vcc
	s_cbranch_execz .LBB6_7093
; %bb.7090:                             ;   in Loop: Header=BB6_4406 Depth=4
	v_and_b32_e32 v3, 0x7f, v12
	v_cmp_ne_u32_e32 vcc, s86, v3
	v_mov_b32_e32 v4, 0x7f800001
	s_and_saveexec_b64 s[34:35], vcc
	s_cbranch_execz .LBB6_7092
; %bb.7091:                             ;   in Loop: Header=BB6_4406 Depth=4
	v_and_b32_e32 v13, 7, v12
	v_lshrrev_b32_e32 v20, 3, v3
	v_cmp_gt_u32_e32 vcc, 8, v3
	v_ffbh_u32_e32 v3, v13
	v_min_u32_e32 v21, 32, v3
	v_subrev_u32_e32 v3, 28, v21
	v_lshlrev_b64 v[3:4], v3, v[12:13]
	v_sub_u32_e32 v4, 29, v21
	v_and_b32_e32 v3, 7, v3
	v_cndmask_b32_e32 v4, v20, v4, vcc
	v_cndmask_b32_e32 v3, v13, v3, vcc
	v_lshlrev_b32_e32 v12, 16, v15
	v_bfrev_b32_e32 v13, 60
	v_lshlrev_b32_e32 v3, 20, v3
	v_and_b32_e32 v12, 0x80000000, v12
	v_lshl_add_u32 v4, v4, 23, v13
	v_or3_b32 v4, v12, v4, v3
.LBB6_7092:                             ;   in Loop: Header=BB6_4406 Depth=4
	s_or_b64 exec, exec, s[34:35]
.LBB6_7093:                             ;   in Loop: Header=BB6_4406 Depth=4
	s_or_b64 exec, exec, s[30:31]
.LBB6_7094:                             ;   in Loop: Header=BB6_4406 Depth=4
	s_or_b64 exec, exec, s[28:29]
	v_add_f32_e32 v4, v5, v4
	v_and_b32_e32 v12, 0x7f800000, v4
	v_mov_b32_e32 v13, v51
	v_cmp_ne_u64_e32 vcc, s[76:77], v[12:13]
                                        ; implicit-def: $vgpr59
	s_and_saveexec_b64 s[28:29], vcc
	s_xor_b64 s[30:31], exec, s[28:29]
	s_cbranch_execz .LBB6_7108
; %bb.7095:                             ;   in Loop: Header=BB6_4406 Depth=4
	v_and_b32_e32 v12, 0x7fffffff, v4
	v_mov_b32_e32 v13, v51
	v_cmp_gt_u64_e32 vcc, s[78:79], v[12:13]
	v_and_b32_sdwa v3, v4, s96 dst_sel:DWORD dst_unused:UNUSED_PAD src0_sel:BYTE_3 src1_sel:DWORD
                                        ; implicit-def: $vgpr59
	s_and_saveexec_b64 s[28:29], vcc
	s_xor_b64 s[34:35], exec, s[28:29]
	s_cbranch_execz .LBB6_7105
; %bb.7096:                             ;   in Loop: Header=BB6_4406 Depth=4
	v_mov_b32_e32 v59, 0
	v_cmp_ne_u32_e32 vcc, 0, v4
	s_and_saveexec_b64 s[36:37], vcc
	s_cbranch_execz .LBB6_7104
; %bb.7097:                             ;   in Loop: Header=BB6_4406 Depth=4
	v_bfe_u32 v22, v4, 23, 8
	v_and_b32_e32 v5, 0x7fffff, v4
	v_cmp_gt_u32_e64 s[28:29], s97, v22
	v_sub_u32_e32 v4, 0x79, v22
	v_cmp_eq_u32_e32 vcc, 0, v22
	v_cndmask_b32_e64 v4, 0, v4, s[28:29]
	v_mov_b32_e32 v13, 0x78
	v_or_b32_e32 v12, 0x800000, v5
	v_cndmask_b32_e32 v23, v4, v13, vcc
	v_cndmask_b32_e32 v4, v12, v5, vcc
	v_add_u32_e32 v12, 20, v23
	v_lshlrev_b64 v[12:13], v12, -1
	v_add_u32_e32 v20, 19, v23
	v_lshlrev_b64 v[24:25], v20, 1
	v_mov_b32_e32 v5, v51
	v_bfi_b32 v13, v13, 0, 0
	v_bfi_b32 v12, v12, 0, v4
	v_cmp_eq_u64_e64 s[28:29], v[12:13], v[24:25]
	v_lshrrev_b64 v[12:13], v23, v[4:5]
	v_mov_b32_e32 v4, v12
	v_mov_b32_e32 v5, v13
	s_and_saveexec_b64 s[38:39], s[28:29]
; %bb.7098:                             ;   in Loop: Header=BB6_4406 Depth=4
	v_bfe_u32 v4, v12, 20, 1
	v_add_co_u32_e64 v4, s[28:29], v12, v4
	v_add_co_u32_e64 v4, s[28:29], -1, v4
; %bb.7099:                             ;   in Loop: Header=BB6_4406 Depth=4
	s_or_b64 exec, exec, s[38:39]
	v_add_u32_e32 v5, 0xffffff81, v22
	v_mov_b32_e32 v13, 0xffffff82
	v_cndmask_b32_e32 v5, v5, v13, vcc
	v_lshrrev_b32_e32 v13, 23, v12
	v_add3_u32 v22, v23, v5, v13
	v_add_u32_e32 v5, 6, v22
	v_and_b32_e32 v4, 0xfffff, v4
	v_add_u32_e32 v12, v4, v12
	v_mov_b32_e32 v13, v51
	v_cmp_ne_u32_e32 vcc, 0, v5
                                        ; implicit-def: $vgpr4
	s_and_saveexec_b64 s[28:29], vcc
	s_xor_b64 s[28:29], exec, s[28:29]
; %bb.7100:                             ;   in Loop: Header=BB6_4406 Depth=4
	v_cmp_lt_u64_e32 vcc, s[88:89], v[12:13]
	v_add_u32_e32 v4, 7, v22
	v_cndmask_b32_e32 v4, v5, v4, vcc
	v_cndmask_b32_e64 v5, 0, 1, vcc
	v_lshrrev_b64 v[12:13], v5, v[12:13]
; %bb.7101:                             ;   in Loop: Header=BB6_4406 Depth=4
	s_andn2_saveexec_b64 s[28:29], s[28:29]
; %bb.7102:                             ;   in Loop: Header=BB6_4406 Depth=4
	v_bfe_u32 v4, v12, 23, 1
; %bb.7103:                             ;   in Loop: Header=BB6_4406 Depth=4
	s_or_b64 exec, exec, s[28:29]
	v_lshrrev_b64 v[12:13], 20, v[12:13]
	v_cmp_gt_i32_e32 vcc, 16, v4
	v_cndmask_b32_e32 v13, 0, v13, vcc
	v_cndmask_b32_e32 v12, 7, v12, vcc
	v_cmp_eq_u32_e32 vcc, 0, v4
	v_min_i32_e32 v4, 15, v4
	v_cmp_eq_u64_e64 s[28:29], 0, v[12:13]
	v_lshlrev_b32_e32 v4, 3, v4
	v_and_b32_e32 v4, 0xf8, v4
	v_and_or_b32 v4, v12, 7, v4
	s_and_b64 s[28:29], vcc, s[28:29]
	v_cndmask_b32_e64 v4, v4, 0, s[28:29]
	v_or_b32_e32 v59, v4, v3
.LBB6_7104:                             ;   in Loop: Header=BB6_4406 Depth=4
	s_or_b64 exec, exec, s[36:37]
                                        ; implicit-def: $vgpr3
.LBB6_7105:                             ;   in Loop: Header=BB6_4406 Depth=4
	s_andn2_saveexec_b64 s[28:29], s[34:35]
; %bb.7106:                             ;   in Loop: Header=BB6_4406 Depth=4
	v_or_b32_e32 v59, 0x7e, v3
; %bb.7107:                             ;   in Loop: Header=BB6_4406 Depth=4
	s_or_b64 exec, exec, s[28:29]
                                        ; implicit-def: $vgpr4
.LBB6_7108:                             ;   in Loop: Header=BB6_4406 Depth=4
	s_andn2_saveexec_b64 s[28:29], s[30:31]
; %bb.7109:                             ;   in Loop: Header=BB6_4406 Depth=4
	v_or_b32_sdwa v59, v4, s86 dst_sel:DWORD dst_unused:UNUSED_PAD src0_sel:BYTE_3 src1_sel:DWORD
; %bb.7110:                             ;   in Loop: Header=BB6_4406 Depth=4
	s_or_b64 exec, exec, s[28:29]
	v_lshrrev_b32_e32 v12, 16, v50
	v_cmp_ne_u16_sdwa vcc, v12, v51 src0_sel:BYTE_0 src1_sel:DWORD
	v_mov_b32_e32 v3, 0
	v_mov_b32_e32 v4, 0
	s_and_saveexec_b64 s[28:29], vcc
	s_cbranch_execz .LBB6_7116
; %bb.7111:                             ;   in Loop: Header=BB6_4406 Depth=4
	v_cmp_ne_u16_sdwa vcc, v12, s96 src0_sel:BYTE_0 src1_sel:DWORD
	v_bfrev_b32_e32 v4, 1
	s_and_saveexec_b64 s[30:31], vcc
	s_cbranch_execz .LBB6_7115
; %bb.7112:                             ;   in Loop: Header=BB6_4406 Depth=4
	v_bfe_u32 v5, v50, 16, 7
	v_cmp_ne_u32_e32 vcc, s86, v5
	v_mov_b32_e32 v4, 0x7f800001
	s_and_saveexec_b64 s[34:35], vcc
	s_cbranch_execz .LBB6_7114
; %bb.7113:                             ;   in Loop: Header=BB6_4406 Depth=4
	v_and_b32_e32 v13, 7, v12
	v_ffbh_u32_e32 v4, v13
	v_min_u32_e32 v21, 32, v4
	v_subrev_u32_e32 v4, 28, v21
	v_lshrrev_b32_e32 v20, 3, v5
	v_cmp_gt_u32_e32 vcc, 8, v5
	v_lshlrev_b64 v[4:5], v4, v[12:13]
	v_sub_u32_e32 v5, 29, v21
	v_and_b32_e32 v4, 7, v4
	v_cndmask_b32_e32 v5, v20, v5, vcc
	v_cndmask_b32_e32 v4, v13, v4, vcc
	v_lshlrev_b32_e32 v12, 24, v12
	v_bfrev_b32_e32 v13, 60
	v_lshlrev_b32_e32 v4, 20, v4
	v_and_b32_e32 v12, 0x80000000, v12
	v_lshl_add_u32 v5, v5, 23, v13
	v_or3_b32 v4, v12, v5, v4
.LBB6_7114:                             ;   in Loop: Header=BB6_4406 Depth=4
	s_or_b64 exec, exec, s[34:35]
.LBB6_7115:                             ;   in Loop: Header=BB6_4406 Depth=4
	s_or_b64 exec, exec, s[30:31]
.LBB6_7116:                             ;   in Loop: Header=BB6_4406 Depth=4
	s_or_b64 exec, exec, s[28:29]
	v_lshrrev_b32_e32 v12, 16, v15
	v_cmp_ne_u16_sdwa vcc, v12, v51 src0_sel:BYTE_0 src1_sel:DWORD
	s_and_saveexec_b64 s[28:29], vcc
	s_cbranch_execz .LBB6_7122
; %bb.7117:                             ;   in Loop: Header=BB6_4406 Depth=4
	v_cmp_ne_u16_sdwa vcc, v12, s96 src0_sel:BYTE_0 src1_sel:DWORD
	v_bfrev_b32_e32 v3, 1
	s_and_saveexec_b64 s[30:31], vcc
	s_cbranch_execz .LBB6_7121
; %bb.7118:                             ;   in Loop: Header=BB6_4406 Depth=4
	v_bfe_u32 v5, v15, 16, 7
	v_cmp_ne_u32_e32 vcc, s86, v5
	v_mov_b32_e32 v3, 0x7f800001
	s_and_saveexec_b64 s[34:35], vcc
	s_cbranch_execz .LBB6_7120
; %bb.7119:                             ;   in Loop: Header=BB6_4406 Depth=4
	v_and_b32_e32 v3, 7, v12
	v_lshrrev_b32_e32 v20, 3, v5
	v_cmp_gt_u32_e32 vcc, 8, v5
	v_ffbh_u32_e32 v5, v3
	v_min_u32_e32 v5, 32, v5
	v_subrev_u32_e32 v13, 28, v5
	v_lshlrev_b64 v[12:13], v13, v[12:13]
	v_sub_u32_e32 v5, 29, v5
	v_and_b32_e32 v12, 7, v12
	v_cndmask_b32_e32 v5, v20, v5, vcc
	v_cndmask_b32_e32 v3, v3, v12, vcc
	v_lshlrev_b32_e32 v12, 8, v15
	v_bfrev_b32_e32 v13, 60
	v_lshlrev_b32_e32 v3, 20, v3
	v_and_b32_e32 v12, 0x80000000, v12
	v_lshl_add_u32 v5, v5, 23, v13
	v_or3_b32 v3, v12, v5, v3
.LBB6_7120:                             ;   in Loop: Header=BB6_4406 Depth=4
	s_or_b64 exec, exec, s[34:35]
.LBB6_7121:                             ;   in Loop: Header=BB6_4406 Depth=4
	s_or_b64 exec, exec, s[30:31]
.LBB6_7122:                             ;   in Loop: Header=BB6_4406 Depth=4
	s_or_b64 exec, exec, s[28:29]
	v_add_f32_e32 v4, v4, v3
	v_and_b32_e32 v12, 0x7f800000, v4
	v_mov_b32_e32 v13, v51
	v_cmp_ne_u64_e32 vcc, s[76:77], v[12:13]
                                        ; implicit-def: $vgpr24
	s_and_saveexec_b64 s[28:29], vcc
	s_xor_b64 s[30:31], exec, s[28:29]
	s_cbranch_execz .LBB6_7136
; %bb.7123:                             ;   in Loop: Header=BB6_4406 Depth=4
	v_and_b32_e32 v12, 0x7fffffff, v4
	v_mov_b32_e32 v13, v51
	v_cmp_gt_u64_e32 vcc, s[78:79], v[12:13]
	v_and_b32_sdwa v3, v4, s96 dst_sel:DWORD dst_unused:UNUSED_PAD src0_sel:BYTE_3 src1_sel:DWORD
                                        ; implicit-def: $vgpr24
	s_and_saveexec_b64 s[28:29], vcc
	s_xor_b64 s[34:35], exec, s[28:29]
	s_cbranch_execz .LBB6_7133
; %bb.7124:                             ;   in Loop: Header=BB6_4406 Depth=4
	v_mov_b32_e32 v24, 0
	v_cmp_ne_u32_e32 vcc, 0, v4
	s_and_saveexec_b64 s[36:37], vcc
	s_cbranch_execz .LBB6_7132
; %bb.7125:                             ;   in Loop: Header=BB6_4406 Depth=4
	v_bfe_u32 v22, v4, 23, 8
	v_and_b32_e32 v5, 0x7fffff, v4
	v_cmp_gt_u32_e64 s[28:29], s97, v22
	v_sub_u32_e32 v4, 0x79, v22
	v_cmp_eq_u32_e32 vcc, 0, v22
	v_cndmask_b32_e64 v4, 0, v4, s[28:29]
	v_mov_b32_e32 v13, 0x78
	v_or_b32_e32 v12, 0x800000, v5
	v_cndmask_b32_e32 v23, v4, v13, vcc
	v_cndmask_b32_e32 v4, v12, v5, vcc
	v_add_u32_e32 v12, 20, v23
	v_lshlrev_b64 v[12:13], v12, -1
	v_add_u32_e32 v20, 19, v23
	v_lshlrev_b64 v[24:25], v20, 1
	v_mov_b32_e32 v5, v51
	v_bfi_b32 v13, v13, 0, 0
	v_bfi_b32 v12, v12, 0, v4
	v_cmp_eq_u64_e64 s[28:29], v[12:13], v[24:25]
	v_lshrrev_b64 v[12:13], v23, v[4:5]
	v_mov_b32_e32 v4, v12
	v_mov_b32_e32 v5, v13
	s_and_saveexec_b64 s[38:39], s[28:29]
; %bb.7126:                             ;   in Loop: Header=BB6_4406 Depth=4
	v_bfe_u32 v4, v12, 20, 1
	v_add_co_u32_e64 v4, s[28:29], v12, v4
	v_add_co_u32_e64 v4, s[28:29], -1, v4
; %bb.7127:                             ;   in Loop: Header=BB6_4406 Depth=4
	s_or_b64 exec, exec, s[38:39]
	v_add_u32_e32 v5, 0xffffff81, v22
	v_mov_b32_e32 v13, 0xffffff82
	v_cndmask_b32_e32 v5, v5, v13, vcc
	v_lshrrev_b32_e32 v13, 23, v12
	v_add3_u32 v22, v23, v5, v13
	v_add_u32_e32 v5, 6, v22
	v_and_b32_e32 v4, 0xfffff, v4
	v_add_u32_e32 v12, v4, v12
	v_mov_b32_e32 v13, v51
	v_cmp_ne_u32_e32 vcc, 0, v5
                                        ; implicit-def: $vgpr4
	s_and_saveexec_b64 s[28:29], vcc
	s_xor_b64 s[28:29], exec, s[28:29]
; %bb.7128:                             ;   in Loop: Header=BB6_4406 Depth=4
	v_cmp_lt_u64_e32 vcc, s[88:89], v[12:13]
	v_add_u32_e32 v4, 7, v22
	v_cndmask_b32_e32 v4, v5, v4, vcc
	v_cndmask_b32_e64 v5, 0, 1, vcc
	v_lshrrev_b64 v[12:13], v5, v[12:13]
; %bb.7129:                             ;   in Loop: Header=BB6_4406 Depth=4
	s_andn2_saveexec_b64 s[28:29], s[28:29]
; %bb.7130:                             ;   in Loop: Header=BB6_4406 Depth=4
	v_bfe_u32 v4, v12, 23, 1
; %bb.7131:                             ;   in Loop: Header=BB6_4406 Depth=4
	s_or_b64 exec, exec, s[28:29]
	v_lshrrev_b64 v[12:13], 20, v[12:13]
	v_cmp_gt_i32_e32 vcc, 16, v4
	v_cndmask_b32_e32 v13, 0, v13, vcc
	v_cndmask_b32_e32 v12, 7, v12, vcc
	v_cmp_eq_u32_e32 vcc, 0, v4
	v_min_i32_e32 v4, 15, v4
	v_cmp_eq_u64_e64 s[28:29], 0, v[12:13]
	v_lshlrev_b32_e32 v4, 3, v4
	v_and_b32_e32 v4, 0xf8, v4
	v_and_or_b32 v4, v12, 7, v4
	s_and_b64 s[28:29], vcc, s[28:29]
	v_cndmask_b32_e64 v4, v4, 0, s[28:29]
	v_or_b32_e32 v24, v4, v3
.LBB6_7132:                             ;   in Loop: Header=BB6_4406 Depth=4
	s_or_b64 exec, exec, s[36:37]
                                        ; implicit-def: $vgpr3
.LBB6_7133:                             ;   in Loop: Header=BB6_4406 Depth=4
	s_andn2_saveexec_b64 s[28:29], s[34:35]
; %bb.7134:                             ;   in Loop: Header=BB6_4406 Depth=4
	v_or_b32_e32 v24, 0x7e, v3
; %bb.7135:                             ;   in Loop: Header=BB6_4406 Depth=4
	s_or_b64 exec, exec, s[28:29]
                                        ; implicit-def: $vgpr4
.LBB6_7136:                             ;   in Loop: Header=BB6_4406 Depth=4
	s_andn2_saveexec_b64 s[28:29], s[30:31]
; %bb.7137:                             ;   in Loop: Header=BB6_4406 Depth=4
	v_or_b32_sdwa v24, v4, s86 dst_sel:DWORD dst_unused:UNUSED_PAD src0_sel:BYTE_3 src1_sel:DWORD
; %bb.7138:                             ;   in Loop: Header=BB6_4406 Depth=4
	s_or_b64 exec, exec, s[28:29]
	v_cmp_lt_u32_e32 vcc, s57, v50
	v_mov_b32_e32 v3, 0
	v_mov_b32_e32 v4, 0
	s_and_saveexec_b64 s[28:29], vcc
	s_cbranch_execz .LBB6_7144
; %bb.7139:                             ;   in Loop: Header=BB6_4406 Depth=4
	v_lshrrev_b32_e32 v12, 24, v50
	v_cmp_ne_u32_sdwa vcc, v50, s96 src0_sel:BYTE_3 src1_sel:DWORD
	v_bfrev_b32_e32 v4, 1
	s_and_saveexec_b64 s[30:31], vcc
	s_cbranch_execz .LBB6_7143
; %bb.7140:                             ;   in Loop: Header=BB6_4406 Depth=4
	v_bfe_u32 v5, v50, 24, 7
	v_cmp_ne_u32_e32 vcc, s86, v5
	v_mov_b32_e32 v4, 0x7f800001
	s_and_saveexec_b64 s[34:35], vcc
	s_cbranch_execz .LBB6_7142
; %bb.7141:                             ;   in Loop: Header=BB6_4406 Depth=4
	v_and_b32_e32 v13, 7, v12
	v_ffbh_u32_e32 v4, v13
	v_min_u32_e32 v21, 32, v4
	v_subrev_u32_e32 v4, 28, v21
	v_lshrrev_b32_e32 v20, 3, v5
	v_cmp_gt_u32_e32 vcc, 8, v5
	v_lshlrev_b64 v[4:5], v4, v[12:13]
	v_sub_u32_e32 v5, 29, v21
	v_and_b32_e32 v4, 7, v4
	v_mov_b32_e32 v12, 24
	v_cndmask_b32_e32 v5, v20, v5, vcc
	v_cndmask_b32_e32 v4, v13, v4, vcc
	v_lshlrev_b32_sdwa v12, v12, v50 dst_sel:DWORD dst_unused:UNUSED_PAD src0_sel:DWORD src1_sel:BYTE_3
	v_bfrev_b32_e32 v13, 60
	v_lshlrev_b32_e32 v4, 20, v4
	v_and_b32_e32 v12, 0x80000000, v12
	v_lshl_add_u32 v5, v5, 23, v13
	v_or3_b32 v4, v12, v5, v4
.LBB6_7142:                             ;   in Loop: Header=BB6_4406 Depth=4
	s_or_b64 exec, exec, s[34:35]
.LBB6_7143:                             ;   in Loop: Header=BB6_4406 Depth=4
	s_or_b64 exec, exec, s[30:31]
.LBB6_7144:                             ;   in Loop: Header=BB6_4406 Depth=4
	s_or_b64 exec, exec, s[28:29]
	v_cmp_lt_u64_e32 vcc, s[56:57], v[14:15]
	s_and_saveexec_b64 s[28:29], vcc
	s_cbranch_execz .LBB6_7150
; %bb.7145:                             ;   in Loop: Header=BB6_4406 Depth=4
	v_lshrrev_b32_e32 v12, 24, v15
	v_cmp_ne_u32_e32 vcc, s96, v12
	v_bfrev_b32_e32 v3, 1
	s_and_saveexec_b64 s[30:31], vcc
	s_cbranch_execz .LBB6_7149
; %bb.7146:                             ;   in Loop: Header=BB6_4406 Depth=4
	v_bfe_u32 v5, v15, 24, 7
	v_cmp_ne_u32_e32 vcc, s86, v5
	v_mov_b32_e32 v3, 0x7f800001
	s_and_saveexec_b64 s[34:35], vcc
	s_cbranch_execz .LBB6_7148
; %bb.7147:                             ;   in Loop: Header=BB6_4406 Depth=4
	v_and_b32_e32 v3, 7, v12
	v_lshrrev_b32_e32 v15, 3, v5
	v_cmp_gt_u32_e32 vcc, 8, v5
	v_ffbh_u32_e32 v5, v3
	v_min_u32_e32 v5, 32, v5
	v_subrev_u32_e32 v13, 28, v5
	v_lshlrev_b64 v[13:14], v13, v[12:13]
	v_sub_u32_e32 v5, 29, v5
	v_and_b32_e32 v13, 7, v13
	v_cndmask_b32_e32 v5, v15, v5, vcc
	v_cndmask_b32_e32 v3, v3, v13, vcc
	v_lshlrev_b32_e32 v12, 24, v12
	v_bfrev_b32_e32 v13, 60
	v_lshlrev_b32_e32 v3, 20, v3
	v_and_b32_e32 v12, 0x80000000, v12
	v_lshl_add_u32 v5, v5, 23, v13
	v_or3_b32 v3, v12, v5, v3
.LBB6_7148:                             ;   in Loop: Header=BB6_4406 Depth=4
	s_or_b64 exec, exec, s[34:35]
.LBB6_7149:                             ;   in Loop: Header=BB6_4406 Depth=4
	s_or_b64 exec, exec, s[30:31]
.LBB6_7150:                             ;   in Loop: Header=BB6_4406 Depth=4
	s_or_b64 exec, exec, s[28:29]
	v_add_f32_e32 v4, v4, v3
	v_and_b32_e32 v50, 0x7f800000, v4
	v_cmp_ne_u64_e32 vcc, s[76:77], v[50:51]
                                        ; implicit-def: $vgpr14
	s_and_saveexec_b64 s[28:29], vcc
	s_xor_b64 s[30:31], exec, s[28:29]
	s_cbranch_execz .LBB6_7164
; %bb.7151:                             ;   in Loop: Header=BB6_4406 Depth=4
	v_and_b32_e32 v50, 0x7fffffff, v4
	v_cmp_gt_u64_e32 vcc, s[78:79], v[50:51]
	v_and_b32_sdwa v3, v4, s96 dst_sel:DWORD dst_unused:UNUSED_PAD src0_sel:BYTE_3 src1_sel:DWORD
                                        ; implicit-def: $vgpr14
	s_and_saveexec_b64 s[28:29], vcc
	s_xor_b64 s[34:35], exec, s[28:29]
	s_cbranch_execz .LBB6_7161
; %bb.7152:                             ;   in Loop: Header=BB6_4406 Depth=4
	v_mov_b32_e32 v14, 0
	v_cmp_ne_u32_e32 vcc, 0, v4
	s_and_saveexec_b64 s[36:37], vcc
	s_cbranch_execz .LBB6_7160
; %bb.7153:                             ;   in Loop: Header=BB6_4406 Depth=4
	v_bfe_u32 v14, v4, 23, 8
	v_and_b32_e32 v5, 0x7fffff, v4
	v_cmp_gt_u32_e64 s[28:29], s97, v14
	v_sub_u32_e32 v4, 0x79, v14
	v_cmp_eq_u32_e32 vcc, 0, v14
	v_cndmask_b32_e64 v4, 0, v4, s[28:29]
	v_mov_b32_e32 v13, 0x78
	v_cndmask_b32_e32 v15, v4, v13, vcc
	v_or_b32_e32 v12, 0x800000, v5
	v_add_u32_e32 v4, 20, v15
	v_cndmask_b32_e32 v50, v12, v5, vcc
	v_lshlrev_b64 v[4:5], v4, -1
	v_add_u32_e32 v12, 19, v15
	v_lshlrev_b64 v[12:13], v12, 1
	v_bfi_b32 v5, v5, 0, 0
	v_bfi_b32 v4, v4, 0, v50
	v_cmp_eq_u64_e64 s[28:29], v[4:5], v[12:13]
	v_lshrrev_b64 v[12:13], v15, v[50:51]
	v_mov_b32_e32 v4, v12
	v_mov_b32_e32 v5, v13
	s_and_saveexec_b64 s[38:39], s[28:29]
; %bb.7154:                             ;   in Loop: Header=BB6_4406 Depth=4
	v_bfe_u32 v4, v12, 20, 1
	v_add_co_u32_e64 v4, s[28:29], v12, v4
	v_add_co_u32_e64 v4, s[28:29], -1, v4
; %bb.7155:                             ;   in Loop: Header=BB6_4406 Depth=4
	s_or_b64 exec, exec, s[38:39]
	v_add_u32_e32 v5, 0xffffff81, v14
	v_mov_b32_e32 v13, 0xffffff82
	v_cndmask_b32_e32 v5, v5, v13, vcc
	v_lshrrev_b32_e32 v13, 23, v12
	v_add3_u32 v14, v15, v5, v13
	v_add_u32_e32 v5, 6, v14
	v_and_b32_e32 v4, 0xfffff, v4
	v_add_u32_e32 v50, v4, v12
	v_cmp_ne_u32_e32 vcc, 0, v5
                                        ; implicit-def: $vgpr12_vgpr13
                                        ; implicit-def: $vgpr4
	s_and_saveexec_b64 s[28:29], vcc
	s_xor_b64 s[28:29], exec, s[28:29]
; %bb.7156:                             ;   in Loop: Header=BB6_4406 Depth=4
	v_cmp_lt_u64_e32 vcc, s[88:89], v[50:51]
	v_add_u32_e32 v4, 7, v14
	v_cndmask_b32_e32 v4, v5, v4, vcc
	v_cndmask_b32_e64 v5, 0, 1, vcc
	v_lshrrev_b64 v[12:13], v5, v[50:51]
; %bb.7157:                             ;   in Loop: Header=BB6_4406 Depth=4
	s_andn2_saveexec_b64 s[28:29], s[28:29]
; %bb.7158:                             ;   in Loop: Header=BB6_4406 Depth=4
	v_mov_b32_e32 v12, v50
	v_bfe_u32 v4, v50, 23, 1
	v_mov_b32_e32 v13, v51
; %bb.7159:                             ;   in Loop: Header=BB6_4406 Depth=4
	s_or_b64 exec, exec, s[28:29]
	v_lshrrev_b64 v[12:13], 20, v[12:13]
	v_cmp_gt_i32_e32 vcc, 16, v4
	v_cndmask_b32_e32 v13, 0, v13, vcc
	v_cndmask_b32_e32 v12, 7, v12, vcc
	v_cmp_eq_u32_e32 vcc, 0, v4
	v_min_i32_e32 v4, 15, v4
	v_cmp_eq_u64_e64 s[28:29], 0, v[12:13]
	v_lshlrev_b32_e32 v4, 3, v4
	v_and_b32_e32 v4, 0xf8, v4
	v_and_or_b32 v4, v12, 7, v4
	s_and_b64 s[28:29], vcc, s[28:29]
	v_cndmask_b32_e64 v4, v4, 0, s[28:29]
	v_or_b32_e32 v14, v4, v3
.LBB6_7160:                             ;   in Loop: Header=BB6_4406 Depth=4
	s_or_b64 exec, exec, s[36:37]
                                        ; implicit-def: $vgpr3
.LBB6_7161:                             ;   in Loop: Header=BB6_4406 Depth=4
	s_andn2_saveexec_b64 s[28:29], s[34:35]
; %bb.7162:                             ;   in Loop: Header=BB6_4406 Depth=4
	v_or_b32_e32 v14, 0x7e, v3
; %bb.7163:                             ;   in Loop: Header=BB6_4406 Depth=4
	s_or_b64 exec, exec, s[28:29]
                                        ; implicit-def: $vgpr4
.LBB6_7164:                             ;   in Loop: Header=BB6_4406 Depth=4
	s_andn2_saveexec_b64 s[28:29], s[30:31]
; %bb.7165:                             ;   in Loop: Header=BB6_4406 Depth=4
	v_or_b32_sdwa v14, v4, s86 dst_sel:DWORD dst_unused:UNUSED_PAD src0_sel:BYTE_3 src1_sel:DWORD
; %bb.7166:                             ;   in Loop: Header=BB6_4406 Depth=4
	s_or_b64 exec, exec, s[28:29]
	buffer_load_dword v4, off, s[0:3], s33 offset:152 ; 4-byte Folded Reload
	buffer_load_dword v5, off, s[0:3], s33 offset:172 ; 4-byte Folded Reload
	v_lshl_or_b32 v3, v41, 8, v55
	v_cmp_ne_u32_e32 vcc, 0, v55
	s_waitcnt vmcnt(1)
	v_lshlrev_b32_e32 v4, 16, v4
	s_waitcnt vmcnt(0)
	v_lshlrev_b32_e32 v5, 24, v5
	v_or3_b32 v50, v4, v5, v3
	v_mov_b32_e32 v4, 0
	v_mov_b32_e32 v5, 0
	s_and_saveexec_b64 s[28:29], vcc
	s_cbranch_execz .LBB6_7172
; %bb.7167:                             ;   in Loop: Header=BB6_4406 Depth=4
	v_cmp_ne_u32_e32 vcc, s96, v55
	v_bfrev_b32_e32 v5, 1
	s_and_saveexec_b64 s[30:31], vcc
	s_cbranch_execz .LBB6_7171
; %bb.7168:                             ;   in Loop: Header=BB6_4406 Depth=4
	v_and_b32_e32 v12, 0x7f, v55
	v_cmp_ne_u32_e32 vcc, s86, v12
	v_mov_b32_e32 v5, 0x7f800001
	s_and_saveexec_b64 s[34:35], vcc
	s_cbranch_execz .LBB6_7170
; %bb.7169:                             ;   in Loop: Header=BB6_4406 Depth=4
	v_and_b32_e32 v5, 7, v55
	v_ffbh_u32_e32 v5, v5
	v_min_u32_e32 v5, 32, v5
	v_lshrrev_b32_e32 v13, 3, v12
	v_cmp_gt_u32_e32 vcc, 8, v12
	v_subrev_u32_e32 v12, 28, v5
	v_sub_u32_e32 v5, 29, v5
	v_cndmask_b32_e32 v12, 0, v12, vcc
	v_cndmask_b32_e32 v5, v13, v5, vcc
	v_lshlrev_b64 v[12:13], v12, v[50:51]
	v_lshlrev_b32_e32 v13, 24, v50
	v_lshlrev_b32_e32 v12, 20, v12
	v_bfrev_b32_e32 v15, 60
	v_and_b32_e32 v12, 0x700000, v12
	v_and_b32_e32 v13, 0x80000000, v13
	v_lshl_add_u32 v5, v5, 23, v15
	v_or3_b32 v5, v13, v5, v12
.LBB6_7170:                             ;   in Loop: Header=BB6_4406 Depth=4
	s_or_b64 exec, exec, s[34:35]
.LBB6_7171:                             ;   in Loop: Header=BB6_4406 Depth=4
	s_or_b64 exec, exec, s[30:31]
.LBB6_7172:                             ;   in Loop: Header=BB6_4406 Depth=4
	s_or_b64 exec, exec, s[28:29]
	v_cmp_ne_u16_sdwa vcc, v8, v51 src0_sel:BYTE_0 src1_sel:DWORD
	s_and_saveexec_b64 s[28:29], vcc
	s_cbranch_execz .LBB6_7178
; %bb.7173:                             ;   in Loop: Header=BB6_4406 Depth=4
	v_cmp_ne_u16_sdwa vcc, v8, s96 src0_sel:BYTE_0 src1_sel:DWORD
	v_bfrev_b32_e32 v4, 1
	s_and_saveexec_b64 s[30:31], vcc
	s_cbranch_execz .LBB6_7177
; %bb.7174:                             ;   in Loop: Header=BB6_4406 Depth=4
	v_and_b32_e32 v12, 0x7f, v8
	v_cmp_ne_u32_e32 vcc, s86, v12
	v_mov_b32_e32 v4, 0x7f800001
	s_and_saveexec_b64 s[34:35], vcc
	s_cbranch_execz .LBB6_7176
; %bb.7175:                             ;   in Loop: Header=BB6_4406 Depth=4
	v_and_b32_e32 v4, 7, v8
	v_ffbh_u32_e32 v4, v4
	v_min_u32_e32 v4, 32, v4
	v_lshrrev_b32_e32 v13, 3, v12
	v_cmp_gt_u32_e32 vcc, 8, v12
	v_subrev_u32_e32 v12, 28, v4
	v_sub_u32_e32 v4, 29, v4
	v_cndmask_b32_e32 v12, 0, v12, vcc
	v_cndmask_b32_e32 v4, v13, v4, vcc
	v_lshlrev_b64 v[12:13], v12, v[8:9]
	v_lshlrev_b32_e32 v13, 24, v8
	v_lshlrev_b32_e32 v12, 20, v12
	v_bfrev_b32_e32 v15, 60
	v_and_b32_e32 v12, 0x700000, v12
	v_and_b32_e32 v13, 0x80000000, v13
	v_lshl_add_u32 v4, v4, 23, v15
	v_or3_b32 v4, v13, v4, v12
.LBB6_7176:                             ;   in Loop: Header=BB6_4406 Depth=4
	s_or_b64 exec, exec, s[34:35]
.LBB6_7177:                             ;   in Loop: Header=BB6_4406 Depth=4
	s_or_b64 exec, exec, s[30:31]
.LBB6_7178:                             ;   in Loop: Header=BB6_4406 Depth=4
	s_or_b64 exec, exec, s[28:29]
	v_add_f32_e32 v4, v5, v4
	v_and_b32_e32 v12, 0x7f800000, v4
	v_mov_b32_e32 v13, v51
	v_cmp_ne_u64_e32 vcc, s[76:77], v[12:13]
                                        ; implicit-def: $vgpr15
	s_and_saveexec_b64 s[28:29], vcc
	s_xor_b64 s[30:31], exec, s[28:29]
	s_cbranch_execz .LBB6_7192
; %bb.7179:                             ;   in Loop: Header=BB6_4406 Depth=4
	v_and_b32_e32 v12, 0x7fffffff, v4
	v_mov_b32_e32 v13, v51
	v_cmp_gt_u64_e32 vcc, s[78:79], v[12:13]
	v_and_b32_sdwa v22, v4, s96 dst_sel:DWORD dst_unused:UNUSED_PAD src0_sel:BYTE_3 src1_sel:DWORD
                                        ; implicit-def: $vgpr15
	s_and_saveexec_b64 s[28:29], vcc
	s_xor_b64 s[34:35], exec, s[28:29]
	s_cbranch_execz .LBB6_7189
; %bb.7180:                             ;   in Loop: Header=BB6_4406 Depth=4
	v_mov_b32_e32 v15, 0
	v_cmp_ne_u32_e32 vcc, 0, v4
	s_and_saveexec_b64 s[36:37], vcc
	s_cbranch_execz .LBB6_7188
; %bb.7181:                             ;   in Loop: Header=BB6_4406 Depth=4
	v_bfe_u32 v15, v4, 23, 8
	v_and_b32_e32 v5, 0x7fffff, v4
	v_cmp_gt_u32_e64 s[28:29], s97, v15
	v_sub_u32_e32 v4, 0x79, v15
	v_cmp_eq_u32_e32 vcc, 0, v15
	v_cndmask_b32_e64 v4, 0, v4, s[28:29]
	v_mov_b32_e32 v13, 0x78
	v_or_b32_e32 v12, 0x800000, v5
	v_cndmask_b32_e32 v23, v4, v13, vcc
	v_cndmask_b32_e32 v4, v12, v5, vcc
	v_add_u32_e32 v12, 20, v23
	v_lshlrev_b64 v[12:13], v12, -1
	v_add_u32_e32 v20, 19, v23
	v_lshlrev_b64 v[38:39], v20, 1
	v_mov_b32_e32 v5, v51
	v_bfi_b32 v13, v13, 0, 0
	v_bfi_b32 v12, v12, 0, v4
	v_cmp_eq_u64_e64 s[28:29], v[12:13], v[38:39]
	v_lshrrev_b64 v[12:13], v23, v[4:5]
	v_mov_b32_e32 v4, v12
	v_mov_b32_e32 v5, v13
	s_and_saveexec_b64 s[38:39], s[28:29]
; %bb.7182:                             ;   in Loop: Header=BB6_4406 Depth=4
	v_bfe_u32 v4, v12, 20, 1
	v_add_co_u32_e64 v4, s[28:29], v12, v4
	v_add_co_u32_e64 v4, s[28:29], -1, v4
; %bb.7183:                             ;   in Loop: Header=BB6_4406 Depth=4
	s_or_b64 exec, exec, s[38:39]
	v_add_u32_e32 v5, 0xffffff81, v15
	v_mov_b32_e32 v13, 0xffffff82
	v_cndmask_b32_e32 v5, v5, v13, vcc
	v_lshrrev_b32_e32 v13, 23, v12
	v_add3_u32 v15, v23, v5, v13
	v_add_u32_e32 v5, 6, v15
	v_and_b32_e32 v4, 0xfffff, v4
	v_add_u32_e32 v12, v4, v12
	v_mov_b32_e32 v13, v51
	v_cmp_ne_u32_e32 vcc, 0, v5
                                        ; implicit-def: $vgpr4
	s_and_saveexec_b64 s[28:29], vcc
	s_xor_b64 s[28:29], exec, s[28:29]
; %bb.7184:                             ;   in Loop: Header=BB6_4406 Depth=4
	v_cmp_lt_u64_e32 vcc, s[88:89], v[12:13]
	v_add_u32_e32 v4, 7, v15
	v_cndmask_b32_e32 v4, v5, v4, vcc
	v_cndmask_b32_e64 v5, 0, 1, vcc
	v_lshrrev_b64 v[12:13], v5, v[12:13]
; %bb.7185:                             ;   in Loop: Header=BB6_4406 Depth=4
	s_andn2_saveexec_b64 s[28:29], s[28:29]
; %bb.7186:                             ;   in Loop: Header=BB6_4406 Depth=4
	v_bfe_u32 v4, v12, 23, 1
; %bb.7187:                             ;   in Loop: Header=BB6_4406 Depth=4
	s_or_b64 exec, exec, s[28:29]
	v_lshrrev_b64 v[12:13], 20, v[12:13]
	v_cmp_gt_i32_e32 vcc, 16, v4
	v_cndmask_b32_e32 v13, 0, v13, vcc
	v_cndmask_b32_e32 v12, 7, v12, vcc
	v_cmp_eq_u32_e32 vcc, 0, v4
	v_min_i32_e32 v4, 15, v4
	v_cmp_eq_u64_e64 s[28:29], 0, v[12:13]
	v_lshlrev_b32_e32 v4, 3, v4
	v_and_b32_e32 v4, 0xf8, v4
	v_and_or_b32 v4, v12, 7, v4
	s_and_b64 s[28:29], vcc, s[28:29]
	v_cndmask_b32_e64 v4, v4, 0, s[28:29]
	v_or_b32_e32 v15, v4, v22
.LBB6_7188:                             ;   in Loop: Header=BB6_4406 Depth=4
	s_or_b64 exec, exec, s[36:37]
                                        ; implicit-def: $vgpr22
.LBB6_7189:                             ;   in Loop: Header=BB6_4406 Depth=4
	s_andn2_saveexec_b64 s[28:29], s[34:35]
; %bb.7190:                             ;   in Loop: Header=BB6_4406 Depth=4
	v_or_b32_e32 v15, 0x7e, v22
; %bb.7191:                             ;   in Loop: Header=BB6_4406 Depth=4
	s_or_b64 exec, exec, s[28:29]
                                        ; implicit-def: $vgpr4
.LBB6_7192:                             ;   in Loop: Header=BB6_4406 Depth=4
	s_andn2_saveexec_b64 s[28:29], s[30:31]
; %bb.7193:                             ;   in Loop: Header=BB6_4406 Depth=4
	v_or_b32_sdwa v15, v4, s86 dst_sel:DWORD dst_unused:UNUSED_PAD src0_sel:BYTE_3 src1_sel:DWORD
; %bb.7194:                             ;   in Loop: Header=BB6_4406 Depth=4
	s_or_b64 exec, exec, s[28:29]
	v_lshrrev_b16_e32 v12, 8, v3
	v_cmp_ne_u16_e32 vcc, 0, v12
	v_mov_b32_e32 v4, 0
	v_mov_b32_e32 v5, 0
	s_and_saveexec_b64 s[28:29], vcc
	s_cbranch_execz .LBB6_7200
; %bb.7195:                             ;   in Loop: Header=BB6_4406 Depth=4
	v_cmp_ne_u16_e32 vcc, s96, v12
	v_bfrev_b32_e32 v5, 1
	s_and_saveexec_b64 s[30:31], vcc
	s_cbranch_execz .LBB6_7199
; %bb.7196:                             ;   in Loop: Header=BB6_4406 Depth=4
	v_and_b32_e32 v13, 0x7f, v12
	v_cmp_ne_u32_e32 vcc, s86, v13
	v_mov_b32_e32 v5, 0x7f800001
	s_and_saveexec_b64 s[34:35], vcc
	s_cbranch_execz .LBB6_7198
; %bb.7197:                             ;   in Loop: Header=BB6_4406 Depth=4
	v_and_b32_e32 v5, 7, v12
	v_lshrrev_b32_e32 v20, 3, v13
	v_cmp_gt_u32_e32 vcc, 8, v13
	v_ffbh_u32_e32 v13, v5
	v_min_u32_e32 v21, 32, v13
	v_subrev_u32_e32 v13, 28, v21
	v_lshlrev_b64 v[12:13], v13, v[12:13]
	v_sub_u32_e32 v13, 29, v21
	v_and_b32_e32 v12, 7, v12
	v_cndmask_b32_e32 v13, v20, v13, vcc
	v_cndmask_b32_e32 v5, v5, v12, vcc
	v_lshlrev_b32_e32 v3, 16, v3
	v_bfrev_b32_e32 v12, 60
	v_lshlrev_b32_e32 v5, 20, v5
	v_and_b32_e32 v3, 0x80000000, v3
	v_lshl_add_u32 v12, v13, 23, v12
	v_or3_b32 v5, v3, v12, v5
.LBB6_7198:                             ;   in Loop: Header=BB6_4406 Depth=4
	s_or_b64 exec, exec, s[34:35]
.LBB6_7199:                             ;   in Loop: Header=BB6_4406 Depth=4
	s_or_b64 exec, exec, s[30:31]
.LBB6_7200:                             ;   in Loop: Header=BB6_4406 Depth=4
	s_or_b64 exec, exec, s[28:29]
	v_lshrrev_b16_e32 v12, 8, v8
	v_cmp_ne_u16_e32 vcc, 0, v12
	s_and_saveexec_b64 s[28:29], vcc
	s_cbranch_execz .LBB6_7206
; %bb.7201:                             ;   in Loop: Header=BB6_4406 Depth=4
	v_cmp_ne_u16_e32 vcc, s96, v12
	v_bfrev_b32_e32 v4, 1
	s_and_saveexec_b64 s[30:31], vcc
	s_cbranch_execz .LBB6_7205
; %bb.7202:                             ;   in Loop: Header=BB6_4406 Depth=4
	v_and_b32_e32 v3, 0x7f, v12
	v_cmp_ne_u32_e32 vcc, s86, v3
	v_mov_b32_e32 v4, 0x7f800001
	s_and_saveexec_b64 s[34:35], vcc
	s_cbranch_execz .LBB6_7204
; %bb.7203:                             ;   in Loop: Header=BB6_4406 Depth=4
	v_and_b32_e32 v13, 7, v12
	v_lshrrev_b32_e32 v20, 3, v3
	v_cmp_gt_u32_e32 vcc, 8, v3
	v_ffbh_u32_e32 v3, v13
	v_min_u32_e32 v21, 32, v3
	v_subrev_u32_e32 v3, 28, v21
	v_lshlrev_b64 v[3:4], v3, v[12:13]
	v_sub_u32_e32 v4, 29, v21
	v_and_b32_e32 v3, 7, v3
	v_cndmask_b32_e32 v4, v20, v4, vcc
	v_cndmask_b32_e32 v3, v13, v3, vcc
	v_lshlrev_b32_e32 v12, 16, v8
	v_bfrev_b32_e32 v13, 60
	v_lshlrev_b32_e32 v3, 20, v3
	v_and_b32_e32 v12, 0x80000000, v12
	v_lshl_add_u32 v4, v4, 23, v13
	v_or3_b32 v4, v12, v4, v3
.LBB6_7204:                             ;   in Loop: Header=BB6_4406 Depth=4
	s_or_b64 exec, exec, s[34:35]
.LBB6_7205:                             ;   in Loop: Header=BB6_4406 Depth=4
	s_or_b64 exec, exec, s[30:31]
.LBB6_7206:                             ;   in Loop: Header=BB6_4406 Depth=4
	s_or_b64 exec, exec, s[28:29]
	v_add_f32_e32 v4, v5, v4
	v_and_b32_e32 v12, 0x7f800000, v4
	v_mov_b32_e32 v13, v51
	v_cmp_ne_u64_e32 vcc, s[76:77], v[12:13]
                                        ; implicit-def: $vgpr55
	s_and_saveexec_b64 s[28:29], vcc
	s_xor_b64 s[30:31], exec, s[28:29]
	s_cbranch_execz .LBB6_7220
; %bb.7207:                             ;   in Loop: Header=BB6_4406 Depth=4
	v_and_b32_e32 v12, 0x7fffffff, v4
	v_mov_b32_e32 v13, v51
	v_cmp_gt_u64_e32 vcc, s[78:79], v[12:13]
	v_and_b32_sdwa v3, v4, s96 dst_sel:DWORD dst_unused:UNUSED_PAD src0_sel:BYTE_3 src1_sel:DWORD
                                        ; implicit-def: $vgpr55
	s_and_saveexec_b64 s[28:29], vcc
	s_xor_b64 s[34:35], exec, s[28:29]
	s_cbranch_execz .LBB6_7217
; %bb.7208:                             ;   in Loop: Header=BB6_4406 Depth=4
	v_mov_b32_e32 v55, 0
	v_cmp_ne_u32_e32 vcc, 0, v4
	s_and_saveexec_b64 s[36:37], vcc
	s_cbranch_execz .LBB6_7216
; %bb.7209:                             ;   in Loop: Header=BB6_4406 Depth=4
	v_bfe_u32 v22, v4, 23, 8
	v_and_b32_e32 v5, 0x7fffff, v4
	v_cmp_gt_u32_e64 s[28:29], s97, v22
	v_sub_u32_e32 v4, 0x79, v22
	v_cmp_eq_u32_e32 vcc, 0, v22
	v_cndmask_b32_e64 v4, 0, v4, s[28:29]
	v_mov_b32_e32 v13, 0x78
	v_or_b32_e32 v12, 0x800000, v5
	v_cndmask_b32_e32 v23, v4, v13, vcc
	v_cndmask_b32_e32 v4, v12, v5, vcc
	v_add_u32_e32 v12, 20, v23
	v_lshlrev_b64 v[12:13], v12, -1
	v_add_u32_e32 v20, 19, v23
	v_lshlrev_b64 v[38:39], v20, 1
	v_mov_b32_e32 v5, v51
	v_bfi_b32 v13, v13, 0, 0
	v_bfi_b32 v12, v12, 0, v4
	v_cmp_eq_u64_e64 s[28:29], v[12:13], v[38:39]
	v_lshrrev_b64 v[12:13], v23, v[4:5]
	v_mov_b32_e32 v4, v12
	v_mov_b32_e32 v5, v13
	s_and_saveexec_b64 s[38:39], s[28:29]
; %bb.7210:                             ;   in Loop: Header=BB6_4406 Depth=4
	v_bfe_u32 v4, v12, 20, 1
	v_add_co_u32_e64 v4, s[28:29], v12, v4
	v_add_co_u32_e64 v4, s[28:29], -1, v4
; %bb.7211:                             ;   in Loop: Header=BB6_4406 Depth=4
	s_or_b64 exec, exec, s[38:39]
	v_add_u32_e32 v5, 0xffffff81, v22
	v_mov_b32_e32 v13, 0xffffff82
	v_cndmask_b32_e32 v5, v5, v13, vcc
	v_lshrrev_b32_e32 v13, 23, v12
	v_add3_u32 v22, v23, v5, v13
	v_add_u32_e32 v5, 6, v22
	v_and_b32_e32 v4, 0xfffff, v4
	v_add_u32_e32 v12, v4, v12
	v_mov_b32_e32 v13, v51
	v_cmp_ne_u32_e32 vcc, 0, v5
                                        ; implicit-def: $vgpr4
	s_and_saveexec_b64 s[28:29], vcc
	s_xor_b64 s[28:29], exec, s[28:29]
; %bb.7212:                             ;   in Loop: Header=BB6_4406 Depth=4
	v_cmp_lt_u64_e32 vcc, s[88:89], v[12:13]
	v_add_u32_e32 v4, 7, v22
	v_cndmask_b32_e32 v4, v5, v4, vcc
	v_cndmask_b32_e64 v5, 0, 1, vcc
	v_lshrrev_b64 v[12:13], v5, v[12:13]
; %bb.7213:                             ;   in Loop: Header=BB6_4406 Depth=4
	s_andn2_saveexec_b64 s[28:29], s[28:29]
; %bb.7214:                             ;   in Loop: Header=BB6_4406 Depth=4
	v_bfe_u32 v4, v12, 23, 1
; %bb.7215:                             ;   in Loop: Header=BB6_4406 Depth=4
	s_or_b64 exec, exec, s[28:29]
	v_lshrrev_b64 v[12:13], 20, v[12:13]
	v_cmp_gt_i32_e32 vcc, 16, v4
	v_cndmask_b32_e32 v13, 0, v13, vcc
	v_cndmask_b32_e32 v12, 7, v12, vcc
	v_cmp_eq_u32_e32 vcc, 0, v4
	v_min_i32_e32 v4, 15, v4
	v_cmp_eq_u64_e64 s[28:29], 0, v[12:13]
	v_lshlrev_b32_e32 v4, 3, v4
	v_and_b32_e32 v4, 0xf8, v4
	v_and_or_b32 v4, v12, 7, v4
	s_and_b64 s[28:29], vcc, s[28:29]
	v_cndmask_b32_e64 v4, v4, 0, s[28:29]
	v_or_b32_e32 v55, v4, v3
.LBB6_7216:                             ;   in Loop: Header=BB6_4406 Depth=4
	s_or_b64 exec, exec, s[36:37]
                                        ; implicit-def: $vgpr3
.LBB6_7217:                             ;   in Loop: Header=BB6_4406 Depth=4
	s_andn2_saveexec_b64 s[28:29], s[34:35]
; %bb.7218:                             ;   in Loop: Header=BB6_4406 Depth=4
	v_or_b32_e32 v55, 0x7e, v3
; %bb.7219:                             ;   in Loop: Header=BB6_4406 Depth=4
	s_or_b64 exec, exec, s[28:29]
                                        ; implicit-def: $vgpr4
.LBB6_7220:                             ;   in Loop: Header=BB6_4406 Depth=4
	s_andn2_saveexec_b64 s[28:29], s[30:31]
; %bb.7221:                             ;   in Loop: Header=BB6_4406 Depth=4
	v_or_b32_sdwa v55, v4, s86 dst_sel:DWORD dst_unused:UNUSED_PAD src0_sel:BYTE_3 src1_sel:DWORD
; %bb.7222:                             ;   in Loop: Header=BB6_4406 Depth=4
	s_or_b64 exec, exec, s[28:29]
	v_lshrrev_b32_e32 v12, 16, v50
	v_cmp_ne_u16_sdwa vcc, v12, v51 src0_sel:BYTE_0 src1_sel:DWORD
	v_mov_b32_e32 v3, 0
	v_mov_b32_e32 v4, 0
	s_and_saveexec_b64 s[28:29], vcc
	s_cbranch_execz .LBB6_7228
; %bb.7223:                             ;   in Loop: Header=BB6_4406 Depth=4
	v_cmp_ne_u16_sdwa vcc, v12, s96 src0_sel:BYTE_0 src1_sel:DWORD
	v_bfrev_b32_e32 v4, 1
	s_and_saveexec_b64 s[30:31], vcc
	s_cbranch_execz .LBB6_7227
; %bb.7224:                             ;   in Loop: Header=BB6_4406 Depth=4
	v_bfe_u32 v5, v50, 16, 7
	v_cmp_ne_u32_e32 vcc, s86, v5
	v_mov_b32_e32 v4, 0x7f800001
	s_and_saveexec_b64 s[34:35], vcc
	s_cbranch_execz .LBB6_7226
; %bb.7225:                             ;   in Loop: Header=BB6_4406 Depth=4
	v_and_b32_e32 v13, 7, v12
	v_ffbh_u32_e32 v4, v13
	v_min_u32_e32 v21, 32, v4
	v_subrev_u32_e32 v4, 28, v21
	v_lshrrev_b32_e32 v20, 3, v5
	v_cmp_gt_u32_e32 vcc, 8, v5
	v_lshlrev_b64 v[4:5], v4, v[12:13]
	v_sub_u32_e32 v5, 29, v21
	v_and_b32_e32 v4, 7, v4
	v_cndmask_b32_e32 v5, v20, v5, vcc
	v_cndmask_b32_e32 v4, v13, v4, vcc
	v_lshlrev_b32_e32 v12, 24, v12
	v_bfrev_b32_e32 v13, 60
	v_lshlrev_b32_e32 v4, 20, v4
	v_and_b32_e32 v12, 0x80000000, v12
	v_lshl_add_u32 v5, v5, 23, v13
	v_or3_b32 v4, v12, v5, v4
.LBB6_7226:                             ;   in Loop: Header=BB6_4406 Depth=4
	s_or_b64 exec, exec, s[34:35]
.LBB6_7227:                             ;   in Loop: Header=BB6_4406 Depth=4
	s_or_b64 exec, exec, s[30:31]
.LBB6_7228:                             ;   in Loop: Header=BB6_4406 Depth=4
	s_or_b64 exec, exec, s[28:29]
	v_lshrrev_b32_e32 v12, 16, v8
	v_cmp_ne_u16_sdwa vcc, v12, v51 src0_sel:BYTE_0 src1_sel:DWORD
	s_and_saveexec_b64 s[28:29], vcc
	s_cbranch_execz .LBB6_7234
; %bb.7229:                             ;   in Loop: Header=BB6_4406 Depth=4
	v_cmp_ne_u16_sdwa vcc, v12, s96 src0_sel:BYTE_0 src1_sel:DWORD
	v_bfrev_b32_e32 v3, 1
	s_and_saveexec_b64 s[30:31], vcc
	s_cbranch_execz .LBB6_7233
; %bb.7230:                             ;   in Loop: Header=BB6_4406 Depth=4
	v_bfe_u32 v5, v8, 16, 7
	v_cmp_ne_u32_e32 vcc, s86, v5
	v_mov_b32_e32 v3, 0x7f800001
	s_and_saveexec_b64 s[34:35], vcc
	s_cbranch_execz .LBB6_7232
; %bb.7231:                             ;   in Loop: Header=BB6_4406 Depth=4
	v_and_b32_e32 v3, 7, v12
	v_lshrrev_b32_e32 v20, 3, v5
	v_cmp_gt_u32_e32 vcc, 8, v5
	v_ffbh_u32_e32 v5, v3
	v_min_u32_e32 v5, 32, v5
	v_subrev_u32_e32 v13, 28, v5
	v_lshlrev_b64 v[12:13], v13, v[12:13]
	v_sub_u32_e32 v5, 29, v5
	v_and_b32_e32 v12, 7, v12
	v_cndmask_b32_e32 v5, v20, v5, vcc
	v_cndmask_b32_e32 v3, v3, v12, vcc
	v_lshlrev_b32_e32 v12, 8, v8
	v_bfrev_b32_e32 v13, 60
	v_lshlrev_b32_e32 v3, 20, v3
	v_and_b32_e32 v12, 0x80000000, v12
	v_lshl_add_u32 v5, v5, 23, v13
	v_or3_b32 v3, v12, v5, v3
.LBB6_7232:                             ;   in Loop: Header=BB6_4406 Depth=4
	s_or_b64 exec, exec, s[34:35]
.LBB6_7233:                             ;   in Loop: Header=BB6_4406 Depth=4
	s_or_b64 exec, exec, s[30:31]
.LBB6_7234:                             ;   in Loop: Header=BB6_4406 Depth=4
	s_or_b64 exec, exec, s[28:29]
	v_add_f32_e32 v4, v4, v3
	v_and_b32_e32 v12, 0x7f800000, v4
	v_mov_b32_e32 v13, v51
	v_cmp_ne_u64_e32 vcc, s[76:77], v[12:13]
                                        ; implicit-def: $vgpr3
	s_and_saveexec_b64 s[28:29], vcc
	s_xor_b64 s[30:31], exec, s[28:29]
	s_cbranch_execz .LBB6_7248
; %bb.7235:                             ;   in Loop: Header=BB6_4406 Depth=4
	v_and_b32_e32 v12, 0x7fffffff, v4
	v_mov_b32_e32 v13, v51
	v_cmp_gt_u64_e32 vcc, s[78:79], v[12:13]
	v_and_b32_sdwa v22, v4, s96 dst_sel:DWORD dst_unused:UNUSED_PAD src0_sel:BYTE_3 src1_sel:DWORD
                                        ; implicit-def: $vgpr3
	s_and_saveexec_b64 s[28:29], vcc
	s_xor_b64 s[34:35], exec, s[28:29]
	s_cbranch_execz .LBB6_7245
; %bb.7236:                             ;   in Loop: Header=BB6_4406 Depth=4
	v_mov_b32_e32 v3, 0
	v_cmp_ne_u32_e32 vcc, 0, v4
	s_and_saveexec_b64 s[36:37], vcc
	s_cbranch_execz .LBB6_7244
; %bb.7237:                             ;   in Loop: Header=BB6_4406 Depth=4
	v_bfe_u32 v3, v4, 23, 8
	v_and_b32_e32 v5, 0x7fffff, v4
	v_cmp_gt_u32_e64 s[28:29], s97, v3
	v_sub_u32_e32 v4, 0x79, v3
	v_cmp_eq_u32_e32 vcc, 0, v3
	v_cndmask_b32_e64 v4, 0, v4, s[28:29]
	v_mov_b32_e32 v13, 0x78
	v_or_b32_e32 v12, 0x800000, v5
	v_cndmask_b32_e32 v23, v4, v13, vcc
	v_cndmask_b32_e32 v4, v12, v5, vcc
	v_add_u32_e32 v12, 20, v23
	v_lshlrev_b64 v[12:13], v12, -1
	v_add_u32_e32 v20, 19, v23
	v_lshlrev_b64 v[38:39], v20, 1
	v_mov_b32_e32 v5, v51
	v_bfi_b32 v13, v13, 0, 0
	v_bfi_b32 v12, v12, 0, v4
	v_cmp_eq_u64_e64 s[28:29], v[12:13], v[38:39]
	v_lshrrev_b64 v[12:13], v23, v[4:5]
	v_mov_b32_e32 v4, v12
	v_mov_b32_e32 v5, v13
	s_and_saveexec_b64 s[38:39], s[28:29]
; %bb.7238:                             ;   in Loop: Header=BB6_4406 Depth=4
	v_bfe_u32 v4, v12, 20, 1
	v_add_co_u32_e64 v4, s[28:29], v12, v4
	v_add_co_u32_e64 v4, s[28:29], -1, v4
; %bb.7239:                             ;   in Loop: Header=BB6_4406 Depth=4
	s_or_b64 exec, exec, s[38:39]
	v_add_u32_e32 v3, 0xffffff81, v3
	v_mov_b32_e32 v5, 0xffffff82
	v_cndmask_b32_e32 v3, v3, v5, vcc
	v_lshrrev_b32_e32 v5, 23, v12
	v_add3_u32 v23, v23, v3, v5
	v_add_u32_e32 v5, 6, v23
	v_and_b32_e32 v3, 0xfffff, v4
	v_add_u32_e32 v12, v3, v12
	v_mov_b32_e32 v13, v51
	v_cmp_ne_u32_e32 vcc, 0, v5
                                        ; implicit-def: $vgpr3
	s_and_saveexec_b64 s[28:29], vcc
	s_xor_b64 s[28:29], exec, s[28:29]
; %bb.7240:                             ;   in Loop: Header=BB6_4406 Depth=4
	v_cmp_lt_u64_e32 vcc, s[88:89], v[12:13]
	v_add_u32_e32 v3, 7, v23
	v_cndmask_b32_e64 v4, 0, 1, vcc
	v_lshrrev_b64 v[12:13], v4, v[12:13]
	v_cndmask_b32_e32 v3, v5, v3, vcc
; %bb.7241:                             ;   in Loop: Header=BB6_4406 Depth=4
	s_andn2_saveexec_b64 s[28:29], s[28:29]
; %bb.7242:                             ;   in Loop: Header=BB6_4406 Depth=4
	v_bfe_u32 v3, v12, 23, 1
; %bb.7243:                             ;   in Loop: Header=BB6_4406 Depth=4
	s_or_b64 exec, exec, s[28:29]
	v_lshrrev_b64 v[4:5], 20, v[12:13]
	v_cmp_gt_i32_e32 vcc, 16, v3
	v_cndmask_b32_e32 v5, 0, v5, vcc
	v_cndmask_b32_e32 v4, 7, v4, vcc
	v_cmp_eq_u32_e32 vcc, 0, v3
	v_min_i32_e32 v3, 15, v3
	v_cmp_eq_u64_e64 s[28:29], 0, v[4:5]
	v_lshlrev_b32_e32 v3, 3, v3
	v_and_b32_e32 v3, 0xf8, v3
	v_and_or_b32 v3, v4, 7, v3
	s_and_b64 s[28:29], vcc, s[28:29]
	v_cndmask_b32_e64 v3, v3, 0, s[28:29]
	v_or_b32_e32 v3, v3, v22
.LBB6_7244:                             ;   in Loop: Header=BB6_4406 Depth=4
	s_or_b64 exec, exec, s[36:37]
                                        ; implicit-def: $vgpr22
.LBB6_7245:                             ;   in Loop: Header=BB6_4406 Depth=4
	s_andn2_saveexec_b64 s[28:29], s[34:35]
; %bb.7246:                             ;   in Loop: Header=BB6_4406 Depth=4
	v_or_b32_e32 v3, 0x7e, v22
; %bb.7247:                             ;   in Loop: Header=BB6_4406 Depth=4
	s_or_b64 exec, exec, s[28:29]
                                        ; implicit-def: $vgpr4
.LBB6_7248:                             ;   in Loop: Header=BB6_4406 Depth=4
	s_andn2_saveexec_b64 s[28:29], s[30:31]
; %bb.7249:                             ;   in Loop: Header=BB6_4406 Depth=4
	v_or_b32_sdwa v3, v4, s86 dst_sel:DWORD dst_unused:UNUSED_PAD src0_sel:BYTE_3 src1_sel:DWORD
; %bb.7250:                             ;   in Loop: Header=BB6_4406 Depth=4
	s_or_b64 exec, exec, s[28:29]
	v_cmp_lt_u32_e32 vcc, s57, v50
	v_mov_b32_e32 v4, 0
	v_mov_b32_e32 v5, 0
	s_and_saveexec_b64 s[28:29], vcc
	s_cbranch_execz .LBB6_7256
; %bb.7251:                             ;   in Loop: Header=BB6_4406 Depth=4
	v_lshrrev_b32_e32 v12, 24, v50
	v_cmp_ne_u32_sdwa vcc, v50, s96 src0_sel:BYTE_3 src1_sel:DWORD
	v_bfrev_b32_e32 v5, 1
	s_and_saveexec_b64 s[30:31], vcc
	s_cbranch_execz .LBB6_7255
; %bb.7252:                             ;   in Loop: Header=BB6_4406 Depth=4
	v_bfe_u32 v13, v50, 24, 7
	v_cmp_ne_u32_e32 vcc, s86, v13
	v_mov_b32_e32 v5, 0x7f800001
	s_and_saveexec_b64 s[34:35], vcc
	s_cbranch_execz .LBB6_7254
; %bb.7253:                             ;   in Loop: Header=BB6_4406 Depth=4
	v_and_b32_e32 v5, 7, v12
	v_lshrrev_b32_e32 v20, 3, v13
	v_cmp_gt_u32_e32 vcc, 8, v13
	v_ffbh_u32_e32 v13, v5
	v_min_u32_e32 v21, 32, v13
	v_subrev_u32_e32 v13, 28, v21
	v_lshlrev_b64 v[12:13], v13, v[12:13]
	v_sub_u32_e32 v13, 29, v21
	v_and_b32_e32 v12, 7, v12
	v_cndmask_b32_e32 v5, v5, v12, vcc
	v_mov_b32_e32 v12, 24
	v_cndmask_b32_e32 v13, v20, v13, vcc
	v_lshlrev_b32_sdwa v12, v12, v50 dst_sel:DWORD dst_unused:UNUSED_PAD src0_sel:DWORD src1_sel:BYTE_3
	v_bfrev_b32_e32 v20, 60
	v_lshlrev_b32_e32 v5, 20, v5
	v_and_b32_e32 v12, 0x80000000, v12
	v_lshl_add_u32 v13, v13, 23, v20
	v_or3_b32 v5, v12, v13, v5
.LBB6_7254:                             ;   in Loop: Header=BB6_4406 Depth=4
	s_or_b64 exec, exec, s[34:35]
.LBB6_7255:                             ;   in Loop: Header=BB6_4406 Depth=4
	s_or_b64 exec, exec, s[30:31]
.LBB6_7256:                             ;   in Loop: Header=BB6_4406 Depth=4
	s_or_b64 exec, exec, s[28:29]
	v_cmp_lt_u32_e32 vcc, s57, v8
	s_and_saveexec_b64 s[28:29], vcc
	s_cbranch_execz .LBB6_7262
; %bb.7257:                             ;   in Loop: Header=BB6_4406 Depth=4
	v_lshrrev_b32_e32 v12, 24, v8
	v_cmp_ne_u32_e32 vcc, s96, v12
	v_bfrev_b32_e32 v4, 1
	s_and_saveexec_b64 s[30:31], vcc
	s_cbranch_execz .LBB6_7261
; %bb.7258:                             ;   in Loop: Header=BB6_4406 Depth=4
	v_bfe_u32 v13, v8, 24, 7
	v_cmp_ne_u32_e32 vcc, s86, v13
	v_mov_b32_e32 v4, 0x7f800001
	s_and_saveexec_b64 s[34:35], vcc
	s_cbranch_execz .LBB6_7260
; %bb.7259:                             ;   in Loop: Header=BB6_4406 Depth=4
	v_and_b32_e32 v4, 7, v12
	v_lshrrev_b32_e32 v20, 3, v13
	v_cmp_gt_u32_e32 vcc, 8, v13
	v_ffbh_u32_e32 v13, v4
	v_min_u32_e32 v13, 32, v13
	v_subrev_u32_e32 v21, 28, v13
	v_lshlrev_b64 v[22:23], v21, v[12:13]
	v_sub_u32_e32 v13, 29, v13
	v_and_b32_e32 v21, 7, v22
	v_cndmask_b32_e32 v13, v20, v13, vcc
	v_cndmask_b32_e32 v4, v4, v21, vcc
	v_lshlrev_b32_e32 v12, 24, v12
	v_bfrev_b32_e32 v20, 60
	v_lshlrev_b32_e32 v4, 20, v4
	v_and_b32_e32 v12, 0x80000000, v12
	v_lshl_add_u32 v13, v13, 23, v20
	v_or3_b32 v4, v12, v13, v4
.LBB6_7260:                             ;   in Loop: Header=BB6_4406 Depth=4
	s_or_b64 exec, exec, s[34:35]
.LBB6_7261:                             ;   in Loop: Header=BB6_4406 Depth=4
	s_or_b64 exec, exec, s[30:31]
.LBB6_7262:                             ;   in Loop: Header=BB6_4406 Depth=4
	s_or_b64 exec, exec, s[28:29]
	v_add_f32_e32 v4, v5, v4
	v_and_b32_e32 v50, 0x7f800000, v4
	v_cmp_ne_u64_e32 vcc, s[76:77], v[50:51]
                                        ; implicit-def: $vgpr41
	s_and_saveexec_b64 s[28:29], vcc
	s_xor_b64 s[30:31], exec, s[28:29]
	s_cbranch_execz .LBB6_7276
; %bb.7263:                             ;   in Loop: Header=BB6_4406 Depth=4
	v_and_b32_e32 v50, 0x7fffffff, v4
	v_cmp_gt_u64_e32 vcc, s[78:79], v[50:51]
	v_and_b32_sdwa v22, v4, s96 dst_sel:DWORD dst_unused:UNUSED_PAD src0_sel:BYTE_3 src1_sel:DWORD
                                        ; implicit-def: $vgpr41
	s_and_saveexec_b64 s[28:29], vcc
	s_xor_b64 s[34:35], exec, s[28:29]
	s_cbranch_execz .LBB6_7273
; %bb.7264:                             ;   in Loop: Header=BB6_4406 Depth=4
	v_mov_b32_e32 v41, 0
	v_cmp_ne_u32_e32 vcc, 0, v4
	s_and_saveexec_b64 s[36:37], vcc
	s_cbranch_execz .LBB6_7272
; %bb.7265:                             ;   in Loop: Header=BB6_4406 Depth=4
	v_bfe_u32 v23, v4, 23, 8
	v_and_b32_e32 v5, 0x7fffff, v4
	v_cmp_gt_u32_e64 s[28:29], s97, v23
	v_sub_u32_e32 v4, 0x79, v23
	v_cmp_eq_u32_e32 vcc, 0, v23
	v_cndmask_b32_e64 v4, 0, v4, s[28:29]
	v_mov_b32_e32 v13, 0x78
	v_cndmask_b32_e32 v25, v4, v13, vcc
	v_or_b32_e32 v12, 0x800000, v5
	v_add_u32_e32 v4, 20, v25
	v_cndmask_b32_e32 v50, v12, v5, vcc
	v_lshlrev_b64 v[4:5], v4, -1
	v_add_u32_e32 v12, 19, v25
	v_lshlrev_b64 v[12:13], v12, 1
	v_bfi_b32 v5, v5, 0, 0
	v_bfi_b32 v4, v4, 0, v50
	v_cmp_eq_u64_e64 s[28:29], v[4:5], v[12:13]
	v_lshrrev_b64 v[12:13], v25, v[50:51]
	v_mov_b32_e32 v4, v12
	v_mov_b32_e32 v5, v13
	s_and_saveexec_b64 s[38:39], s[28:29]
; %bb.7266:                             ;   in Loop: Header=BB6_4406 Depth=4
	v_bfe_u32 v4, v12, 20, 1
	v_add_co_u32_e64 v4, s[28:29], v12, v4
	v_add_co_u32_e64 v4, s[28:29], -1, v4
; %bb.7267:                             ;   in Loop: Header=BB6_4406 Depth=4
	s_or_b64 exec, exec, s[38:39]
	v_add_u32_e32 v5, 0xffffff81, v23
	v_mov_b32_e32 v13, 0xffffff82
	v_cndmask_b32_e32 v5, v5, v13, vcc
	v_lshrrev_b32_e32 v13, 23, v12
	v_add3_u32 v23, v25, v5, v13
	v_add_u32_e32 v5, 6, v23
	v_and_b32_e32 v4, 0xfffff, v4
	v_add_u32_e32 v50, v4, v12
	v_cmp_ne_u32_e32 vcc, 0, v5
                                        ; implicit-def: $vgpr12_vgpr13
                                        ; implicit-def: $vgpr4
	s_and_saveexec_b64 s[28:29], vcc
	s_xor_b64 s[28:29], exec, s[28:29]
; %bb.7268:                             ;   in Loop: Header=BB6_4406 Depth=4
	v_cmp_lt_u64_e32 vcc, s[88:89], v[50:51]
	v_add_u32_e32 v4, 7, v23
	v_cndmask_b32_e32 v4, v5, v4, vcc
	v_cndmask_b32_e64 v5, 0, 1, vcc
	v_lshrrev_b64 v[12:13], v5, v[50:51]
; %bb.7269:                             ;   in Loop: Header=BB6_4406 Depth=4
	s_andn2_saveexec_b64 s[28:29], s[28:29]
; %bb.7270:                             ;   in Loop: Header=BB6_4406 Depth=4
	v_mov_b32_e32 v12, v50
	v_bfe_u32 v4, v50, 23, 1
	v_mov_b32_e32 v13, v51
; %bb.7271:                             ;   in Loop: Header=BB6_4406 Depth=4
	s_or_b64 exec, exec, s[28:29]
	v_lshrrev_b64 v[12:13], 20, v[12:13]
	v_cmp_gt_i32_e32 vcc, 16, v4
	v_cndmask_b32_e32 v13, 0, v13, vcc
	v_cndmask_b32_e32 v12, 7, v12, vcc
	v_cmp_eq_u32_e32 vcc, 0, v4
	v_min_i32_e32 v4, 15, v4
	v_cmp_eq_u64_e64 s[28:29], 0, v[12:13]
	v_lshlrev_b32_e32 v4, 3, v4
	v_and_b32_e32 v4, 0xf8, v4
	v_and_or_b32 v4, v12, 7, v4
	s_and_b64 s[28:29], vcc, s[28:29]
	v_cndmask_b32_e64 v4, v4, 0, s[28:29]
	v_or_b32_e32 v41, v4, v22
.LBB6_7272:                             ;   in Loop: Header=BB6_4406 Depth=4
	s_or_b64 exec, exec, s[36:37]
                                        ; implicit-def: $vgpr22
.LBB6_7273:                             ;   in Loop: Header=BB6_4406 Depth=4
	s_andn2_saveexec_b64 s[28:29], s[34:35]
; %bb.7274:                             ;   in Loop: Header=BB6_4406 Depth=4
	v_or_b32_e32 v41, 0x7e, v22
; %bb.7275:                             ;   in Loop: Header=BB6_4406 Depth=4
	s_or_b64 exec, exec, s[28:29]
                                        ; implicit-def: $vgpr4
.LBB6_7276:                             ;   in Loop: Header=BB6_4406 Depth=4
	s_andn2_saveexec_b64 s[28:29], s[30:31]
; %bb.7277:                             ;   in Loop: Header=BB6_4406 Depth=4
	v_or_b32_sdwa v41, v4, s86 dst_sel:DWORD dst_unused:UNUSED_PAD src0_sel:BYTE_3 src1_sel:DWORD
; %bb.7278:                             ;   in Loop: Header=BB6_4406 Depth=4
	s_or_b64 exec, exec, s[28:29]
	buffer_load_dword v4, off, s[0:3], s33 offset:120 ; 4-byte Folded Reload
	buffer_load_dword v5, off, s[0:3], s33 offset:156 ; 4-byte Folded Reload
	v_cmp_ne_u32_e32 vcc, 0, v46
	s_waitcnt vmcnt(1)
	v_lshl_or_b32 v22, v4, 8, v46
	buffer_load_dword v4, off, s[0:3], s33 offset:136 ; 4-byte Folded Reload
	s_waitcnt vmcnt(1)
	v_lshlrev_b32_e32 v5, 24, v5
	s_waitcnt vmcnt(0)
	v_lshlrev_b32_e32 v4, 16, v4
	v_or3_b32 v50, v4, v5, v22
	v_mov_b32_e32 v5, 0
	v_mov_b32_e32 v4, 0
	s_and_saveexec_b64 s[28:29], vcc
	s_cbranch_execz .LBB6_7284
; %bb.7279:                             ;   in Loop: Header=BB6_4406 Depth=4
	v_cmp_ne_u32_e32 vcc, s96, v46
	v_bfrev_b32_e32 v4, 1
	s_and_saveexec_b64 s[30:31], vcc
	s_cbranch_execz .LBB6_7283
; %bb.7280:                             ;   in Loop: Header=BB6_4406 Depth=4
	v_and_b32_e32 v12, 0x7f, v46
	v_cmp_ne_u32_e32 vcc, s86, v12
	v_mov_b32_e32 v4, 0x7f800001
	s_and_saveexec_b64 s[34:35], vcc
	s_cbranch_execz .LBB6_7282
; %bb.7281:                             ;   in Loop: Header=BB6_4406 Depth=4
	v_and_b32_e32 v4, 7, v46
	v_ffbh_u32_e32 v4, v4
	v_min_u32_e32 v4, 32, v4
	v_lshrrev_b32_e32 v13, 3, v12
	v_cmp_gt_u32_e32 vcc, 8, v12
	v_subrev_u32_e32 v12, 28, v4
	v_sub_u32_e32 v4, 29, v4
	v_cndmask_b32_e32 v12, 0, v12, vcc
	v_cndmask_b32_e32 v4, v13, v4, vcc
	v_lshlrev_b64 v[12:13], v12, v[50:51]
	v_lshlrev_b32_e32 v13, 24, v50
	v_lshlrev_b32_e32 v12, 20, v12
	v_bfrev_b32_e32 v20, 60
	v_and_b32_e32 v12, 0x700000, v12
	v_and_b32_e32 v13, 0x80000000, v13
	v_lshl_add_u32 v4, v4, 23, v20
	v_or3_b32 v4, v13, v4, v12
.LBB6_7282:                             ;   in Loop: Header=BB6_4406 Depth=4
	s_or_b64 exec, exec, s[34:35]
.LBB6_7283:                             ;   in Loop: Header=BB6_4406 Depth=4
	s_or_b64 exec, exec, s[30:31]
.LBB6_7284:                             ;   in Loop: Header=BB6_4406 Depth=4
	s_or_b64 exec, exec, s[28:29]
	v_cmp_ne_u16_sdwa vcc, v9, v51 src0_sel:BYTE_0 src1_sel:DWORD
	s_and_saveexec_b64 s[28:29], vcc
	s_cbranch_execz .LBB6_7290
; %bb.7285:                             ;   in Loop: Header=BB6_4406 Depth=4
	v_cmp_ne_u16_sdwa vcc, v9, s96 src0_sel:BYTE_0 src1_sel:DWORD
	v_bfrev_b32_e32 v5, 1
	s_and_saveexec_b64 s[30:31], vcc
	s_cbranch_execz .LBB6_7289
; %bb.7286:                             ;   in Loop: Header=BB6_4406 Depth=4
	v_and_b32_e32 v12, 0x7f, v9
	v_cmp_ne_u32_e32 vcc, s86, v12
	v_mov_b32_e32 v5, 0x7f800001
	s_and_saveexec_b64 s[34:35], vcc
	s_cbranch_execz .LBB6_7288
; %bb.7287:                             ;   in Loop: Header=BB6_4406 Depth=4
	v_and_b32_e32 v5, 7, v9
	v_ffbh_u32_e32 v5, v5
	v_min_u32_e32 v5, 32, v5
	v_lshrrev_b32_e32 v13, 3, v12
	v_cmp_gt_u32_e32 vcc, 8, v12
	v_subrev_u32_e32 v12, 28, v5
	v_mov_b32_e32 v38, v9
	v_mov_b32_e32 v39, v51
	v_sub_u32_e32 v5, 29, v5
	v_cndmask_b32_e32 v12, 0, v12, vcc
	v_cndmask_b32_e32 v5, v13, v5, vcc
	v_lshlrev_b64 v[12:13], v12, v[38:39]
	v_lshlrev_b32_e32 v13, 24, v38
	v_lshlrev_b32_e32 v12, 20, v12
	v_bfrev_b32_e32 v20, 60
	v_and_b32_e32 v12, 0x700000, v12
	v_and_b32_e32 v13, 0x80000000, v13
	v_lshl_add_u32 v5, v5, 23, v20
	v_or3_b32 v5, v13, v5, v12
.LBB6_7288:                             ;   in Loop: Header=BB6_4406 Depth=4
	s_or_b64 exec, exec, s[34:35]
.LBB6_7289:                             ;   in Loop: Header=BB6_4406 Depth=4
	s_or_b64 exec, exec, s[30:31]
.LBB6_7290:                             ;   in Loop: Header=BB6_4406 Depth=4
	s_or_b64 exec, exec, s[28:29]
	v_add_f32_e32 v4, v4, v5
	v_and_b32_e32 v12, 0x7f800000, v4
	v_mov_b32_e32 v13, v51
	v_cmp_ne_u64_e32 vcc, s[76:77], v[12:13]
                                        ; implicit-def: $vgpr46
	s_and_saveexec_b64 s[28:29], vcc
	s_xor_b64 s[30:31], exec, s[28:29]
	s_cbranch_execz .LBB6_7304
; %bb.7291:                             ;   in Loop: Header=BB6_4406 Depth=4
	v_and_b32_e32 v12, 0x7fffffff, v4
	v_mov_b32_e32 v13, v51
	v_cmp_gt_u64_e32 vcc, s[78:79], v[12:13]
	v_and_b32_sdwa v25, v4, s96 dst_sel:DWORD dst_unused:UNUSED_PAD src0_sel:BYTE_3 src1_sel:DWORD
                                        ; implicit-def: $vgpr46
	s_and_saveexec_b64 s[28:29], vcc
	s_xor_b64 s[34:35], exec, s[28:29]
	s_cbranch_execz .LBB6_7301
; %bb.7292:                             ;   in Loop: Header=BB6_4406 Depth=4
	v_mov_b32_e32 v46, 0
	v_cmp_ne_u32_e32 vcc, 0, v4
	s_and_saveexec_b64 s[36:37], vcc
	s_cbranch_execz .LBB6_7300
; %bb.7293:                             ;   in Loop: Header=BB6_4406 Depth=4
	v_bfe_u32 v23, v4, 23, 8
	v_and_b32_e32 v5, 0x7fffff, v4
	v_cmp_gt_u32_e64 s[28:29], s97, v23
	v_sub_u32_e32 v4, 0x79, v23
	v_cmp_eq_u32_e32 vcc, 0, v23
	v_cndmask_b32_e64 v4, 0, v4, s[28:29]
	v_mov_b32_e32 v13, 0x78
	v_or_b32_e32 v12, 0x800000, v5
	v_cndmask_b32_e32 v30, v4, v13, vcc
	v_cndmask_b32_e32 v4, v12, v5, vcc
	v_add_u32_e32 v12, 20, v30
	v_lshlrev_b64 v[12:13], v12, -1
	v_add_u32_e32 v20, 19, v30
	v_lshlrev_b64 v[38:39], v20, 1
	v_mov_b32_e32 v5, v51
	v_bfi_b32 v13, v13, 0, 0
	v_bfi_b32 v12, v12, 0, v4
	v_cmp_eq_u64_e64 s[28:29], v[12:13], v[38:39]
	v_lshrrev_b64 v[12:13], v30, v[4:5]
	v_mov_b32_e32 v4, v12
	v_mov_b32_e32 v5, v13
	s_and_saveexec_b64 s[38:39], s[28:29]
; %bb.7294:                             ;   in Loop: Header=BB6_4406 Depth=4
	v_bfe_u32 v4, v12, 20, 1
	v_add_co_u32_e64 v4, s[28:29], v12, v4
	v_add_co_u32_e64 v4, s[28:29], -1, v4
; %bb.7295:                             ;   in Loop: Header=BB6_4406 Depth=4
	s_or_b64 exec, exec, s[38:39]
	v_add_u32_e32 v5, 0xffffff81, v23
	v_mov_b32_e32 v13, 0xffffff82
	v_cndmask_b32_e32 v5, v5, v13, vcc
	v_lshrrev_b32_e32 v13, 23, v12
	v_add3_u32 v23, v30, v5, v13
	v_add_u32_e32 v5, 6, v23
	v_and_b32_e32 v4, 0xfffff, v4
	v_add_u32_e32 v12, v4, v12
	v_mov_b32_e32 v13, v51
	v_cmp_ne_u32_e32 vcc, 0, v5
                                        ; implicit-def: $vgpr4
	s_and_saveexec_b64 s[28:29], vcc
	s_xor_b64 s[28:29], exec, s[28:29]
; %bb.7296:                             ;   in Loop: Header=BB6_4406 Depth=4
	v_cmp_lt_u64_e32 vcc, s[88:89], v[12:13]
	v_add_u32_e32 v4, 7, v23
	v_cndmask_b32_e32 v4, v5, v4, vcc
	v_cndmask_b32_e64 v5, 0, 1, vcc
	v_lshrrev_b64 v[12:13], v5, v[12:13]
; %bb.7297:                             ;   in Loop: Header=BB6_4406 Depth=4
	s_andn2_saveexec_b64 s[28:29], s[28:29]
; %bb.7298:                             ;   in Loop: Header=BB6_4406 Depth=4
	v_bfe_u32 v4, v12, 23, 1
; %bb.7299:                             ;   in Loop: Header=BB6_4406 Depth=4
	s_or_b64 exec, exec, s[28:29]
	v_lshrrev_b64 v[12:13], 20, v[12:13]
	v_cmp_gt_i32_e32 vcc, 16, v4
	v_cndmask_b32_e32 v13, 0, v13, vcc
	v_cndmask_b32_e32 v12, 7, v12, vcc
	v_cmp_eq_u32_e32 vcc, 0, v4
	v_min_i32_e32 v4, 15, v4
	v_cmp_eq_u64_e64 s[28:29], 0, v[12:13]
	v_lshlrev_b32_e32 v4, 3, v4
	v_and_b32_e32 v4, 0xf8, v4
	v_and_or_b32 v4, v12, 7, v4
	s_and_b64 s[28:29], vcc, s[28:29]
	v_cndmask_b32_e64 v4, v4, 0, s[28:29]
	v_or_b32_e32 v46, v4, v25
.LBB6_7300:                             ;   in Loop: Header=BB6_4406 Depth=4
	s_or_b64 exec, exec, s[36:37]
                                        ; implicit-def: $vgpr25
.LBB6_7301:                             ;   in Loop: Header=BB6_4406 Depth=4
	s_andn2_saveexec_b64 s[28:29], s[34:35]
; %bb.7302:                             ;   in Loop: Header=BB6_4406 Depth=4
	v_or_b32_e32 v46, 0x7e, v25
; %bb.7303:                             ;   in Loop: Header=BB6_4406 Depth=4
	s_or_b64 exec, exec, s[28:29]
                                        ; implicit-def: $vgpr4
.LBB6_7304:                             ;   in Loop: Header=BB6_4406 Depth=4
	s_andn2_saveexec_b64 s[28:29], s[30:31]
; %bb.7305:                             ;   in Loop: Header=BB6_4406 Depth=4
	v_or_b32_sdwa v46, v4, s86 dst_sel:DWORD dst_unused:UNUSED_PAD src0_sel:BYTE_3 src1_sel:DWORD
; %bb.7306:                             ;   in Loop: Header=BB6_4406 Depth=4
	s_or_b64 exec, exec, s[28:29]
	v_lshrrev_b16_e32 v12, 8, v22
	v_cmp_ne_u16_e32 vcc, 0, v12
	v_mov_b32_e32 v4, 0
	v_mov_b32_e32 v5, 0
	s_and_saveexec_b64 s[28:29], vcc
	s_cbranch_execz .LBB6_7312
; %bb.7307:                             ;   in Loop: Header=BB6_4406 Depth=4
	v_cmp_ne_u16_e32 vcc, s96, v12
	v_bfrev_b32_e32 v5, 1
	s_and_saveexec_b64 s[30:31], vcc
	s_cbranch_execz .LBB6_7311
; %bb.7308:                             ;   in Loop: Header=BB6_4406 Depth=4
	v_and_b32_e32 v13, 0x7f, v12
	v_cmp_ne_u32_e32 vcc, s86, v13
	v_mov_b32_e32 v5, 0x7f800001
	s_and_saveexec_b64 s[34:35], vcc
	s_cbranch_execz .LBB6_7310
; %bb.7309:                             ;   in Loop: Header=BB6_4406 Depth=4
	v_and_b32_e32 v5, 7, v12
	v_lshrrev_b32_e32 v20, 3, v13
	v_cmp_gt_u32_e32 vcc, 8, v13
	v_ffbh_u32_e32 v13, v5
	v_min_u32_e32 v21, 32, v13
	v_subrev_u32_e32 v13, 28, v21
	v_lshlrev_b64 v[12:13], v13, v[12:13]
	v_sub_u32_e32 v13, 29, v21
	v_and_b32_e32 v12, 7, v12
	v_cndmask_b32_e32 v13, v20, v13, vcc
	v_cndmask_b32_e32 v5, v5, v12, vcc
	v_lshlrev_b32_e32 v12, 16, v22
	v_bfrev_b32_e32 v20, 60
	v_lshlrev_b32_e32 v5, 20, v5
	v_and_b32_e32 v12, 0x80000000, v12
	v_lshl_add_u32 v13, v13, 23, v20
	v_or3_b32 v5, v12, v13, v5
.LBB6_7310:                             ;   in Loop: Header=BB6_4406 Depth=4
	s_or_b64 exec, exec, s[34:35]
.LBB6_7311:                             ;   in Loop: Header=BB6_4406 Depth=4
	s_or_b64 exec, exec, s[30:31]
.LBB6_7312:                             ;   in Loop: Header=BB6_4406 Depth=4
	s_or_b64 exec, exec, s[28:29]
	v_lshrrev_b16_e32 v12, 8, v9
	v_cmp_ne_u16_e32 vcc, 0, v12
	s_and_saveexec_b64 s[28:29], vcc
	s_cbranch_execz .LBB6_7318
; %bb.7313:                             ;   in Loop: Header=BB6_4406 Depth=4
	v_cmp_ne_u16_e32 vcc, s96, v12
	v_bfrev_b32_e32 v4, 1
	s_and_saveexec_b64 s[30:31], vcc
	s_cbranch_execz .LBB6_7317
; %bb.7314:                             ;   in Loop: Header=BB6_4406 Depth=4
	v_and_b32_e32 v13, 0x7f, v12
	v_cmp_ne_u32_e32 vcc, s86, v13
	v_mov_b32_e32 v4, 0x7f800001
	s_and_saveexec_b64 s[34:35], vcc
	s_cbranch_execz .LBB6_7316
; %bb.7315:                             ;   in Loop: Header=BB6_4406 Depth=4
	v_and_b32_e32 v4, 7, v12
	v_lshrrev_b32_e32 v20, 3, v13
	v_cmp_gt_u32_e32 vcc, 8, v13
	v_ffbh_u32_e32 v13, v4
	v_min_u32_e32 v21, 32, v13
	v_subrev_u32_e32 v13, 28, v21
	v_lshlrev_b64 v[12:13], v13, v[12:13]
	v_sub_u32_e32 v13, 29, v21
	v_and_b32_e32 v12, 7, v12
	v_cndmask_b32_e32 v13, v20, v13, vcc
	v_cndmask_b32_e32 v4, v4, v12, vcc
	v_lshlrev_b32_e32 v12, 16, v9
	v_bfrev_b32_e32 v20, 60
	v_lshlrev_b32_e32 v4, 20, v4
	v_and_b32_e32 v12, 0x80000000, v12
	v_lshl_add_u32 v13, v13, 23, v20
	v_or3_b32 v4, v12, v13, v4
.LBB6_7316:                             ;   in Loop: Header=BB6_4406 Depth=4
	s_or_b64 exec, exec, s[34:35]
.LBB6_7317:                             ;   in Loop: Header=BB6_4406 Depth=4
	s_or_b64 exec, exec, s[30:31]
.LBB6_7318:                             ;   in Loop: Header=BB6_4406 Depth=4
	s_or_b64 exec, exec, s[28:29]
	v_add_f32_e32 v4, v5, v4
	v_and_b32_e32 v12, 0x7f800000, v4
	v_mov_b32_e32 v13, v51
	v_cmp_ne_u64_e32 vcc, s[76:77], v[12:13]
                                        ; implicit-def: $vgpr38
	s_and_saveexec_b64 s[28:29], vcc
	s_xor_b64 s[30:31], exec, s[28:29]
	s_cbranch_execz .LBB6_7332
; %bb.7319:                             ;   in Loop: Header=BB6_4406 Depth=4
	v_and_b32_e32 v12, 0x7fffffff, v4
	v_mov_b32_e32 v13, v51
	v_cmp_gt_u64_e32 vcc, s[78:79], v[12:13]
	v_and_b32_sdwa v22, v4, s96 dst_sel:DWORD dst_unused:UNUSED_PAD src0_sel:BYTE_3 src1_sel:DWORD
                                        ; implicit-def: $vgpr38
	s_and_saveexec_b64 s[28:29], vcc
	s_xor_b64 s[34:35], exec, s[28:29]
	s_cbranch_execz .LBB6_7329
; %bb.7320:                             ;   in Loop: Header=BB6_4406 Depth=4
	v_mov_b32_e32 v38, 0
	v_cmp_ne_u32_e32 vcc, 0, v4
	s_and_saveexec_b64 s[36:37], vcc
	s_cbranch_execz .LBB6_7328
; %bb.7321:                             ;   in Loop: Header=BB6_4406 Depth=4
	v_bfe_u32 v23, v4, 23, 8
	v_and_b32_e32 v5, 0x7fffff, v4
	v_cmp_gt_u32_e64 s[28:29], s97, v23
	v_sub_u32_e32 v4, 0x79, v23
	v_cmp_eq_u32_e32 vcc, 0, v23
	v_cndmask_b32_e64 v4, 0, v4, s[28:29]
	v_mov_b32_e32 v13, 0x78
	v_or_b32_e32 v12, 0x800000, v5
	v_cndmask_b32_e32 v25, v4, v13, vcc
	v_cndmask_b32_e32 v4, v12, v5, vcc
	v_add_u32_e32 v12, 20, v25
	v_lshlrev_b64 v[12:13], v12, -1
	v_add_u32_e32 v20, 19, v25
	v_lshlrev_b64 v[38:39], v20, 1
	v_mov_b32_e32 v5, v51
	v_bfi_b32 v13, v13, 0, 0
	v_bfi_b32 v12, v12, 0, v4
	v_cmp_eq_u64_e64 s[28:29], v[12:13], v[38:39]
	v_lshrrev_b64 v[12:13], v25, v[4:5]
	v_mov_b32_e32 v4, v12
	v_mov_b32_e32 v5, v13
	s_and_saveexec_b64 s[38:39], s[28:29]
; %bb.7322:                             ;   in Loop: Header=BB6_4406 Depth=4
	v_bfe_u32 v4, v12, 20, 1
	v_add_co_u32_e64 v4, s[28:29], v12, v4
	v_add_co_u32_e64 v4, s[28:29], -1, v4
; %bb.7323:                             ;   in Loop: Header=BB6_4406 Depth=4
	s_or_b64 exec, exec, s[38:39]
	v_add_u32_e32 v5, 0xffffff81, v23
	v_mov_b32_e32 v13, 0xffffff82
	v_cndmask_b32_e32 v5, v5, v13, vcc
	v_lshrrev_b32_e32 v13, 23, v12
	v_add3_u32 v23, v25, v5, v13
	v_add_u32_e32 v5, 6, v23
	v_and_b32_e32 v4, 0xfffff, v4
	v_add_u32_e32 v12, v4, v12
	v_mov_b32_e32 v13, v51
	v_cmp_ne_u32_e32 vcc, 0, v5
                                        ; implicit-def: $vgpr4
	s_and_saveexec_b64 s[28:29], vcc
	s_xor_b64 s[28:29], exec, s[28:29]
; %bb.7324:                             ;   in Loop: Header=BB6_4406 Depth=4
	v_cmp_lt_u64_e32 vcc, s[88:89], v[12:13]
	v_add_u32_e32 v4, 7, v23
	v_cndmask_b32_e32 v4, v5, v4, vcc
	v_cndmask_b32_e64 v5, 0, 1, vcc
	v_lshrrev_b64 v[12:13], v5, v[12:13]
; %bb.7325:                             ;   in Loop: Header=BB6_4406 Depth=4
	s_andn2_saveexec_b64 s[28:29], s[28:29]
; %bb.7326:                             ;   in Loop: Header=BB6_4406 Depth=4
	v_bfe_u32 v4, v12, 23, 1
; %bb.7327:                             ;   in Loop: Header=BB6_4406 Depth=4
	s_or_b64 exec, exec, s[28:29]
	v_lshrrev_b64 v[12:13], 20, v[12:13]
	v_cmp_gt_i32_e32 vcc, 16, v4
	v_cndmask_b32_e32 v13, 0, v13, vcc
	v_cndmask_b32_e32 v12, 7, v12, vcc
	v_cmp_eq_u32_e32 vcc, 0, v4
	v_min_i32_e32 v4, 15, v4
	v_cmp_eq_u64_e64 s[28:29], 0, v[12:13]
	v_lshlrev_b32_e32 v4, 3, v4
	v_and_b32_e32 v4, 0xf8, v4
	v_and_or_b32 v4, v12, 7, v4
	s_and_b64 s[28:29], vcc, s[28:29]
	v_cndmask_b32_e64 v4, v4, 0, s[28:29]
	v_or_b32_e32 v38, v4, v22
.LBB6_7328:                             ;   in Loop: Header=BB6_4406 Depth=4
	s_or_b64 exec, exec, s[36:37]
                                        ; implicit-def: $vgpr22
.LBB6_7329:                             ;   in Loop: Header=BB6_4406 Depth=4
	s_andn2_saveexec_b64 s[28:29], s[34:35]
; %bb.7330:                             ;   in Loop: Header=BB6_4406 Depth=4
	v_or_b32_e32 v38, 0x7e, v22
; %bb.7331:                             ;   in Loop: Header=BB6_4406 Depth=4
	s_or_b64 exec, exec, s[28:29]
                                        ; implicit-def: $vgpr4
.LBB6_7332:                             ;   in Loop: Header=BB6_4406 Depth=4
	s_andn2_saveexec_b64 s[28:29], s[30:31]
; %bb.7333:                             ;   in Loop: Header=BB6_4406 Depth=4
	v_or_b32_sdwa v38, v4, s86 dst_sel:DWORD dst_unused:UNUSED_PAD src0_sel:BYTE_3 src1_sel:DWORD
; %bb.7334:                             ;   in Loop: Header=BB6_4406 Depth=4
	s_or_b64 exec, exec, s[28:29]
	v_lshrrev_b32_e32 v12, 16, v50
	v_cmp_ne_u16_sdwa vcc, v12, v51 src0_sel:BYTE_0 src1_sel:DWORD
	v_mov_b32_e32 v4, 0
	v_mov_b32_e32 v5, 0
	s_and_saveexec_b64 s[28:29], vcc
	s_cbranch_execz .LBB6_7340
; %bb.7335:                             ;   in Loop: Header=BB6_4406 Depth=4
	v_cmp_ne_u16_sdwa vcc, v12, s96 src0_sel:BYTE_0 src1_sel:DWORD
	v_bfrev_b32_e32 v5, 1
	s_and_saveexec_b64 s[30:31], vcc
	s_cbranch_execz .LBB6_7339
; %bb.7336:                             ;   in Loop: Header=BB6_4406 Depth=4
	v_bfe_u32 v13, v50, 16, 7
	v_cmp_ne_u32_e32 vcc, s86, v13
	v_mov_b32_e32 v5, 0x7f800001
	s_and_saveexec_b64 s[34:35], vcc
	s_cbranch_execz .LBB6_7338
; %bb.7337:                             ;   in Loop: Header=BB6_4406 Depth=4
	v_and_b32_e32 v5, 7, v12
	v_lshrrev_b32_e32 v20, 3, v13
	v_cmp_gt_u32_e32 vcc, 8, v13
	v_ffbh_u32_e32 v13, v5
	v_min_u32_e32 v13, 32, v13
	v_subrev_u32_e32 v21, 28, v13
	v_lshlrev_b64 v[22:23], v21, v[12:13]
	v_sub_u32_e32 v13, 29, v13
	v_and_b32_e32 v21, 7, v22
	v_cndmask_b32_e32 v13, v20, v13, vcc
	v_cndmask_b32_e32 v5, v5, v21, vcc
	v_lshlrev_b32_e32 v12, 24, v12
	v_bfrev_b32_e32 v20, 60
	v_lshlrev_b32_e32 v5, 20, v5
	v_and_b32_e32 v12, 0x80000000, v12
	v_lshl_add_u32 v13, v13, 23, v20
	v_or3_b32 v5, v12, v13, v5
.LBB6_7338:                             ;   in Loop: Header=BB6_4406 Depth=4
	s_or_b64 exec, exec, s[34:35]
.LBB6_7339:                             ;   in Loop: Header=BB6_4406 Depth=4
	s_or_b64 exec, exec, s[30:31]
.LBB6_7340:                             ;   in Loop: Header=BB6_4406 Depth=4
	s_or_b64 exec, exec, s[28:29]
	v_lshrrev_b32_e32 v12, 16, v9
	v_cmp_ne_u16_sdwa vcc, v12, v51 src0_sel:BYTE_0 src1_sel:DWORD
	s_and_saveexec_b64 s[28:29], vcc
	s_cbranch_execz .LBB6_7346
; %bb.7341:                             ;   in Loop: Header=BB6_4406 Depth=4
	v_cmp_ne_u16_sdwa vcc, v12, s96 src0_sel:BYTE_0 src1_sel:DWORD
	v_bfrev_b32_e32 v4, 1
	s_and_saveexec_b64 s[30:31], vcc
	s_cbranch_execz .LBB6_7345
; %bb.7342:                             ;   in Loop: Header=BB6_4406 Depth=4
	v_bfe_u32 v13, v9, 16, 7
	v_cmp_ne_u32_e32 vcc, s86, v13
	v_mov_b32_e32 v4, 0x7f800001
	s_and_saveexec_b64 s[34:35], vcc
	s_cbranch_execz .LBB6_7344
; %bb.7343:                             ;   in Loop: Header=BB6_4406 Depth=4
	v_and_b32_e32 v4, 7, v12
	v_lshrrev_b32_e32 v20, 3, v13
	v_cmp_gt_u32_e32 vcc, 8, v13
	v_ffbh_u32_e32 v13, v4
	v_min_u32_e32 v21, 32, v13
	v_subrev_u32_e32 v13, 28, v21
	v_lshlrev_b64 v[12:13], v13, v[12:13]
	v_sub_u32_e32 v13, 29, v21
	v_and_b32_e32 v12, 7, v12
	v_cndmask_b32_e32 v13, v20, v13, vcc
	v_cndmask_b32_e32 v4, v4, v12, vcc
	v_lshlrev_b32_e32 v12, 8, v9
	v_bfrev_b32_e32 v20, 60
	v_lshlrev_b32_e32 v4, 20, v4
	v_and_b32_e32 v12, 0x80000000, v12
	v_lshl_add_u32 v13, v13, 23, v20
	v_or3_b32 v4, v12, v13, v4
.LBB6_7344:                             ;   in Loop: Header=BB6_4406 Depth=4
	s_or_b64 exec, exec, s[34:35]
.LBB6_7345:                             ;   in Loop: Header=BB6_4406 Depth=4
	s_or_b64 exec, exec, s[30:31]
.LBB6_7346:                             ;   in Loop: Header=BB6_4406 Depth=4
	s_or_b64 exec, exec, s[28:29]
	v_add_f32_e32 v4, v5, v4
	v_and_b32_e32 v12, 0x7f800000, v4
	v_mov_b32_e32 v13, v51
	v_cmp_ne_u64_e32 vcc, s[76:77], v[12:13]
                                        ; implicit-def: $vgpr13
	s_and_saveexec_b64 s[28:29], vcc
	s_xor_b64 s[30:31], exec, s[28:29]
	s_cbranch_execz .LBB6_7360
; %bb.7347:                             ;   in Loop: Header=BB6_4406 Depth=4
	v_and_b32_e32 v12, 0x7fffffff, v4
	v_mov_b32_e32 v13, v51
	v_cmp_gt_u64_e32 vcc, s[78:79], v[12:13]
	v_and_b32_sdwa v22, v4, s96 dst_sel:DWORD dst_unused:UNUSED_PAD src0_sel:BYTE_3 src1_sel:DWORD
                                        ; implicit-def: $vgpr13
	s_and_saveexec_b64 s[28:29], vcc
	s_xor_b64 s[34:35], exec, s[28:29]
	s_cbranch_execz .LBB6_7357
; %bb.7348:                             ;   in Loop: Header=BB6_4406 Depth=4
	v_mov_b32_e32 v13, 0
	v_cmp_ne_u32_e32 vcc, 0, v4
	s_and_saveexec_b64 s[36:37], vcc
	s_cbranch_execz .LBB6_7356
; %bb.7349:                             ;   in Loop: Header=BB6_4406 Depth=4
	v_bfe_u32 v23, v4, 23, 8
	v_and_b32_e32 v5, 0x7fffff, v4
	v_cmp_gt_u32_e64 s[28:29], s97, v23
	v_sub_u32_e32 v4, 0x79, v23
	v_cmp_eq_u32_e32 vcc, 0, v23
	v_cndmask_b32_e64 v4, 0, v4, s[28:29]
	v_mov_b32_e32 v13, 0x78
	v_or_b32_e32 v12, 0x800000, v5
	v_cndmask_b32_e32 v25, v4, v13, vcc
	v_cndmask_b32_e32 v4, v12, v5, vcc
	v_add_u32_e32 v12, 20, v25
	v_lshlrev_b64 v[12:13], v12, -1
	v_add_u32_e32 v20, 19, v25
	v_mov_b32_e32 v21, v31
	v_lshlrev_b64 v[30:31], v20, 1
	v_mov_b32_e32 v5, v51
	v_bfi_b32 v13, v13, 0, 0
	v_bfi_b32 v12, v12, 0, v4
	v_cmp_eq_u64_e64 s[28:29], v[12:13], v[30:31]
	v_lshrrev_b64 v[12:13], v25, v[4:5]
	v_mov_b32_e32 v4, v12
	v_mov_b32_e32 v5, v13
	s_and_saveexec_b64 s[38:39], s[28:29]
; %bb.7350:                             ;   in Loop: Header=BB6_4406 Depth=4
	v_bfe_u32 v4, v12, 20, 1
	v_add_co_u32_e64 v4, s[28:29], v12, v4
	v_add_co_u32_e64 v4, s[28:29], -1, v4
; %bb.7351:                             ;   in Loop: Header=BB6_4406 Depth=4
	s_or_b64 exec, exec, s[38:39]
	v_add_u32_e32 v5, 0xffffff81, v23
	v_mov_b32_e32 v13, 0xffffff82
	v_cndmask_b32_e32 v5, v5, v13, vcc
	v_lshrrev_b32_e32 v13, 23, v12
	v_add3_u32 v23, v25, v5, v13
	v_add_u32_e32 v5, 6, v23
	v_and_b32_e32 v4, 0xfffff, v4
	v_add_u32_e32 v12, v4, v12
	v_mov_b32_e32 v13, v51
	v_cmp_ne_u32_e32 vcc, 0, v5
                                        ; implicit-def: $vgpr4
	s_and_saveexec_b64 s[28:29], vcc
	s_xor_b64 s[28:29], exec, s[28:29]
; %bb.7352:                             ;   in Loop: Header=BB6_4406 Depth=4
	v_cmp_lt_u64_e32 vcc, s[88:89], v[12:13]
	v_add_u32_e32 v4, 7, v23
	v_cndmask_b32_e32 v4, v5, v4, vcc
	v_cndmask_b32_e64 v5, 0, 1, vcc
	v_lshrrev_b64 v[12:13], v5, v[12:13]
; %bb.7353:                             ;   in Loop: Header=BB6_4406 Depth=4
	s_or_saveexec_b64 s[28:29], s[28:29]
	v_mov_b32_e32 v31, v21
	s_xor_b64 exec, exec, s[28:29]
; %bb.7354:                             ;   in Loop: Header=BB6_4406 Depth=4
	v_bfe_u32 v4, v12, 23, 1
; %bb.7355:                             ;   in Loop: Header=BB6_4406 Depth=4
	s_or_b64 exec, exec, s[28:29]
	v_lshrrev_b64 v[12:13], 20, v[12:13]
	v_cmp_gt_i32_e32 vcc, 16, v4
	v_cndmask_b32_e32 v13, 0, v13, vcc
	v_cndmask_b32_e32 v12, 7, v12, vcc
	v_cmp_eq_u32_e32 vcc, 0, v4
	v_min_i32_e32 v4, 15, v4
	v_cmp_eq_u64_e64 s[28:29], 0, v[12:13]
	v_lshlrev_b32_e32 v4, 3, v4
	v_and_b32_e32 v4, 0xf8, v4
	v_and_or_b32 v4, v12, 7, v4
	s_and_b64 s[28:29], vcc, s[28:29]
	v_cndmask_b32_e64 v4, v4, 0, s[28:29]
	v_or_b32_e32 v13, v4, v22
.LBB6_7356:                             ;   in Loop: Header=BB6_4406 Depth=4
	s_or_b64 exec, exec, s[36:37]
                                        ; implicit-def: $vgpr22
.LBB6_7357:                             ;   in Loop: Header=BB6_4406 Depth=4
	s_andn2_saveexec_b64 s[28:29], s[34:35]
; %bb.7358:                             ;   in Loop: Header=BB6_4406 Depth=4
	v_or_b32_e32 v13, 0x7e, v22
; %bb.7359:                             ;   in Loop: Header=BB6_4406 Depth=4
	s_or_b64 exec, exec, s[28:29]
                                        ; implicit-def: $vgpr4
.LBB6_7360:                             ;   in Loop: Header=BB6_4406 Depth=4
	s_andn2_saveexec_b64 s[28:29], s[30:31]
; %bb.7361:                             ;   in Loop: Header=BB6_4406 Depth=4
	v_or_b32_sdwa v13, v4, s86 dst_sel:DWORD dst_unused:UNUSED_PAD src0_sel:BYTE_3 src1_sel:DWORD
; %bb.7362:                             ;   in Loop: Header=BB6_4406 Depth=4
	s_or_b64 exec, exec, s[28:29]
	v_cmp_lt_u32_e32 vcc, s57, v50
	v_mov_b32_e32 v4, 0
	v_mov_b32_e32 v5, 0
	s_and_saveexec_b64 s[28:29], vcc
	s_cbranch_execz .LBB6_7368
; %bb.7363:                             ;   in Loop: Header=BB6_4406 Depth=4
	v_lshrrev_b32_e32 v12, 24, v50
	v_cmp_ne_u32_sdwa vcc, v50, s96 src0_sel:BYTE_3 src1_sel:DWORD
	v_bfrev_b32_e32 v5, 1
	s_and_saveexec_b64 s[30:31], vcc
	s_cbranch_execz .LBB6_7367
; %bb.7364:                             ;   in Loop: Header=BB6_4406 Depth=4
	v_bfe_u32 v22, v50, 24, 7
	v_cmp_ne_u32_e32 vcc, s86, v22
	v_mov_b32_e32 v5, 0x7f800001
	s_and_saveexec_b64 s[34:35], vcc
	s_cbranch_execz .LBB6_7366
; %bb.7365:                             ;   in Loop: Header=BB6_4406 Depth=4
	v_and_b32_e32 v5, 7, v12
	v_ffbh_u32_e32 v21, v5
	v_min_u32_e32 v21, 32, v21
	v_lshrrev_b32_e32 v20, 3, v22
	v_cmp_gt_u32_e32 vcc, 8, v22
	v_subrev_u32_e32 v22, 28, v21
	v_lshlrev_b64 v[22:23], v22, v[12:13]
	v_sub_u32_e32 v12, 29, v21
	v_and_b32_e32 v21, 7, v22
	v_cndmask_b32_e32 v12, v20, v12, vcc
	v_mov_b32_e32 v20, 24
	v_cndmask_b32_e32 v5, v5, v21, vcc
	v_lshlrev_b32_sdwa v20, v20, v50 dst_sel:DWORD dst_unused:UNUSED_PAD src0_sel:DWORD src1_sel:BYTE_3
	v_bfrev_b32_e32 v21, 60
	v_lshlrev_b32_e32 v5, 20, v5
	v_and_b32_e32 v20, 0x80000000, v20
	v_lshl_add_u32 v12, v12, 23, v21
	v_or3_b32 v5, v20, v12, v5
.LBB6_7366:                             ;   in Loop: Header=BB6_4406 Depth=4
	s_or_b64 exec, exec, s[34:35]
.LBB6_7367:                             ;   in Loop: Header=BB6_4406 Depth=4
	s_or_b64 exec, exec, s[30:31]
.LBB6_7368:                             ;   in Loop: Header=BB6_4406 Depth=4
	s_or_b64 exec, exec, s[28:29]
	v_cmp_lt_u64_e32 vcc, s[56:57], v[8:9]
	s_and_saveexec_b64 s[28:29], vcc
	s_cbranch_execz .LBB6_7374
; %bb.7369:                             ;   in Loop: Header=BB6_4406 Depth=4
	v_lshrrev_b32_e32 v8, 24, v9
	v_cmp_ne_u32_e32 vcc, s96, v8
	v_bfrev_b32_e32 v4, 1
	s_and_saveexec_b64 s[30:31], vcc
	s_cbranch_execz .LBB6_7373
; %bb.7370:                             ;   in Loop: Header=BB6_4406 Depth=4
	v_bfe_u32 v9, v9, 24, 7
	v_cmp_ne_u32_e32 vcc, s86, v9
	v_mov_b32_e32 v4, 0x7f800001
	s_and_saveexec_b64 s[34:35], vcc
	s_cbranch_execz .LBB6_7372
; %bb.7371:                             ;   in Loop: Header=BB6_4406 Depth=4
	v_and_b32_e32 v4, 7, v8
	v_lshrrev_b32_e32 v12, 3, v9
	v_cmp_gt_u32_e32 vcc, 8, v9
	v_ffbh_u32_e32 v9, v4
	v_min_u32_e32 v9, 32, v9
	v_subrev_u32_e32 v20, 28, v9
	v_lshlrev_b64 v[22:23], v20, v[8:9]
	v_sub_u32_e32 v9, 29, v9
	v_and_b32_e32 v20, 7, v22
	v_cndmask_b32_e32 v9, v12, v9, vcc
	v_cndmask_b32_e32 v4, v4, v20, vcc
	v_lshlrev_b32_e32 v8, 24, v8
	v_bfrev_b32_e32 v12, 60
	v_lshlrev_b32_e32 v4, 20, v4
	v_and_b32_e32 v8, 0x80000000, v8
	v_lshl_add_u32 v9, v9, 23, v12
	v_or3_b32 v4, v8, v9, v4
.LBB6_7372:                             ;   in Loop: Header=BB6_4406 Depth=4
	s_or_b64 exec, exec, s[34:35]
.LBB6_7373:                             ;   in Loop: Header=BB6_4406 Depth=4
	s_or_b64 exec, exec, s[30:31]
.LBB6_7374:                             ;   in Loop: Header=BB6_4406 Depth=4
	s_or_b64 exec, exec, s[28:29]
	v_add_f32_e32 v4, v5, v4
	v_and_b32_e32 v50, 0x7f800000, v4
	v_cmp_ne_u64_e32 vcc, s[76:77], v[50:51]
                                        ; implicit-def: $vgpr12
	s_and_saveexec_b64 s[28:29], vcc
	s_xor_b64 s[30:31], exec, s[28:29]
	s_cbranch_execz .LBB6_7388
; %bb.7375:                             ;   in Loop: Header=BB6_4406 Depth=4
	v_and_b32_e32 v50, 0x7fffffff, v4
	v_cmp_gt_u64_e32 vcc, s[78:79], v[50:51]
	v_and_b32_sdwa v22, v4, s96 dst_sel:DWORD dst_unused:UNUSED_PAD src0_sel:BYTE_3 src1_sel:DWORD
                                        ; implicit-def: $vgpr12
	s_and_saveexec_b64 s[28:29], vcc
	s_xor_b64 s[34:35], exec, s[28:29]
	s_cbranch_execz .LBB6_7385
; %bb.7376:                             ;   in Loop: Header=BB6_4406 Depth=4
	v_mov_b32_e32 v12, 0
	v_cmp_ne_u32_e32 vcc, 0, v4
	s_and_saveexec_b64 s[36:37], vcc
	s_cbranch_execz .LBB6_7384
; %bb.7377:                             ;   in Loop: Header=BB6_4406 Depth=4
	v_bfe_u32 v12, v4, 23, 8
	v_and_b32_e32 v5, 0x7fffff, v4
	v_cmp_gt_u32_e64 s[28:29], s97, v12
	v_sub_u32_e32 v4, 0x79, v12
	v_cmp_eq_u32_e32 vcc, 0, v12
	v_cndmask_b32_e64 v4, 0, v4, s[28:29]
	v_mov_b32_e32 v9, 0x78
	v_cndmask_b32_e32 v23, v4, v9, vcc
	v_or_b32_e32 v8, 0x800000, v5
	v_add_u32_e32 v4, 20, v23
	v_cndmask_b32_e32 v50, v8, v5, vcc
	v_lshlrev_b64 v[4:5], v4, -1
	v_add_u32_e32 v8, 19, v23
	v_lshlrev_b64 v[8:9], v8, 1
	v_bfi_b32 v5, v5, 0, 0
	v_bfi_b32 v4, v4, 0, v50
	v_cmp_eq_u64_e64 s[28:29], v[4:5], v[8:9]
	v_lshrrev_b64 v[8:9], v23, v[50:51]
	v_mov_b32_e32 v4, v8
	v_mov_b32_e32 v5, v9
	s_and_saveexec_b64 s[38:39], s[28:29]
; %bb.7378:                             ;   in Loop: Header=BB6_4406 Depth=4
	v_bfe_u32 v4, v8, 20, 1
	v_add_co_u32_e64 v4, s[28:29], v8, v4
	v_add_co_u32_e64 v4, s[28:29], -1, v4
; %bb.7379:                             ;   in Loop: Header=BB6_4406 Depth=4
	s_or_b64 exec, exec, s[38:39]
	v_add_u32_e32 v5, 0xffffff81, v12
	v_mov_b32_e32 v9, 0xffffff82
	v_cndmask_b32_e32 v5, v5, v9, vcc
	v_lshrrev_b32_e32 v9, 23, v8
	v_add3_u32 v12, v23, v5, v9
	v_add_u32_e32 v5, 6, v12
	v_and_b32_e32 v4, 0xfffff, v4
	v_add_u32_e32 v50, v4, v8
	v_cmp_ne_u32_e32 vcc, 0, v5
                                        ; implicit-def: $vgpr8_vgpr9
                                        ; implicit-def: $vgpr4
	s_and_saveexec_b64 s[28:29], vcc
	s_xor_b64 s[28:29], exec, s[28:29]
; %bb.7380:                             ;   in Loop: Header=BB6_4406 Depth=4
	v_cmp_lt_u64_e32 vcc, s[88:89], v[50:51]
	v_add_u32_e32 v4, 7, v12
	v_cndmask_b32_e32 v4, v5, v4, vcc
	v_cndmask_b32_e64 v5, 0, 1, vcc
	v_lshrrev_b64 v[8:9], v5, v[50:51]
; %bb.7381:                             ;   in Loop: Header=BB6_4406 Depth=4
	s_andn2_saveexec_b64 s[28:29], s[28:29]
; %bb.7382:                             ;   in Loop: Header=BB6_4406 Depth=4
	v_mov_b32_e32 v8, v50
	v_bfe_u32 v4, v50, 23, 1
	v_mov_b32_e32 v9, v51
; %bb.7383:                             ;   in Loop: Header=BB6_4406 Depth=4
	s_or_b64 exec, exec, s[28:29]
	v_lshrrev_b64 v[8:9], 20, v[8:9]
	v_cmp_gt_i32_e32 vcc, 16, v4
	v_cndmask_b32_e32 v9, 0, v9, vcc
	v_cndmask_b32_e32 v8, 7, v8, vcc
	v_cmp_eq_u32_e32 vcc, 0, v4
	v_min_i32_e32 v4, 15, v4
	v_cmp_eq_u64_e64 s[28:29], 0, v[8:9]
	v_lshlrev_b32_e32 v4, 3, v4
	v_and_b32_e32 v4, 0xf8, v4
	v_and_or_b32 v4, v8, 7, v4
	s_and_b64 s[28:29], vcc, s[28:29]
	v_cndmask_b32_e64 v4, v4, 0, s[28:29]
	v_or_b32_e32 v12, v4, v22
.LBB6_7384:                             ;   in Loop: Header=BB6_4406 Depth=4
	s_or_b64 exec, exec, s[36:37]
                                        ; implicit-def: $vgpr22
.LBB6_7385:                             ;   in Loop: Header=BB6_4406 Depth=4
	s_andn2_saveexec_b64 s[28:29], s[34:35]
; %bb.7386:                             ;   in Loop: Header=BB6_4406 Depth=4
	v_or_b32_e32 v12, 0x7e, v22
; %bb.7387:                             ;   in Loop: Header=BB6_4406 Depth=4
	s_or_b64 exec, exec, s[28:29]
                                        ; implicit-def: $vgpr4
.LBB6_7388:                             ;   in Loop: Header=BB6_4406 Depth=4
	s_andn2_saveexec_b64 s[28:29], s[30:31]
; %bb.7389:                             ;   in Loop: Header=BB6_4406 Depth=4
	v_or_b32_sdwa v12, v4, s86 dst_sel:DWORD dst_unused:UNUSED_PAD src0_sel:BYTE_3 src1_sel:DWORD
; %bb.7390:                             ;   in Loop: Header=BB6_4406 Depth=4
	s_or_b64 exec, exec, s[28:29]
	buffer_load_dword v4, off, s[0:3], s33 offset:112 ; 4-byte Folded Reload
	buffer_load_dword v5, off, s[0:3], s33 offset:140 ; 4-byte Folded Reload
	v_cmp_ne_u32_e32 vcc, 0, v34
	s_waitcnt vmcnt(1)
	v_lshl_or_b32 v22, v4, 8, v34
	buffer_load_dword v4, off, s[0:3], s33 offset:128 ; 4-byte Folded Reload
	s_waitcnt vmcnt(1)
	v_lshlrev_b32_e32 v5, 24, v5
	s_waitcnt vmcnt(0)
	v_lshlrev_b32_e32 v4, 16, v4
	v_or3_b32 v50, v4, v5, v22
	v_mov_b32_e32 v4, 0
	v_mov_b32_e32 v5, 0
	s_and_saveexec_b64 s[28:29], vcc
	s_cbranch_execz .LBB6_7396
; %bb.7391:                             ;   in Loop: Header=BB6_4406 Depth=4
	v_cmp_ne_u32_e32 vcc, s96, v34
	v_bfrev_b32_e32 v5, 1
	s_and_saveexec_b64 s[30:31], vcc
	s_cbranch_execz .LBB6_7395
; %bb.7392:                             ;   in Loop: Header=BB6_4406 Depth=4
	v_and_b32_e32 v8, 0x7f, v34
	v_cmp_ne_u32_e32 vcc, s86, v8
	v_mov_b32_e32 v5, 0x7f800001
	s_and_saveexec_b64 s[34:35], vcc
	s_cbranch_execz .LBB6_7394
; %bb.7393:                             ;   in Loop: Header=BB6_4406 Depth=4
	v_and_b32_e32 v5, 7, v34
	v_ffbh_u32_e32 v5, v5
	v_min_u32_e32 v5, 32, v5
	v_lshrrev_b32_e32 v9, 3, v8
	v_cmp_gt_u32_e32 vcc, 8, v8
	v_subrev_u32_e32 v8, 28, v5
	v_sub_u32_e32 v5, 29, v5
	v_cndmask_b32_e32 v8, 0, v8, vcc
	v_cndmask_b32_e32 v5, v9, v5, vcc
	v_lshlrev_b64 v[8:9], v8, v[50:51]
	v_lshlrev_b32_e32 v9, 24, v50
	v_lshlrev_b32_e32 v8, 20, v8
	v_bfrev_b32_e32 v20, 60
	v_and_b32_e32 v8, 0x700000, v8
	v_and_b32_e32 v9, 0x80000000, v9
	v_lshl_add_u32 v5, v5, 23, v20
	v_or3_b32 v5, v9, v5, v8
.LBB6_7394:                             ;   in Loop: Header=BB6_4406 Depth=4
	s_or_b64 exec, exec, s[34:35]
.LBB6_7395:                             ;   in Loop: Header=BB6_4406 Depth=4
	s_or_b64 exec, exec, s[30:31]
.LBB6_7396:                             ;   in Loop: Header=BB6_4406 Depth=4
	s_or_b64 exec, exec, s[28:29]
	v_cmp_ne_u16_sdwa vcc, v10, v51 src0_sel:BYTE_0 src1_sel:DWORD
	s_and_saveexec_b64 s[28:29], vcc
	s_cbranch_execz .LBB6_7402
; %bb.7397:                             ;   in Loop: Header=BB6_4406 Depth=4
	v_cmp_ne_u16_sdwa vcc, v10, s96 src0_sel:BYTE_0 src1_sel:DWORD
	v_bfrev_b32_e32 v4, 1
	s_and_saveexec_b64 s[30:31], vcc
	s_cbranch_execz .LBB6_7401
; %bb.7398:                             ;   in Loop: Header=BB6_4406 Depth=4
	v_and_b32_e32 v8, 0x7f, v10
	v_cmp_ne_u32_e32 vcc, s86, v8
	v_mov_b32_e32 v4, 0x7f800001
	s_and_saveexec_b64 s[34:35], vcc
	s_cbranch_execz .LBB6_7400
; %bb.7399:                             ;   in Loop: Header=BB6_4406 Depth=4
	v_and_b32_e32 v4, 7, v10
	v_ffbh_u32_e32 v4, v4
	v_min_u32_e32 v4, 32, v4
	v_lshrrev_b32_e32 v9, 3, v8
	v_cmp_gt_u32_e32 vcc, 8, v8
	v_subrev_u32_e32 v8, 28, v4
	v_sub_u32_e32 v4, 29, v4
	v_cndmask_b32_e32 v8, 0, v8, vcc
	v_cndmask_b32_e32 v4, v9, v4, vcc
	v_lshlrev_b64 v[8:9], v8, v[10:11]
	v_lshlrev_b32_e32 v9, 24, v10
	v_lshlrev_b32_e32 v8, 20, v8
	v_bfrev_b32_e32 v20, 60
	v_and_b32_e32 v8, 0x700000, v8
	v_and_b32_e32 v9, 0x80000000, v9
	v_lshl_add_u32 v4, v4, 23, v20
	v_or3_b32 v4, v9, v4, v8
.LBB6_7400:                             ;   in Loop: Header=BB6_4406 Depth=4
	s_or_b64 exec, exec, s[34:35]
.LBB6_7401:                             ;   in Loop: Header=BB6_4406 Depth=4
	s_or_b64 exec, exec, s[30:31]
.LBB6_7402:                             ;   in Loop: Header=BB6_4406 Depth=4
	s_or_b64 exec, exec, s[28:29]
	v_add_f32_e32 v4, v5, v4
	v_and_b32_e32 v8, 0x7f800000, v4
	v_mov_b32_e32 v9, v51
	v_cmp_ne_u64_e32 vcc, s[76:77], v[8:9]
                                        ; implicit-def: $vgpr34
	s_and_saveexec_b64 s[28:29], vcc
	s_xor_b64 s[30:31], exec, s[28:29]
	s_cbranch_execz .LBB6_7416
; %bb.7403:                             ;   in Loop: Header=BB6_4406 Depth=4
	v_and_b32_e32 v8, 0x7fffffff, v4
	v_mov_b32_e32 v9, v51
	v_cmp_gt_u64_e32 vcc, s[78:79], v[8:9]
	v_and_b32_sdwa v25, v4, s96 dst_sel:DWORD dst_unused:UNUSED_PAD src0_sel:BYTE_3 src1_sel:DWORD
                                        ; implicit-def: $vgpr34
	s_and_saveexec_b64 s[28:29], vcc
	s_xor_b64 s[34:35], exec, s[28:29]
	s_cbranch_execz .LBB6_7413
; %bb.7404:                             ;   in Loop: Header=BB6_4406 Depth=4
	v_mov_b32_e32 v34, 0
	v_cmp_ne_u32_e32 vcc, 0, v4
	s_and_saveexec_b64 s[36:37], vcc
	s_cbranch_execz .LBB6_7412
; %bb.7405:                             ;   in Loop: Header=BB6_4406 Depth=4
	v_bfe_u32 v23, v4, 23, 8
	v_and_b32_e32 v5, 0x7fffff, v4
	v_cmp_gt_u32_e64 s[28:29], s97, v23
	v_sub_u32_e32 v4, 0x79, v23
	v_cmp_eq_u32_e32 vcc, 0, v23
	v_cndmask_b32_e64 v4, 0, v4, s[28:29]
	v_mov_b32_e32 v9, 0x78
	v_or_b32_e32 v8, 0x800000, v5
	v_cndmask_b32_e32 v30, v4, v9, vcc
	v_cndmask_b32_e32 v4, v8, v5, vcc
	v_add_u32_e32 v8, 20, v30
	v_lshlrev_b64 v[8:9], v8, -1
	v_add_u32_e32 v20, 19, v30
	v_mov_b32_e32 v21, v31
	v_lshlrev_b64 v[31:32], v20, 1
	v_mov_b32_e32 v5, v51
	v_bfi_b32 v9, v9, 0, 0
	v_bfi_b32 v8, v8, 0, v4
	v_cmp_eq_u64_e64 s[28:29], v[8:9], v[31:32]
	v_lshrrev_b64 v[8:9], v30, v[4:5]
	v_mov_b32_e32 v4, v8
	v_mov_b32_e32 v5, v9
	s_and_saveexec_b64 s[38:39], s[28:29]
; %bb.7406:                             ;   in Loop: Header=BB6_4406 Depth=4
	v_bfe_u32 v4, v8, 20, 1
	v_add_co_u32_e64 v4, s[28:29], v8, v4
	v_add_co_u32_e64 v4, s[28:29], -1, v4
; %bb.7407:                             ;   in Loop: Header=BB6_4406 Depth=4
	s_or_b64 exec, exec, s[38:39]
	v_add_u32_e32 v5, 0xffffff81, v23
	v_mov_b32_e32 v9, 0xffffff82
	v_cndmask_b32_e32 v5, v5, v9, vcc
	v_lshrrev_b32_e32 v9, 23, v8
	v_add3_u32 v23, v30, v5, v9
	v_add_u32_e32 v5, 6, v23
	v_and_b32_e32 v4, 0xfffff, v4
	v_add_u32_e32 v8, v4, v8
	v_mov_b32_e32 v9, v51
	v_cmp_ne_u32_e32 vcc, 0, v5
                                        ; implicit-def: $vgpr4
	s_and_saveexec_b64 s[28:29], vcc
	s_xor_b64 s[28:29], exec, s[28:29]
; %bb.7408:                             ;   in Loop: Header=BB6_4406 Depth=4
	v_cmp_lt_u64_e32 vcc, s[88:89], v[8:9]
	v_add_u32_e32 v4, 7, v23
	v_cndmask_b32_e32 v4, v5, v4, vcc
	v_cndmask_b32_e64 v5, 0, 1, vcc
	v_lshrrev_b64 v[8:9], v5, v[8:9]
; %bb.7409:                             ;   in Loop: Header=BB6_4406 Depth=4
	s_or_saveexec_b64 s[28:29], s[28:29]
	v_mov_b32_e32 v31, v21
	s_xor_b64 exec, exec, s[28:29]
; %bb.7410:                             ;   in Loop: Header=BB6_4406 Depth=4
	v_bfe_u32 v4, v8, 23, 1
; %bb.7411:                             ;   in Loop: Header=BB6_4406 Depth=4
	s_or_b64 exec, exec, s[28:29]
	v_lshrrev_b64 v[8:9], 20, v[8:9]
	v_cmp_gt_i32_e32 vcc, 16, v4
	v_cndmask_b32_e32 v9, 0, v9, vcc
	v_cndmask_b32_e32 v8, 7, v8, vcc
	v_cmp_eq_u32_e32 vcc, 0, v4
	v_min_i32_e32 v4, 15, v4
	v_cmp_eq_u64_e64 s[28:29], 0, v[8:9]
	v_lshlrev_b32_e32 v4, 3, v4
	v_and_b32_e32 v4, 0xf8, v4
	v_and_or_b32 v4, v8, 7, v4
	s_and_b64 s[28:29], vcc, s[28:29]
	v_cndmask_b32_e64 v4, v4, 0, s[28:29]
	v_or_b32_e32 v34, v4, v25
.LBB6_7412:                             ;   in Loop: Header=BB6_4406 Depth=4
	s_or_b64 exec, exec, s[36:37]
                                        ; implicit-def: $vgpr25
.LBB6_7413:                             ;   in Loop: Header=BB6_4406 Depth=4
	s_andn2_saveexec_b64 s[28:29], s[34:35]
; %bb.7414:                             ;   in Loop: Header=BB6_4406 Depth=4
	v_or_b32_e32 v34, 0x7e, v25
; %bb.7415:                             ;   in Loop: Header=BB6_4406 Depth=4
	s_or_b64 exec, exec, s[28:29]
                                        ; implicit-def: $vgpr4
.LBB6_7416:                             ;   in Loop: Header=BB6_4406 Depth=4
	s_andn2_saveexec_b64 s[28:29], s[30:31]
; %bb.7417:                             ;   in Loop: Header=BB6_4406 Depth=4
	v_or_b32_sdwa v34, v4, s86 dst_sel:DWORD dst_unused:UNUSED_PAD src0_sel:BYTE_3 src1_sel:DWORD
; %bb.7418:                             ;   in Loop: Header=BB6_4406 Depth=4
	s_or_b64 exec, exec, s[28:29]
	v_lshrrev_b16_e32 v8, 8, v22
	v_cmp_ne_u16_e32 vcc, 0, v8
	v_mov_b32_e32 v4, 0
	v_mov_b32_e32 v5, 0
	s_and_saveexec_b64 s[28:29], vcc
	s_cbranch_execz .LBB6_7424
; %bb.7419:                             ;   in Loop: Header=BB6_4406 Depth=4
	v_cmp_ne_u16_e32 vcc, s96, v8
	v_bfrev_b32_e32 v5, 1
	s_and_saveexec_b64 s[30:31], vcc
	s_cbranch_execz .LBB6_7423
; %bb.7420:                             ;   in Loop: Header=BB6_4406 Depth=4
	v_and_b32_e32 v9, 0x7f, v8
	v_cmp_ne_u32_e32 vcc, s86, v9
	v_mov_b32_e32 v5, 0x7f800001
	s_and_saveexec_b64 s[34:35], vcc
	s_cbranch_execz .LBB6_7422
; %bb.7421:                             ;   in Loop: Header=BB6_4406 Depth=4
	v_and_b32_e32 v5, 7, v8
	v_lshrrev_b32_e32 v20, 3, v9
	v_cmp_gt_u32_e32 vcc, 8, v9
	v_ffbh_u32_e32 v9, v5
	v_min_u32_e32 v21, 32, v9
	v_subrev_u32_e32 v9, 28, v21
	v_lshlrev_b64 v[8:9], v9, v[8:9]
	v_sub_u32_e32 v9, 29, v21
	v_and_b32_e32 v8, 7, v8
	v_cndmask_b32_e32 v9, v20, v9, vcc
	v_cndmask_b32_e32 v5, v5, v8, vcc
	v_lshlrev_b32_e32 v8, 16, v22
	v_bfrev_b32_e32 v20, 60
	v_lshlrev_b32_e32 v5, 20, v5
	v_and_b32_e32 v8, 0x80000000, v8
	v_lshl_add_u32 v9, v9, 23, v20
	v_or3_b32 v5, v8, v9, v5
.LBB6_7422:                             ;   in Loop: Header=BB6_4406 Depth=4
	s_or_b64 exec, exec, s[34:35]
.LBB6_7423:                             ;   in Loop: Header=BB6_4406 Depth=4
	s_or_b64 exec, exec, s[30:31]
.LBB6_7424:                             ;   in Loop: Header=BB6_4406 Depth=4
	s_or_b64 exec, exec, s[28:29]
	v_lshrrev_b16_e32 v8, 8, v10
	v_cmp_ne_u16_e32 vcc, 0, v8
	s_and_saveexec_b64 s[28:29], vcc
	s_cbranch_execz .LBB6_7430
; %bb.7425:                             ;   in Loop: Header=BB6_4406 Depth=4
	v_cmp_ne_u16_e32 vcc, s96, v8
	v_bfrev_b32_e32 v4, 1
	s_and_saveexec_b64 s[30:31], vcc
	s_cbranch_execz .LBB6_7429
; %bb.7426:                             ;   in Loop: Header=BB6_4406 Depth=4
	v_and_b32_e32 v9, 0x7f, v8
	v_cmp_ne_u32_e32 vcc, s86, v9
	v_mov_b32_e32 v4, 0x7f800001
	s_and_saveexec_b64 s[34:35], vcc
	s_cbranch_execz .LBB6_7428
; %bb.7427:                             ;   in Loop: Header=BB6_4406 Depth=4
	v_and_b32_e32 v4, 7, v8
	v_lshrrev_b32_e32 v20, 3, v9
	v_cmp_gt_u32_e32 vcc, 8, v9
	v_ffbh_u32_e32 v9, v4
	v_min_u32_e32 v21, 32, v9
	v_subrev_u32_e32 v9, 28, v21
	v_lshlrev_b64 v[8:9], v9, v[8:9]
	v_sub_u32_e32 v9, 29, v21
	v_and_b32_e32 v8, 7, v8
	v_cndmask_b32_e32 v9, v20, v9, vcc
	v_cndmask_b32_e32 v4, v4, v8, vcc
	v_lshlrev_b32_e32 v8, 16, v10
	v_bfrev_b32_e32 v20, 60
	v_lshlrev_b32_e32 v4, 20, v4
	v_and_b32_e32 v8, 0x80000000, v8
	v_lshl_add_u32 v9, v9, 23, v20
	v_or3_b32 v4, v8, v9, v4
.LBB6_7428:                             ;   in Loop: Header=BB6_4406 Depth=4
	s_or_b64 exec, exec, s[34:35]
.LBB6_7429:                             ;   in Loop: Header=BB6_4406 Depth=4
	s_or_b64 exec, exec, s[30:31]
.LBB6_7430:                             ;   in Loop: Header=BB6_4406 Depth=4
	s_or_b64 exec, exec, s[28:29]
	v_add_f32_e32 v4, v5, v4
	v_and_b32_e32 v8, 0x7f800000, v4
	v_mov_b32_e32 v9, v51
	v_cmp_ne_u64_e32 vcc, s[76:77], v[8:9]
                                        ; implicit-def: $vgpr25
	s_and_saveexec_b64 s[28:29], vcc
	s_xor_b64 s[30:31], exec, s[28:29]
	s_cbranch_execz .LBB6_7444
; %bb.7431:                             ;   in Loop: Header=BB6_4406 Depth=4
	v_and_b32_e32 v8, 0x7fffffff, v4
	v_mov_b32_e32 v9, v51
	v_cmp_gt_u64_e32 vcc, s[78:79], v[8:9]
	v_and_b32_sdwa v22, v4, s96 dst_sel:DWORD dst_unused:UNUSED_PAD src0_sel:BYTE_3 src1_sel:DWORD
                                        ; implicit-def: $vgpr25
	s_and_saveexec_b64 s[28:29], vcc
	s_xor_b64 s[34:35], exec, s[28:29]
	s_cbranch_execz .LBB6_7441
; %bb.7432:                             ;   in Loop: Header=BB6_4406 Depth=4
	v_mov_b32_e32 v25, 0
	v_cmp_ne_u32_e32 vcc, 0, v4
	s_and_saveexec_b64 s[36:37], vcc
	s_cbranch_execz .LBB6_7440
; %bb.7433:                             ;   in Loop: Header=BB6_4406 Depth=4
	v_bfe_u32 v23, v4, 23, 8
	v_and_b32_e32 v5, 0x7fffff, v4
	v_cmp_gt_u32_e64 s[28:29], s97, v23
	v_sub_u32_e32 v4, 0x79, v23
	v_cmp_eq_u32_e32 vcc, 0, v23
	v_cndmask_b32_e64 v4, 0, v4, s[28:29]
	v_mov_b32_e32 v9, 0x78
	v_or_b32_e32 v8, 0x800000, v5
	v_cndmask_b32_e32 v25, v4, v9, vcc
	v_cndmask_b32_e32 v4, v8, v5, vcc
	v_add_u32_e32 v8, 20, v25
	v_lshlrev_b64 v[8:9], v8, -1
	v_add_u32_e32 v20, 19, v25
	v_mov_b32_e32 v21, v31
	v_lshlrev_b64 v[30:31], v20, 1
	v_mov_b32_e32 v5, v51
	v_bfi_b32 v9, v9, 0, 0
	v_bfi_b32 v8, v8, 0, v4
	v_cmp_eq_u64_e64 s[28:29], v[8:9], v[30:31]
	v_lshrrev_b64 v[8:9], v25, v[4:5]
	v_mov_b32_e32 v4, v8
	v_mov_b32_e32 v5, v9
	s_and_saveexec_b64 s[38:39], s[28:29]
; %bb.7434:                             ;   in Loop: Header=BB6_4406 Depth=4
	v_bfe_u32 v4, v8, 20, 1
	v_add_co_u32_e64 v4, s[28:29], v8, v4
	v_add_co_u32_e64 v4, s[28:29], -1, v4
; %bb.7435:                             ;   in Loop: Header=BB6_4406 Depth=4
	s_or_b64 exec, exec, s[38:39]
	v_add_u32_e32 v5, 0xffffff81, v23
	v_mov_b32_e32 v9, 0xffffff82
	v_cndmask_b32_e32 v5, v5, v9, vcc
	v_lshrrev_b32_e32 v9, 23, v8
	v_add3_u32 v23, v25, v5, v9
	v_add_u32_e32 v5, 6, v23
	v_and_b32_e32 v4, 0xfffff, v4
	v_add_u32_e32 v8, v4, v8
	v_mov_b32_e32 v9, v51
	v_cmp_ne_u32_e32 vcc, 0, v5
                                        ; implicit-def: $vgpr4
	s_and_saveexec_b64 s[28:29], vcc
	s_xor_b64 s[28:29], exec, s[28:29]
; %bb.7436:                             ;   in Loop: Header=BB6_4406 Depth=4
	v_cmp_lt_u64_e32 vcc, s[88:89], v[8:9]
	v_add_u32_e32 v4, 7, v23
	v_cndmask_b32_e32 v4, v5, v4, vcc
	v_cndmask_b32_e64 v5, 0, 1, vcc
	v_lshrrev_b64 v[8:9], v5, v[8:9]
; %bb.7437:                             ;   in Loop: Header=BB6_4406 Depth=4
	s_or_saveexec_b64 s[28:29], s[28:29]
	v_mov_b32_e32 v31, v21
	s_xor_b64 exec, exec, s[28:29]
; %bb.7438:                             ;   in Loop: Header=BB6_4406 Depth=4
	v_bfe_u32 v4, v8, 23, 1
; %bb.7439:                             ;   in Loop: Header=BB6_4406 Depth=4
	s_or_b64 exec, exec, s[28:29]
	v_lshrrev_b64 v[8:9], 20, v[8:9]
	v_cmp_gt_i32_e32 vcc, 16, v4
	v_cndmask_b32_e32 v9, 0, v9, vcc
	v_cndmask_b32_e32 v8, 7, v8, vcc
	v_cmp_eq_u32_e32 vcc, 0, v4
	v_min_i32_e32 v4, 15, v4
	v_cmp_eq_u64_e64 s[28:29], 0, v[8:9]
	v_lshlrev_b32_e32 v4, 3, v4
	v_and_b32_e32 v4, 0xf8, v4
	v_and_or_b32 v4, v8, 7, v4
	s_and_b64 s[28:29], vcc, s[28:29]
	v_cndmask_b32_e64 v4, v4, 0, s[28:29]
	v_or_b32_e32 v25, v4, v22
.LBB6_7440:                             ;   in Loop: Header=BB6_4406 Depth=4
	s_or_b64 exec, exec, s[36:37]
                                        ; implicit-def: $vgpr22
.LBB6_7441:                             ;   in Loop: Header=BB6_4406 Depth=4
	s_andn2_saveexec_b64 s[28:29], s[34:35]
; %bb.7442:                             ;   in Loop: Header=BB6_4406 Depth=4
	v_or_b32_e32 v25, 0x7e, v22
; %bb.7443:                             ;   in Loop: Header=BB6_4406 Depth=4
	s_or_b64 exec, exec, s[28:29]
                                        ; implicit-def: $vgpr4
.LBB6_7444:                             ;   in Loop: Header=BB6_4406 Depth=4
	s_andn2_saveexec_b64 s[28:29], s[30:31]
; %bb.7445:                             ;   in Loop: Header=BB6_4406 Depth=4
	v_or_b32_sdwa v25, v4, s86 dst_sel:DWORD dst_unused:UNUSED_PAD src0_sel:BYTE_3 src1_sel:DWORD
; %bb.7446:                             ;   in Loop: Header=BB6_4406 Depth=4
	s_or_b64 exec, exec, s[28:29]
	v_lshrrev_b32_e32 v8, 16, v50
	v_cmp_ne_u16_sdwa vcc, v8, v51 src0_sel:BYTE_0 src1_sel:DWORD
	v_mov_b32_e32 v4, 0
	v_mov_b32_e32 v5, 0
	s_and_saveexec_b64 s[28:29], vcc
	s_cbranch_execz .LBB6_7452
; %bb.7447:                             ;   in Loop: Header=BB6_4406 Depth=4
	v_cmp_ne_u16_sdwa vcc, v8, s96 src0_sel:BYTE_0 src1_sel:DWORD
	v_bfrev_b32_e32 v5, 1
	s_and_saveexec_b64 s[30:31], vcc
	s_cbranch_execz .LBB6_7451
; %bb.7448:                             ;   in Loop: Header=BB6_4406 Depth=4
	v_bfe_u32 v9, v50, 16, 7
	v_cmp_ne_u32_e32 vcc, s86, v9
	v_mov_b32_e32 v5, 0x7f800001
	s_and_saveexec_b64 s[34:35], vcc
	s_cbranch_execz .LBB6_7450
; %bb.7449:                             ;   in Loop: Header=BB6_4406 Depth=4
	v_and_b32_e32 v5, 7, v8
	v_lshrrev_b32_e32 v20, 3, v9
	v_cmp_gt_u32_e32 vcc, 8, v9
	v_ffbh_u32_e32 v9, v5
	v_min_u32_e32 v9, 32, v9
	v_subrev_u32_e32 v21, 28, v9
	v_lshlrev_b64 v[22:23], v21, v[8:9]
	v_sub_u32_e32 v9, 29, v9
	v_and_b32_e32 v21, 7, v22
	v_cndmask_b32_e32 v9, v20, v9, vcc
	v_cndmask_b32_e32 v5, v5, v21, vcc
	v_lshlrev_b32_e32 v8, 24, v8
	v_bfrev_b32_e32 v20, 60
	v_lshlrev_b32_e32 v5, 20, v5
	v_and_b32_e32 v8, 0x80000000, v8
	v_lshl_add_u32 v9, v9, 23, v20
	v_or3_b32 v5, v8, v9, v5
.LBB6_7450:                             ;   in Loop: Header=BB6_4406 Depth=4
	s_or_b64 exec, exec, s[34:35]
.LBB6_7451:                             ;   in Loop: Header=BB6_4406 Depth=4
	s_or_b64 exec, exec, s[30:31]
.LBB6_7452:                             ;   in Loop: Header=BB6_4406 Depth=4
	s_or_b64 exec, exec, s[28:29]
	v_lshrrev_b32_e32 v8, 16, v10
	v_cmp_ne_u16_sdwa vcc, v8, v51 src0_sel:BYTE_0 src1_sel:DWORD
	s_and_saveexec_b64 s[28:29], vcc
	s_cbranch_execz .LBB6_7458
; %bb.7453:                             ;   in Loop: Header=BB6_4406 Depth=4
	v_cmp_ne_u16_sdwa vcc, v8, s96 src0_sel:BYTE_0 src1_sel:DWORD
	v_bfrev_b32_e32 v4, 1
	s_and_saveexec_b64 s[30:31], vcc
	s_cbranch_execz .LBB6_7457
; %bb.7454:                             ;   in Loop: Header=BB6_4406 Depth=4
	v_bfe_u32 v9, v10, 16, 7
	v_cmp_ne_u32_e32 vcc, s86, v9
	v_mov_b32_e32 v4, 0x7f800001
	s_and_saveexec_b64 s[34:35], vcc
	s_cbranch_execz .LBB6_7456
; %bb.7455:                             ;   in Loop: Header=BB6_4406 Depth=4
	v_and_b32_e32 v4, 7, v8
	v_lshrrev_b32_e32 v20, 3, v9
	v_cmp_gt_u32_e32 vcc, 8, v9
	v_ffbh_u32_e32 v9, v4
	v_min_u32_e32 v21, 32, v9
	v_subrev_u32_e32 v9, 28, v21
	v_lshlrev_b64 v[8:9], v9, v[8:9]
	v_sub_u32_e32 v9, 29, v21
	v_and_b32_e32 v8, 7, v8
	v_cndmask_b32_e32 v9, v20, v9, vcc
	v_cndmask_b32_e32 v4, v4, v8, vcc
	v_lshlrev_b32_e32 v8, 8, v10
	v_bfrev_b32_e32 v20, 60
	v_lshlrev_b32_e32 v4, 20, v4
	v_and_b32_e32 v8, 0x80000000, v8
	v_lshl_add_u32 v9, v9, 23, v20
	v_or3_b32 v4, v8, v9, v4
.LBB6_7456:                             ;   in Loop: Header=BB6_4406 Depth=4
	s_or_b64 exec, exec, s[34:35]
.LBB6_7457:                             ;   in Loop: Header=BB6_4406 Depth=4
	s_or_b64 exec, exec, s[30:31]
.LBB6_7458:                             ;   in Loop: Header=BB6_4406 Depth=4
	s_or_b64 exec, exec, s[28:29]
	v_add_f32_e32 v4, v5, v4
	v_and_b32_e32 v8, 0x7f800000, v4
	v_mov_b32_e32 v9, v51
	v_cmp_ne_u64_e32 vcc, s[76:77], v[8:9]
                                        ; implicit-def: $vgpr30
	s_and_saveexec_b64 s[28:29], vcc
	s_xor_b64 s[30:31], exec, s[28:29]
	s_cbranch_execz .LBB6_7472
; %bb.7459:                             ;   in Loop: Header=BB6_4406 Depth=4
	v_and_b32_e32 v8, 0x7fffffff, v4
	v_mov_b32_e32 v9, v51
	v_cmp_gt_u64_e32 vcc, s[78:79], v[8:9]
	v_and_b32_sdwa v22, v4, s96 dst_sel:DWORD dst_unused:UNUSED_PAD src0_sel:BYTE_3 src1_sel:DWORD
                                        ; implicit-def: $vgpr30
	s_and_saveexec_b64 s[28:29], vcc
	s_xor_b64 s[34:35], exec, s[28:29]
	s_cbranch_execz .LBB6_7469
; %bb.7460:                             ;   in Loop: Header=BB6_4406 Depth=4
	v_mov_b32_e32 v30, 0
	v_cmp_ne_u32_e32 vcc, 0, v4
	s_and_saveexec_b64 s[36:37], vcc
	s_cbranch_execz .LBB6_7468
; %bb.7461:                             ;   in Loop: Header=BB6_4406 Depth=4
	v_bfe_u32 v23, v4, 23, 8
	v_and_b32_e32 v5, 0x7fffff, v4
	v_cmp_gt_u32_e64 s[28:29], s97, v23
	v_sub_u32_e32 v4, 0x79, v23
	v_cmp_eq_u32_e32 vcc, 0, v23
	v_cndmask_b32_e64 v4, 0, v4, s[28:29]
	v_mov_b32_e32 v9, 0x78
	v_or_b32_e32 v8, 0x800000, v5
	v_cndmask_b32_e32 v30, v4, v9, vcc
	v_cndmask_b32_e32 v4, v8, v5, vcc
	v_add_u32_e32 v8, 20, v30
	v_lshlrev_b64 v[8:9], v8, -1
	v_add_u32_e32 v20, 19, v30
	v_mov_b32_e32 v21, v31
	v_lshlrev_b64 v[31:32], v20, 1
	v_mov_b32_e32 v5, v51
	v_bfi_b32 v9, v9, 0, 0
	v_bfi_b32 v8, v8, 0, v4
	v_cmp_eq_u64_e64 s[28:29], v[8:9], v[31:32]
	v_lshrrev_b64 v[8:9], v30, v[4:5]
	v_mov_b32_e32 v4, v8
	v_mov_b32_e32 v5, v9
	s_and_saveexec_b64 s[38:39], s[28:29]
; %bb.7462:                             ;   in Loop: Header=BB6_4406 Depth=4
	v_bfe_u32 v4, v8, 20, 1
	v_add_co_u32_e64 v4, s[28:29], v8, v4
	v_add_co_u32_e64 v4, s[28:29], -1, v4
; %bb.7463:                             ;   in Loop: Header=BB6_4406 Depth=4
	s_or_b64 exec, exec, s[38:39]
	v_add_u32_e32 v5, 0xffffff81, v23
	v_mov_b32_e32 v9, 0xffffff82
	v_cndmask_b32_e32 v5, v5, v9, vcc
	v_lshrrev_b32_e32 v9, 23, v8
	v_add3_u32 v23, v30, v5, v9
	v_add_u32_e32 v5, 6, v23
	v_and_b32_e32 v4, 0xfffff, v4
	v_add_u32_e32 v8, v4, v8
	v_mov_b32_e32 v9, v51
	v_cmp_ne_u32_e32 vcc, 0, v5
                                        ; implicit-def: $vgpr4
	s_and_saveexec_b64 s[28:29], vcc
	s_xor_b64 s[28:29], exec, s[28:29]
; %bb.7464:                             ;   in Loop: Header=BB6_4406 Depth=4
	v_cmp_lt_u64_e32 vcc, s[88:89], v[8:9]
	v_add_u32_e32 v4, 7, v23
	v_cndmask_b32_e32 v4, v5, v4, vcc
	v_cndmask_b32_e64 v5, 0, 1, vcc
	v_lshrrev_b64 v[8:9], v5, v[8:9]
; %bb.7465:                             ;   in Loop: Header=BB6_4406 Depth=4
	s_or_saveexec_b64 s[28:29], s[28:29]
	v_mov_b32_e32 v31, v21
	s_xor_b64 exec, exec, s[28:29]
; %bb.7466:                             ;   in Loop: Header=BB6_4406 Depth=4
	v_bfe_u32 v4, v8, 23, 1
; %bb.7467:                             ;   in Loop: Header=BB6_4406 Depth=4
	s_or_b64 exec, exec, s[28:29]
	v_lshrrev_b64 v[8:9], 20, v[8:9]
	v_cmp_gt_i32_e32 vcc, 16, v4
	v_cndmask_b32_e32 v9, 0, v9, vcc
	v_cndmask_b32_e32 v8, 7, v8, vcc
	v_cmp_eq_u32_e32 vcc, 0, v4
	v_min_i32_e32 v4, 15, v4
	v_cmp_eq_u64_e64 s[28:29], 0, v[8:9]
	v_lshlrev_b32_e32 v4, 3, v4
	v_and_b32_e32 v4, 0xf8, v4
	v_and_or_b32 v4, v8, 7, v4
	s_and_b64 s[28:29], vcc, s[28:29]
	v_cndmask_b32_e64 v4, v4, 0, s[28:29]
	v_or_b32_e32 v30, v4, v22
.LBB6_7468:                             ;   in Loop: Header=BB6_4406 Depth=4
	s_or_b64 exec, exec, s[36:37]
                                        ; implicit-def: $vgpr22
.LBB6_7469:                             ;   in Loop: Header=BB6_4406 Depth=4
	s_andn2_saveexec_b64 s[28:29], s[34:35]
; %bb.7470:                             ;   in Loop: Header=BB6_4406 Depth=4
	v_or_b32_e32 v30, 0x7e, v22
; %bb.7471:                             ;   in Loop: Header=BB6_4406 Depth=4
	s_or_b64 exec, exec, s[28:29]
                                        ; implicit-def: $vgpr4
.LBB6_7472:                             ;   in Loop: Header=BB6_4406 Depth=4
	s_andn2_saveexec_b64 s[28:29], s[30:31]
; %bb.7473:                             ;   in Loop: Header=BB6_4406 Depth=4
	v_or_b32_sdwa v30, v4, s86 dst_sel:DWORD dst_unused:UNUSED_PAD src0_sel:BYTE_3 src1_sel:DWORD
; %bb.7474:                             ;   in Loop: Header=BB6_4406 Depth=4
	s_or_b64 exec, exec, s[28:29]
	v_cmp_lt_u32_e32 vcc, s57, v50
	v_mov_b32_e32 v4, 0
	v_mov_b32_e32 v5, 0
	s_and_saveexec_b64 s[28:29], vcc
	s_cbranch_execz .LBB6_7480
; %bb.7475:                             ;   in Loop: Header=BB6_4406 Depth=4
	v_lshrrev_b32_e32 v8, 24, v50
	v_cmp_ne_u32_sdwa vcc, v50, s96 src0_sel:BYTE_3 src1_sel:DWORD
	v_bfrev_b32_e32 v5, 1
	s_and_saveexec_b64 s[30:31], vcc
	s_cbranch_execz .LBB6_7479
; %bb.7476:                             ;   in Loop: Header=BB6_4406 Depth=4
	v_bfe_u32 v9, v50, 24, 7
	v_cmp_ne_u32_e32 vcc, s86, v9
	v_mov_b32_e32 v5, 0x7f800001
	s_and_saveexec_b64 s[34:35], vcc
	s_cbranch_execz .LBB6_7478
; %bb.7477:                             ;   in Loop: Header=BB6_4406 Depth=4
	v_and_b32_e32 v5, 7, v8
	v_lshrrev_b32_e32 v20, 3, v9
	v_cmp_gt_u32_e32 vcc, 8, v9
	v_ffbh_u32_e32 v9, v5
	v_min_u32_e32 v21, 32, v9
	v_subrev_u32_e32 v9, 28, v21
	v_lshlrev_b64 v[8:9], v9, v[8:9]
	v_sub_u32_e32 v9, 29, v21
	v_and_b32_e32 v8, 7, v8
	v_cndmask_b32_e32 v5, v5, v8, vcc
	v_mov_b32_e32 v8, 24
	v_cndmask_b32_e32 v9, v20, v9, vcc
	v_lshlrev_b32_sdwa v8, v8, v50 dst_sel:DWORD dst_unused:UNUSED_PAD src0_sel:DWORD src1_sel:BYTE_3
	v_bfrev_b32_e32 v20, 60
	v_lshlrev_b32_e32 v5, 20, v5
	v_and_b32_e32 v8, 0x80000000, v8
	v_lshl_add_u32 v9, v9, 23, v20
	v_or3_b32 v5, v8, v9, v5
.LBB6_7478:                             ;   in Loop: Header=BB6_4406 Depth=4
	s_or_b64 exec, exec, s[34:35]
.LBB6_7479:                             ;   in Loop: Header=BB6_4406 Depth=4
	s_or_b64 exec, exec, s[30:31]
.LBB6_7480:                             ;   in Loop: Header=BB6_4406 Depth=4
	s_or_b64 exec, exec, s[28:29]
	v_cmp_lt_u32_e32 vcc, s57, v10
	s_and_saveexec_b64 s[28:29], vcc
	s_cbranch_execz .LBB6_7486
; %bb.7481:                             ;   in Loop: Header=BB6_4406 Depth=4
	v_lshrrev_b32_e32 v8, 24, v10
	v_cmp_ne_u32_e32 vcc, s96, v8
	v_bfrev_b32_e32 v4, 1
	s_and_saveexec_b64 s[30:31], vcc
	s_cbranch_execz .LBB6_7485
; %bb.7482:                             ;   in Loop: Header=BB6_4406 Depth=4
	v_bfe_u32 v9, v10, 24, 7
	v_cmp_ne_u32_e32 vcc, s86, v9
	v_mov_b32_e32 v4, 0x7f800001
	s_and_saveexec_b64 s[34:35], vcc
	s_cbranch_execz .LBB6_7484
; %bb.7483:                             ;   in Loop: Header=BB6_4406 Depth=4
	v_and_b32_e32 v4, 7, v8
	v_lshrrev_b32_e32 v20, 3, v9
	v_cmp_gt_u32_e32 vcc, 8, v9
	v_ffbh_u32_e32 v9, v4
	v_min_u32_e32 v9, 32, v9
	v_subrev_u32_e32 v21, 28, v9
	v_lshlrev_b64 v[22:23], v21, v[8:9]
	v_sub_u32_e32 v9, 29, v9
	v_and_b32_e32 v21, 7, v22
	v_cndmask_b32_e32 v9, v20, v9, vcc
	v_cndmask_b32_e32 v4, v4, v21, vcc
	v_lshlrev_b32_e32 v8, 24, v8
	v_bfrev_b32_e32 v20, 60
	v_lshlrev_b32_e32 v4, 20, v4
	v_and_b32_e32 v8, 0x80000000, v8
	v_lshl_add_u32 v9, v9, 23, v20
	v_or3_b32 v4, v8, v9, v4
.LBB6_7484:                             ;   in Loop: Header=BB6_4406 Depth=4
	s_or_b64 exec, exec, s[34:35]
.LBB6_7485:                             ;   in Loop: Header=BB6_4406 Depth=4
	s_or_b64 exec, exec, s[30:31]
.LBB6_7486:                             ;   in Loop: Header=BB6_4406 Depth=4
	s_or_b64 exec, exec, s[28:29]
	v_add_f32_e32 v4, v5, v4
	v_and_b32_e32 v50, 0x7f800000, v4
	v_cmp_ne_u64_e32 vcc, s[76:77], v[50:51]
                                        ; implicit-def: $vgpr39
	s_and_saveexec_b64 s[28:29], vcc
	s_xor_b64 s[30:31], exec, s[28:29]
	s_cbranch_execz .LBB6_7500
; %bb.7487:                             ;   in Loop: Header=BB6_4406 Depth=4
	v_and_b32_e32 v50, 0x7fffffff, v4
	v_cmp_gt_u64_e32 vcc, s[78:79], v[50:51]
	v_and_b32_sdwa v22, v4, s96 dst_sel:DWORD dst_unused:UNUSED_PAD src0_sel:BYTE_3 src1_sel:DWORD
                                        ; implicit-def: $vgpr39
	s_and_saveexec_b64 s[28:29], vcc
	s_xor_b64 s[34:35], exec, s[28:29]
	s_cbranch_execz .LBB6_7497
; %bb.7488:                             ;   in Loop: Header=BB6_4406 Depth=4
	v_mov_b32_e32 v39, 0
	v_cmp_ne_u32_e32 vcc, 0, v4
	s_and_saveexec_b64 s[36:37], vcc
	s_cbranch_execz .LBB6_7496
; %bb.7489:                             ;   in Loop: Header=BB6_4406 Depth=4
	v_bfe_u32 v23, v4, 23, 8
	v_and_b32_e32 v5, 0x7fffff, v4
	v_cmp_gt_u32_e64 s[28:29], s97, v23
	v_sub_u32_e32 v4, 0x79, v23
	v_cmp_eq_u32_e32 vcc, 0, v23
	v_cndmask_b32_e64 v4, 0, v4, s[28:29]
	v_mov_b32_e32 v9, 0x78
	v_cndmask_b32_e32 v39, v4, v9, vcc
	v_or_b32_e32 v8, 0x800000, v5
	v_add_u32_e32 v4, 20, v39
	v_cndmask_b32_e32 v50, v8, v5, vcc
	v_lshlrev_b64 v[4:5], v4, -1
	v_add_u32_e32 v8, 19, v39
	v_lshlrev_b64 v[8:9], v8, 1
	v_bfi_b32 v5, v5, 0, 0
	v_bfi_b32 v4, v4, 0, v50
	v_cmp_eq_u64_e64 s[28:29], v[4:5], v[8:9]
	v_lshrrev_b64 v[8:9], v39, v[50:51]
	v_mov_b32_e32 v4, v8
	v_mov_b32_e32 v5, v9
	s_and_saveexec_b64 s[38:39], s[28:29]
; %bb.7490:                             ;   in Loop: Header=BB6_4406 Depth=4
	v_bfe_u32 v4, v8, 20, 1
	v_add_co_u32_e64 v4, s[28:29], v8, v4
	v_add_co_u32_e64 v4, s[28:29], -1, v4
; %bb.7491:                             ;   in Loop: Header=BB6_4406 Depth=4
	s_or_b64 exec, exec, s[38:39]
	v_add_u32_e32 v5, 0xffffff81, v23
	v_mov_b32_e32 v9, 0xffffff82
	v_cndmask_b32_e32 v5, v5, v9, vcc
	v_lshrrev_b32_e32 v9, 23, v8
	v_add3_u32 v23, v39, v5, v9
	v_add_u32_e32 v5, 6, v23
	v_and_b32_e32 v4, 0xfffff, v4
	v_add_u32_e32 v50, v4, v8
	v_cmp_ne_u32_e32 vcc, 0, v5
                                        ; implicit-def: $vgpr8_vgpr9
                                        ; implicit-def: $vgpr4
	s_and_saveexec_b64 s[28:29], vcc
	s_xor_b64 s[28:29], exec, s[28:29]
; %bb.7492:                             ;   in Loop: Header=BB6_4406 Depth=4
	v_cmp_lt_u64_e32 vcc, s[88:89], v[50:51]
	v_add_u32_e32 v4, 7, v23
	v_cndmask_b32_e32 v4, v5, v4, vcc
	v_cndmask_b32_e64 v5, 0, 1, vcc
	v_lshrrev_b64 v[8:9], v5, v[50:51]
; %bb.7493:                             ;   in Loop: Header=BB6_4406 Depth=4
	s_andn2_saveexec_b64 s[28:29], s[28:29]
; %bb.7494:                             ;   in Loop: Header=BB6_4406 Depth=4
	v_mov_b32_e32 v8, v50
	v_bfe_u32 v4, v50, 23, 1
	v_mov_b32_e32 v9, v51
; %bb.7495:                             ;   in Loop: Header=BB6_4406 Depth=4
	s_or_b64 exec, exec, s[28:29]
	v_lshrrev_b64 v[8:9], 20, v[8:9]
	v_cmp_gt_i32_e32 vcc, 16, v4
	v_cndmask_b32_e32 v9, 0, v9, vcc
	v_cndmask_b32_e32 v8, 7, v8, vcc
	v_cmp_eq_u32_e32 vcc, 0, v4
	v_min_i32_e32 v4, 15, v4
	v_cmp_eq_u64_e64 s[28:29], 0, v[8:9]
	v_lshlrev_b32_e32 v4, 3, v4
	v_and_b32_e32 v4, 0xf8, v4
	v_and_or_b32 v4, v8, 7, v4
	s_and_b64 s[28:29], vcc, s[28:29]
	v_cndmask_b32_e64 v4, v4, 0, s[28:29]
	v_or_b32_e32 v39, v4, v22
.LBB6_7496:                             ;   in Loop: Header=BB6_4406 Depth=4
	s_or_b64 exec, exec, s[36:37]
                                        ; implicit-def: $vgpr22
.LBB6_7497:                             ;   in Loop: Header=BB6_4406 Depth=4
	s_andn2_saveexec_b64 s[28:29], s[34:35]
; %bb.7498:                             ;   in Loop: Header=BB6_4406 Depth=4
	v_or_b32_e32 v39, 0x7e, v22
; %bb.7499:                             ;   in Loop: Header=BB6_4406 Depth=4
	s_or_b64 exec, exec, s[28:29]
                                        ; implicit-def: $vgpr4
.LBB6_7500:                             ;   in Loop: Header=BB6_4406 Depth=4
	s_andn2_saveexec_b64 s[28:29], s[30:31]
; %bb.7501:                             ;   in Loop: Header=BB6_4406 Depth=4
	v_or_b32_sdwa v39, v4, s86 dst_sel:DWORD dst_unused:UNUSED_PAD src0_sel:BYTE_3 src1_sel:DWORD
; %bb.7502:                             ;   in Loop: Header=BB6_4406 Depth=4
	s_or_b64 exec, exec, s[28:29]
	buffer_load_dword v4, off, s[0:3], s33 offset:132 ; 4-byte Folded Reload
	buffer_load_dword v5, off, s[0:3], s33 offset:116 ; 4-byte Folded Reload
	;; [unrolled: 1-line block ×3, first 2 shown]
	v_cmp_ne_u32_e32 vcc, 0, v6
	s_waitcnt vmcnt(2)
	v_lshlrev_b32_e32 v4, 24, v4
	s_waitcnt vmcnt(1)
	v_lshlrev_b32_e32 v5, 16, v5
	s_waitcnt vmcnt(0)
	v_lshl_or_b32 v22, v8, 8, v6
	v_or3_b32 v50, v5, v4, v22
	v_mov_b32_e32 v5, 0
	v_mov_b32_e32 v4, 0
	s_and_saveexec_b64 s[28:29], vcc
	s_cbranch_execz .LBB6_7508
; %bb.7503:                             ;   in Loop: Header=BB6_4406 Depth=4
	v_cmp_ne_u32_e32 vcc, s96, v6
	v_bfrev_b32_e32 v4, 1
	s_and_saveexec_b64 s[30:31], vcc
	s_cbranch_execz .LBB6_7507
; %bb.7504:                             ;   in Loop: Header=BB6_4406 Depth=4
	v_and_b32_e32 v8, 0x7f, v6
	v_cmp_ne_u32_e32 vcc, s86, v8
	v_mov_b32_e32 v4, 0x7f800001
	s_and_saveexec_b64 s[34:35], vcc
	s_cbranch_execz .LBB6_7506
; %bb.7505:                             ;   in Loop: Header=BB6_4406 Depth=4
	v_and_b32_e32 v4, 7, v6
	v_ffbh_u32_e32 v4, v4
	v_min_u32_e32 v4, 32, v4
	v_lshrrev_b32_e32 v6, 3, v8
	v_cmp_gt_u32_e32 vcc, 8, v8
	v_subrev_u32_e32 v8, 28, v4
	v_sub_u32_e32 v4, 29, v4
	v_cndmask_b32_e32 v4, v6, v4, vcc
	v_cndmask_b32_e32 v6, 0, v8, vcc
	v_lshlrev_b64 v[8:9], v6, v[50:51]
	v_bfrev_b32_e32 v9, 60
	v_lshlrev_b32_e32 v6, 20, v8
	v_lshlrev_b32_e32 v8, 24, v50
	v_and_b32_e32 v6, 0x700000, v6
	v_and_b32_e32 v8, 0x80000000, v8
	v_lshl_add_u32 v4, v4, 23, v9
	v_or3_b32 v4, v8, v4, v6
.LBB6_7506:                             ;   in Loop: Header=BB6_4406 Depth=4
	s_or_b64 exec, exec, s[34:35]
.LBB6_7507:                             ;   in Loop: Header=BB6_4406 Depth=4
	s_or_b64 exec, exec, s[30:31]
.LBB6_7508:                             ;   in Loop: Header=BB6_4406 Depth=4
	s_or_b64 exec, exec, s[28:29]
	v_cmp_ne_u16_sdwa vcc, v11, v51 src0_sel:BYTE_0 src1_sel:DWORD
	s_and_saveexec_b64 s[28:29], vcc
	s_cbranch_execz .LBB6_7514
; %bb.7509:                             ;   in Loop: Header=BB6_4406 Depth=4
	v_cmp_ne_u16_sdwa vcc, v11, s96 src0_sel:BYTE_0 src1_sel:DWORD
	v_bfrev_b32_e32 v5, 1
	s_and_saveexec_b64 s[30:31], vcc
	s_cbranch_execz .LBB6_7513
; %bb.7510:                             ;   in Loop: Header=BB6_4406 Depth=4
	v_and_b32_e32 v6, 0x7f, v11
	v_cmp_ne_u32_e32 vcc, s86, v6
	v_mov_b32_e32 v5, 0x7f800001
	s_and_saveexec_b64 s[34:35], vcc
	s_cbranch_execz .LBB6_7512
; %bb.7511:                             ;   in Loop: Header=BB6_4406 Depth=4
	v_and_b32_e32 v5, 7, v11
	v_ffbh_u32_e32 v5, v5
	v_min_u32_e32 v5, 32, v5
	v_lshrrev_b32_e32 v20, 3, v6
	v_cmp_gt_u32_e32 vcc, 8, v6
	v_subrev_u32_e32 v6, 28, v5
	v_sub_u32_e32 v5, 29, v5
	v_mov_b32_e32 v8, v11
	v_mov_b32_e32 v9, v51
	v_cndmask_b32_e32 v20, v20, v5, vcc
	v_cndmask_b32_e32 v5, 0, v6, vcc
	v_lshlrev_b64 v[5:6], v5, v[8:9]
	v_lshlrev_b32_e32 v6, 24, v8
	v_lshlrev_b32_e32 v5, 20, v5
	v_bfrev_b32_e32 v8, 60
	v_and_b32_e32 v5, 0x700000, v5
	v_and_b32_e32 v6, 0x80000000, v6
	v_lshl_add_u32 v8, v20, 23, v8
	v_or3_b32 v5, v6, v8, v5
.LBB6_7512:                             ;   in Loop: Header=BB6_4406 Depth=4
	s_or_b64 exec, exec, s[34:35]
.LBB6_7513:                             ;   in Loop: Header=BB6_4406 Depth=4
	s_or_b64 exec, exec, s[30:31]
.LBB6_7514:                             ;   in Loop: Header=BB6_4406 Depth=4
	s_or_b64 exec, exec, s[28:29]
	v_add_f32_e32 v4, v4, v5
	v_and_b32_e32 v5, 0x7f800000, v4
	v_mov_b32_e32 v6, v51
	v_cmp_ne_u64_e32 vcc, s[76:77], v[5:6]
                                        ; implicit-def: $vgpr6
	s_and_saveexec_b64 s[28:29], vcc
	s_xor_b64 s[30:31], exec, s[28:29]
	s_cbranch_execz .LBB6_7528
; %bb.7515:                             ;   in Loop: Header=BB6_4406 Depth=4
	v_and_b32_e32 v5, 0x7fffffff, v4
	v_mov_b32_e32 v6, v51
	v_cmp_gt_u64_e32 vcc, s[78:79], v[5:6]
	v_and_b32_sdwa v52, v4, s96 dst_sel:DWORD dst_unused:UNUSED_PAD src0_sel:BYTE_3 src1_sel:DWORD
                                        ; implicit-def: $vgpr6
	s_and_saveexec_b64 s[28:29], vcc
	s_xor_b64 s[34:35], exec, s[28:29]
	s_cbranch_execz .LBB6_7525
; %bb.7516:                             ;   in Loop: Header=BB6_4406 Depth=4
	v_mov_b32_e32 v6, 0
	v_cmp_ne_u32_e32 vcc, 0, v4
	s_and_saveexec_b64 s[36:37], vcc
	s_cbranch_execz .LBB6_7524
; %bb.7517:                             ;   in Loop: Header=BB6_4406 Depth=4
	v_bfe_u32 v6, v4, 23, 8
	v_and_b32_e32 v5, 0x7fffff, v4
	v_cmp_gt_u32_e64 s[28:29], s97, v6
	v_sub_u32_e32 v4, 0x79, v6
	v_cmp_eq_u32_e32 vcc, 0, v6
	v_cndmask_b32_e64 v4, 0, v4, s[28:29]
	v_mov_b32_e32 v9, 0x78
	v_or_b32_e32 v8, 0x800000, v5
	v_cndmask_b32_e32 v23, v4, v9, vcc
	v_cndmask_b32_e32 v4, v8, v5, vcc
	v_add_u32_e32 v8, 20, v23
	v_lshlrev_b64 v[8:9], v8, -1
	v_add_u32_e32 v20, 19, v23
	v_mov_b32_e32 v21, v31
	v_lshlrev_b64 v[31:32], v20, 1
	v_mov_b32_e32 v5, v51
	v_bfi_b32 v9, v9, 0, 0
	v_bfi_b32 v8, v8, 0, v4
	v_cmp_eq_u64_e64 s[28:29], v[8:9], v[31:32]
	v_lshrrev_b64 v[8:9], v23, v[4:5]
	v_mov_b32_e32 v4, v8
	v_mov_b32_e32 v5, v9
	s_and_saveexec_b64 s[38:39], s[28:29]
; %bb.7518:                             ;   in Loop: Header=BB6_4406 Depth=4
	v_bfe_u32 v4, v8, 20, 1
	v_add_co_u32_e64 v4, s[28:29], v8, v4
	v_add_co_u32_e64 v4, s[28:29], -1, v4
; %bb.7519:                             ;   in Loop: Header=BB6_4406 Depth=4
	s_or_b64 exec, exec, s[38:39]
	v_add_u32_e32 v5, 0xffffff81, v6
	v_mov_b32_e32 v6, 0xffffff82
	v_cndmask_b32_e32 v5, v5, v6, vcc
	v_lshrrev_b32_e32 v6, 23, v8
	v_add3_u32 v6, v23, v5, v6
	v_add_u32_e32 v5, 6, v6
	v_and_b32_e32 v4, 0xfffff, v4
	v_add_u32_e32 v8, v4, v8
	v_mov_b32_e32 v9, v51
	v_cmp_ne_u32_e32 vcc, 0, v5
                                        ; implicit-def: $vgpr4
	s_and_saveexec_b64 s[28:29], vcc
	s_xor_b64 s[28:29], exec, s[28:29]
; %bb.7520:                             ;   in Loop: Header=BB6_4406 Depth=4
	v_cmp_lt_u64_e32 vcc, s[88:89], v[8:9]
	v_add_u32_e32 v4, 7, v6
	v_cndmask_b32_e32 v4, v5, v4, vcc
	v_cndmask_b32_e64 v5, 0, 1, vcc
	v_lshrrev_b64 v[8:9], v5, v[8:9]
; %bb.7521:                             ;   in Loop: Header=BB6_4406 Depth=4
	s_or_saveexec_b64 s[28:29], s[28:29]
	v_mov_b32_e32 v31, v21
	s_xor_b64 exec, exec, s[28:29]
; %bb.7522:                             ;   in Loop: Header=BB6_4406 Depth=4
	v_bfe_u32 v4, v8, 23, 1
; %bb.7523:                             ;   in Loop: Header=BB6_4406 Depth=4
	s_or_b64 exec, exec, s[28:29]
	v_lshrrev_b64 v[5:6], 20, v[8:9]
	v_cmp_gt_i32_e32 vcc, 16, v4
	v_cndmask_b32_e32 v6, 0, v6, vcc
	v_cndmask_b32_e32 v5, 7, v5, vcc
	v_cmp_eq_u32_e32 vcc, 0, v4
	v_min_i32_e32 v4, 15, v4
	v_cmp_eq_u64_e64 s[28:29], 0, v[5:6]
	v_lshlrev_b32_e32 v4, 3, v4
	v_and_b32_e32 v4, 0xf8, v4
	v_and_or_b32 v4, v5, 7, v4
	s_and_b64 s[28:29], vcc, s[28:29]
	v_cndmask_b32_e64 v4, v4, 0, s[28:29]
	v_or_b32_e32 v6, v4, v52
.LBB6_7524:                             ;   in Loop: Header=BB6_4406 Depth=4
	s_or_b64 exec, exec, s[36:37]
                                        ; implicit-def: $vgpr52
.LBB6_7525:                             ;   in Loop: Header=BB6_4406 Depth=4
	s_andn2_saveexec_b64 s[28:29], s[34:35]
; %bb.7526:                             ;   in Loop: Header=BB6_4406 Depth=4
	v_or_b32_e32 v6, 0x7e, v52
; %bb.7527:                             ;   in Loop: Header=BB6_4406 Depth=4
	s_or_b64 exec, exec, s[28:29]
                                        ; implicit-def: $vgpr4
.LBB6_7528:                             ;   in Loop: Header=BB6_4406 Depth=4
	s_andn2_saveexec_b64 s[28:29], s[30:31]
; %bb.7529:                             ;   in Loop: Header=BB6_4406 Depth=4
	v_or_b32_sdwa v6, v4, s86 dst_sel:DWORD dst_unused:UNUSED_PAD src0_sel:BYTE_3 src1_sel:DWORD
; %bb.7530:                             ;   in Loop: Header=BB6_4406 Depth=4
	s_or_b64 exec, exec, s[28:29]
	v_lshrrev_b16_e32 v8, 8, v22
	v_cmp_ne_u16_e32 vcc, 0, v8
	v_mov_b32_e32 v4, 0
	v_mov_b32_e32 v5, 0
	s_and_saveexec_b64 s[28:29], vcc
	s_cbranch_execz .LBB6_7536
; %bb.7531:                             ;   in Loop: Header=BB6_4406 Depth=4
	v_cmp_ne_u16_e32 vcc, s96, v8
	v_bfrev_b32_e32 v5, 1
	s_and_saveexec_b64 s[30:31], vcc
	s_cbranch_execz .LBB6_7535
; %bb.7532:                             ;   in Loop: Header=BB6_4406 Depth=4
	v_and_b32_e32 v9, 0x7f, v8
	v_cmp_ne_u32_e32 vcc, s86, v9
	v_mov_b32_e32 v5, 0x7f800001
	s_and_saveexec_b64 s[34:35], vcc
	s_cbranch_execz .LBB6_7534
; %bb.7533:                             ;   in Loop: Header=BB6_4406 Depth=4
	v_and_b32_e32 v5, 7, v8
	v_lshrrev_b32_e32 v20, 3, v9
	v_cmp_gt_u32_e32 vcc, 8, v9
	v_ffbh_u32_e32 v9, v5
	v_min_u32_e32 v21, 32, v9
	v_subrev_u32_e32 v9, 28, v21
	v_lshlrev_b64 v[8:9], v9, v[8:9]
	v_sub_u32_e32 v9, 29, v21
	v_and_b32_e32 v8, 7, v8
	v_cndmask_b32_e32 v9, v20, v9, vcc
	v_cndmask_b32_e32 v5, v5, v8, vcc
	v_lshlrev_b32_e32 v8, 16, v22
	v_bfrev_b32_e32 v20, 60
	v_lshlrev_b32_e32 v5, 20, v5
	v_and_b32_e32 v8, 0x80000000, v8
	v_lshl_add_u32 v9, v9, 23, v20
	v_or3_b32 v5, v8, v9, v5
.LBB6_7534:                             ;   in Loop: Header=BB6_4406 Depth=4
	s_or_b64 exec, exec, s[34:35]
.LBB6_7535:                             ;   in Loop: Header=BB6_4406 Depth=4
	s_or_b64 exec, exec, s[30:31]
.LBB6_7536:                             ;   in Loop: Header=BB6_4406 Depth=4
	s_or_b64 exec, exec, s[28:29]
	v_lshrrev_b16_e32 v8, 8, v11
	v_cmp_ne_u16_e32 vcc, 0, v8
	s_and_saveexec_b64 s[28:29], vcc
	s_cbranch_execz .LBB6_7542
; %bb.7537:                             ;   in Loop: Header=BB6_4406 Depth=4
	v_cmp_ne_u16_e32 vcc, s96, v8
	v_bfrev_b32_e32 v4, 1
	s_and_saveexec_b64 s[30:31], vcc
	s_cbranch_execz .LBB6_7541
; %bb.7538:                             ;   in Loop: Header=BB6_4406 Depth=4
	v_and_b32_e32 v9, 0x7f, v8
	v_cmp_ne_u32_e32 vcc, s86, v9
	v_mov_b32_e32 v4, 0x7f800001
	s_and_saveexec_b64 s[34:35], vcc
	s_cbranch_execz .LBB6_7540
; %bb.7539:                             ;   in Loop: Header=BB6_4406 Depth=4
	v_and_b32_e32 v4, 7, v8
	v_lshrrev_b32_e32 v20, 3, v9
	v_cmp_gt_u32_e32 vcc, 8, v9
	v_ffbh_u32_e32 v9, v4
	v_min_u32_e32 v21, 32, v9
	v_subrev_u32_e32 v9, 28, v21
	v_lshlrev_b64 v[8:9], v9, v[8:9]
	v_sub_u32_e32 v9, 29, v21
	v_and_b32_e32 v8, 7, v8
	v_cndmask_b32_e32 v9, v20, v9, vcc
	v_cndmask_b32_e32 v4, v4, v8, vcc
	v_lshlrev_b32_e32 v8, 16, v11
	v_bfrev_b32_e32 v20, 60
	v_lshlrev_b32_e32 v4, 20, v4
	v_and_b32_e32 v8, 0x80000000, v8
	v_lshl_add_u32 v9, v9, 23, v20
	v_or3_b32 v4, v8, v9, v4
.LBB6_7540:                             ;   in Loop: Header=BB6_4406 Depth=4
	s_or_b64 exec, exec, s[34:35]
.LBB6_7541:                             ;   in Loop: Header=BB6_4406 Depth=4
	s_or_b64 exec, exec, s[30:31]
.LBB6_7542:                             ;   in Loop: Header=BB6_4406 Depth=4
	s_or_b64 exec, exec, s[28:29]
	v_add_f32_e32 v4, v5, v4
	v_and_b32_e32 v8, 0x7f800000, v4
	v_mov_b32_e32 v9, v51
	v_cmp_ne_u64_e32 vcc, s[76:77], v[8:9]
                                        ; implicit-def: $vgpr52
	s_and_saveexec_b64 s[28:29], vcc
	s_xor_b64 s[30:31], exec, s[28:29]
	s_cbranch_execz .LBB6_7556
; %bb.7543:                             ;   in Loop: Header=BB6_4406 Depth=4
	v_and_b32_e32 v8, 0x7fffffff, v4
	v_mov_b32_e32 v9, v51
	v_cmp_gt_u64_e32 vcc, s[78:79], v[8:9]
	v_and_b32_sdwa v22, v4, s96 dst_sel:DWORD dst_unused:UNUSED_PAD src0_sel:BYTE_3 src1_sel:DWORD
                                        ; implicit-def: $vgpr52
	s_and_saveexec_b64 s[28:29], vcc
	s_xor_b64 s[34:35], exec, s[28:29]
	s_cbranch_execz .LBB6_7553
; %bb.7544:                             ;   in Loop: Header=BB6_4406 Depth=4
	v_mov_b32_e32 v52, 0
	v_cmp_ne_u32_e32 vcc, 0, v4
	s_and_saveexec_b64 s[36:37], vcc
	s_cbranch_execz .LBB6_7552
; %bb.7545:                             ;   in Loop: Header=BB6_4406 Depth=4
	v_bfe_u32 v23, v4, 23, 8
	v_and_b32_e32 v5, 0x7fffff, v4
	v_cmp_gt_u32_e64 s[28:29], s97, v23
	v_sub_u32_e32 v4, 0x79, v23
	v_cmp_eq_u32_e32 vcc, 0, v23
	v_cndmask_b32_e64 v4, 0, v4, s[28:29]
	v_mov_b32_e32 v9, 0x78
	v_or_b32_e32 v8, 0x800000, v5
	v_cndmask_b32_e32 v52, v4, v9, vcc
	v_cndmask_b32_e32 v4, v8, v5, vcc
	v_add_u32_e32 v8, 20, v52
	v_lshlrev_b64 v[8:9], v8, -1
	v_add_u32_e32 v20, 19, v52
	v_mov_b32_e32 v21, v31
	v_lshlrev_b64 v[31:32], v20, 1
	v_mov_b32_e32 v5, v51
	v_bfi_b32 v9, v9, 0, 0
	v_bfi_b32 v8, v8, 0, v4
	v_cmp_eq_u64_e64 s[28:29], v[8:9], v[31:32]
	v_lshrrev_b64 v[8:9], v52, v[4:5]
	v_mov_b32_e32 v4, v8
	v_mov_b32_e32 v5, v9
	s_and_saveexec_b64 s[38:39], s[28:29]
; %bb.7546:                             ;   in Loop: Header=BB6_4406 Depth=4
	v_bfe_u32 v4, v8, 20, 1
	v_add_co_u32_e64 v4, s[28:29], v8, v4
	v_add_co_u32_e64 v4, s[28:29], -1, v4
; %bb.7547:                             ;   in Loop: Header=BB6_4406 Depth=4
	s_or_b64 exec, exec, s[38:39]
	v_add_u32_e32 v5, 0xffffff81, v23
	v_mov_b32_e32 v9, 0xffffff82
	v_cndmask_b32_e32 v5, v5, v9, vcc
	v_lshrrev_b32_e32 v9, 23, v8
	v_add3_u32 v23, v52, v5, v9
	v_add_u32_e32 v5, 6, v23
	v_and_b32_e32 v4, 0xfffff, v4
	v_add_u32_e32 v8, v4, v8
	v_mov_b32_e32 v9, v51
	v_cmp_ne_u32_e32 vcc, 0, v5
                                        ; implicit-def: $vgpr4
	s_and_saveexec_b64 s[28:29], vcc
	s_xor_b64 s[28:29], exec, s[28:29]
; %bb.7548:                             ;   in Loop: Header=BB6_4406 Depth=4
	v_cmp_lt_u64_e32 vcc, s[88:89], v[8:9]
	v_add_u32_e32 v4, 7, v23
	v_cndmask_b32_e32 v4, v5, v4, vcc
	v_cndmask_b32_e64 v5, 0, 1, vcc
	v_lshrrev_b64 v[8:9], v5, v[8:9]
; %bb.7549:                             ;   in Loop: Header=BB6_4406 Depth=4
	s_or_saveexec_b64 s[28:29], s[28:29]
	v_mov_b32_e32 v31, v21
	s_xor_b64 exec, exec, s[28:29]
; %bb.7550:                             ;   in Loop: Header=BB6_4406 Depth=4
	v_bfe_u32 v4, v8, 23, 1
; %bb.7551:                             ;   in Loop: Header=BB6_4406 Depth=4
	s_or_b64 exec, exec, s[28:29]
	v_lshrrev_b64 v[8:9], 20, v[8:9]
	v_cmp_gt_i32_e32 vcc, 16, v4
	v_cndmask_b32_e32 v9, 0, v9, vcc
	v_cndmask_b32_e32 v8, 7, v8, vcc
	v_cmp_eq_u32_e32 vcc, 0, v4
	v_min_i32_e32 v4, 15, v4
	v_cmp_eq_u64_e64 s[28:29], 0, v[8:9]
	v_lshlrev_b32_e32 v4, 3, v4
	v_and_b32_e32 v4, 0xf8, v4
	v_and_or_b32 v4, v8, 7, v4
	s_and_b64 s[28:29], vcc, s[28:29]
	v_cndmask_b32_e64 v4, v4, 0, s[28:29]
	v_or_b32_e32 v52, v4, v22
.LBB6_7552:                             ;   in Loop: Header=BB6_4406 Depth=4
	s_or_b64 exec, exec, s[36:37]
                                        ; implicit-def: $vgpr22
.LBB6_7553:                             ;   in Loop: Header=BB6_4406 Depth=4
	s_andn2_saveexec_b64 s[28:29], s[34:35]
; %bb.7554:                             ;   in Loop: Header=BB6_4406 Depth=4
	v_or_b32_e32 v52, 0x7e, v22
; %bb.7555:                             ;   in Loop: Header=BB6_4406 Depth=4
	s_or_b64 exec, exec, s[28:29]
                                        ; implicit-def: $vgpr4
.LBB6_7556:                             ;   in Loop: Header=BB6_4406 Depth=4
	s_andn2_saveexec_b64 s[28:29], s[30:31]
; %bb.7557:                             ;   in Loop: Header=BB6_4406 Depth=4
	v_or_b32_sdwa v52, v4, s86 dst_sel:DWORD dst_unused:UNUSED_PAD src0_sel:BYTE_3 src1_sel:DWORD
; %bb.7558:                             ;   in Loop: Header=BB6_4406 Depth=4
	s_or_b64 exec, exec, s[28:29]
	v_lshrrev_b32_e32 v8, 16, v50
	v_cmp_ne_u16_sdwa vcc, v8, v51 src0_sel:BYTE_0 src1_sel:DWORD
	v_mov_b32_e32 v4, 0
	v_mov_b32_e32 v5, 0
	s_and_saveexec_b64 s[28:29], vcc
	s_cbranch_execz .LBB6_7564
; %bb.7559:                             ;   in Loop: Header=BB6_4406 Depth=4
	v_cmp_ne_u16_sdwa vcc, v8, s96 src0_sel:BYTE_0 src1_sel:DWORD
	v_bfrev_b32_e32 v5, 1
	s_and_saveexec_b64 s[30:31], vcc
	s_cbranch_execz .LBB6_7563
; %bb.7560:                             ;   in Loop: Header=BB6_4406 Depth=4
	v_bfe_u32 v9, v50, 16, 7
	v_cmp_ne_u32_e32 vcc, s86, v9
	v_mov_b32_e32 v5, 0x7f800001
	s_and_saveexec_b64 s[34:35], vcc
	s_cbranch_execz .LBB6_7562
; %bb.7561:                             ;   in Loop: Header=BB6_4406 Depth=4
	v_and_b32_e32 v5, 7, v8
	v_lshrrev_b32_e32 v20, 3, v9
	v_cmp_gt_u32_e32 vcc, 8, v9
	v_ffbh_u32_e32 v9, v5
	v_min_u32_e32 v9, 32, v9
	v_subrev_u32_e32 v21, 28, v9
	v_lshlrev_b64 v[22:23], v21, v[8:9]
	v_sub_u32_e32 v9, 29, v9
	v_and_b32_e32 v21, 7, v22
	v_cndmask_b32_e32 v9, v20, v9, vcc
	v_cndmask_b32_e32 v5, v5, v21, vcc
	v_lshlrev_b32_e32 v8, 24, v8
	v_bfrev_b32_e32 v20, 60
	v_lshlrev_b32_e32 v5, 20, v5
	v_and_b32_e32 v8, 0x80000000, v8
	v_lshl_add_u32 v9, v9, 23, v20
	v_or3_b32 v5, v8, v9, v5
.LBB6_7562:                             ;   in Loop: Header=BB6_4406 Depth=4
	s_or_b64 exec, exec, s[34:35]
.LBB6_7563:                             ;   in Loop: Header=BB6_4406 Depth=4
	s_or_b64 exec, exec, s[30:31]
.LBB6_7564:                             ;   in Loop: Header=BB6_4406 Depth=4
	s_or_b64 exec, exec, s[28:29]
	v_lshrrev_b32_e32 v8, 16, v11
	v_cmp_ne_u16_sdwa vcc, v8, v51 src0_sel:BYTE_0 src1_sel:DWORD
	s_and_saveexec_b64 s[28:29], vcc
	s_cbranch_execz .LBB6_7570
; %bb.7565:                             ;   in Loop: Header=BB6_4406 Depth=4
	v_cmp_ne_u16_sdwa vcc, v8, s96 src0_sel:BYTE_0 src1_sel:DWORD
	v_bfrev_b32_e32 v4, 1
	s_and_saveexec_b64 s[30:31], vcc
	s_cbranch_execz .LBB6_7569
; %bb.7566:                             ;   in Loop: Header=BB6_4406 Depth=4
	v_bfe_u32 v9, v11, 16, 7
	v_cmp_ne_u32_e32 vcc, s86, v9
	v_mov_b32_e32 v4, 0x7f800001
	s_and_saveexec_b64 s[34:35], vcc
	s_cbranch_execz .LBB6_7568
; %bb.7567:                             ;   in Loop: Header=BB6_4406 Depth=4
	v_and_b32_e32 v4, 7, v8
	v_lshrrev_b32_e32 v20, 3, v9
	v_cmp_gt_u32_e32 vcc, 8, v9
	v_ffbh_u32_e32 v9, v4
	v_min_u32_e32 v21, 32, v9
	v_subrev_u32_e32 v9, 28, v21
	v_lshlrev_b64 v[8:9], v9, v[8:9]
	v_sub_u32_e32 v9, 29, v21
	v_and_b32_e32 v8, 7, v8
	v_cndmask_b32_e32 v9, v20, v9, vcc
	v_cndmask_b32_e32 v4, v4, v8, vcc
	v_lshlrev_b32_e32 v8, 8, v11
	v_bfrev_b32_e32 v20, 60
	v_lshlrev_b32_e32 v4, 20, v4
	v_and_b32_e32 v8, 0x80000000, v8
	v_lshl_add_u32 v9, v9, 23, v20
	v_or3_b32 v4, v8, v9, v4
.LBB6_7568:                             ;   in Loop: Header=BB6_4406 Depth=4
	s_or_b64 exec, exec, s[34:35]
.LBB6_7569:                             ;   in Loop: Header=BB6_4406 Depth=4
	s_or_b64 exec, exec, s[30:31]
.LBB6_7570:                             ;   in Loop: Header=BB6_4406 Depth=4
	s_or_b64 exec, exec, s[28:29]
	v_add_f32_e32 v4, v5, v4
	v_and_b32_e32 v8, 0x7f800000, v4
	v_mov_b32_e32 v9, v51
	v_cmp_ne_u64_e32 vcc, s[76:77], v[8:9]
                                        ; implicit-def: $vgpr22
	s_and_saveexec_b64 s[28:29], vcc
	s_xor_b64 s[30:31], exec, s[28:29]
	s_cbranch_execz .LBB6_7584
; %bb.7571:                             ;   in Loop: Header=BB6_4406 Depth=4
	v_and_b32_e32 v8, 0x7fffffff, v4
	v_mov_b32_e32 v9, v51
	v_cmp_gt_u64_e32 vcc, s[78:79], v[8:9]
	v_and_b32_sdwa v23, v4, s96 dst_sel:DWORD dst_unused:UNUSED_PAD src0_sel:BYTE_3 src1_sel:DWORD
                                        ; implicit-def: $vgpr22
	s_and_saveexec_b64 s[28:29], vcc
	s_xor_b64 s[34:35], exec, s[28:29]
	s_cbranch_execz .LBB6_7581
; %bb.7572:                             ;   in Loop: Header=BB6_4406 Depth=4
	v_mov_b32_e32 v22, 0
	v_cmp_ne_u32_e32 vcc, 0, v4
	s_and_saveexec_b64 s[36:37], vcc
	s_cbranch_execz .LBB6_7580
; %bb.7573:                             ;   in Loop: Header=BB6_4406 Depth=4
	v_bfe_u32 v22, v4, 23, 8
	v_and_b32_e32 v5, 0x7fffff, v4
	v_cmp_gt_u32_e64 s[28:29], s97, v22
	v_sub_u32_e32 v4, 0x79, v22
	v_cmp_eq_u32_e32 vcc, 0, v22
	v_cndmask_b32_e64 v4, 0, v4, s[28:29]
	v_mov_b32_e32 v9, 0x78
	v_or_b32_e32 v8, 0x800000, v5
	v_cndmask_b32_e32 v32, v4, v9, vcc
	v_cndmask_b32_e32 v4, v8, v5, vcc
	v_add_u32_e32 v8, 20, v32
	v_lshlrev_b64 v[8:9], v8, -1
	v_add_u32_e32 v20, 19, v32
	v_lshlrev_b64 v[20:21], v20, 1
	v_mov_b32_e32 v5, v51
	v_bfi_b32 v9, v9, 0, 0
	v_bfi_b32 v8, v8, 0, v4
	v_cmp_eq_u64_e64 s[28:29], v[8:9], v[20:21]
	v_lshrrev_b64 v[8:9], v32, v[4:5]
	v_mov_b32_e32 v4, v8
	v_mov_b32_e32 v5, v9
	s_and_saveexec_b64 s[38:39], s[28:29]
; %bb.7574:                             ;   in Loop: Header=BB6_4406 Depth=4
	v_bfe_u32 v4, v8, 20, 1
	v_add_co_u32_e64 v4, s[28:29], v8, v4
	v_add_co_u32_e64 v4, s[28:29], -1, v4
; %bb.7575:                             ;   in Loop: Header=BB6_4406 Depth=4
	s_or_b64 exec, exec, s[38:39]
	v_add_u32_e32 v5, 0xffffff81, v22
	v_mov_b32_e32 v9, 0xffffff82
	v_cndmask_b32_e32 v5, v5, v9, vcc
	v_lshrrev_b32_e32 v9, 23, v8
	v_add3_u32 v22, v32, v5, v9
	v_add_u32_e32 v5, 6, v22
	v_and_b32_e32 v4, 0xfffff, v4
	v_add_u32_e32 v8, v4, v8
	v_mov_b32_e32 v9, v51
	v_cmp_ne_u32_e32 vcc, 0, v5
                                        ; implicit-def: $vgpr4
	s_and_saveexec_b64 s[28:29], vcc
	s_xor_b64 s[28:29], exec, s[28:29]
; %bb.7576:                             ;   in Loop: Header=BB6_4406 Depth=4
	v_cmp_lt_u64_e32 vcc, s[88:89], v[8:9]
	v_add_u32_e32 v4, 7, v22
	v_cndmask_b32_e32 v4, v5, v4, vcc
	v_cndmask_b32_e64 v5, 0, 1, vcc
	v_lshrrev_b64 v[8:9], v5, v[8:9]
; %bb.7577:                             ;   in Loop: Header=BB6_4406 Depth=4
	s_andn2_saveexec_b64 s[28:29], s[28:29]
; %bb.7578:                             ;   in Loop: Header=BB6_4406 Depth=4
	v_bfe_u32 v4, v8, 23, 1
; %bb.7579:                             ;   in Loop: Header=BB6_4406 Depth=4
	s_or_b64 exec, exec, s[28:29]
	v_lshrrev_b64 v[8:9], 20, v[8:9]
	v_cmp_gt_i32_e32 vcc, 16, v4
	v_cndmask_b32_e32 v9, 0, v9, vcc
	v_cndmask_b32_e32 v8, 7, v8, vcc
	v_cmp_eq_u32_e32 vcc, 0, v4
	v_min_i32_e32 v4, 15, v4
	v_cmp_eq_u64_e64 s[28:29], 0, v[8:9]
	v_lshlrev_b32_e32 v4, 3, v4
	v_and_b32_e32 v4, 0xf8, v4
	v_and_or_b32 v4, v8, 7, v4
	s_and_b64 s[28:29], vcc, s[28:29]
	v_cndmask_b32_e64 v4, v4, 0, s[28:29]
	v_or_b32_e32 v22, v4, v23
.LBB6_7580:                             ;   in Loop: Header=BB6_4406 Depth=4
	s_or_b64 exec, exec, s[36:37]
                                        ; implicit-def: $vgpr23
.LBB6_7581:                             ;   in Loop: Header=BB6_4406 Depth=4
	s_andn2_saveexec_b64 s[28:29], s[34:35]
; %bb.7582:                             ;   in Loop: Header=BB6_4406 Depth=4
	v_or_b32_e32 v22, 0x7e, v23
; %bb.7583:                             ;   in Loop: Header=BB6_4406 Depth=4
	s_or_b64 exec, exec, s[28:29]
                                        ; implicit-def: $vgpr4
.LBB6_7584:                             ;   in Loop: Header=BB6_4406 Depth=4
	s_andn2_saveexec_b64 s[28:29], s[30:31]
; %bb.7585:                             ;   in Loop: Header=BB6_4406 Depth=4
	v_or_b32_sdwa v22, v4, s86 dst_sel:DWORD dst_unused:UNUSED_PAD src0_sel:BYTE_3 src1_sel:DWORD
; %bb.7586:                             ;   in Loop: Header=BB6_4406 Depth=4
	s_or_b64 exec, exec, s[28:29]
	v_cmp_lt_u32_e32 vcc, s57, v50
	v_mov_b32_e32 v4, 0
	v_mov_b32_e32 v5, 0
	s_and_saveexec_b64 s[28:29], vcc
	s_cbranch_execz .LBB6_7592
; %bb.7587:                             ;   in Loop: Header=BB6_4406 Depth=4
	v_lshrrev_b32_e32 v8, 24, v50
	v_cmp_ne_u32_sdwa vcc, v50, s96 src0_sel:BYTE_3 src1_sel:DWORD
	v_bfrev_b32_e32 v5, 1
	s_and_saveexec_b64 s[30:31], vcc
	s_cbranch_execz .LBB6_7591
; %bb.7588:                             ;   in Loop: Header=BB6_4406 Depth=4
	v_bfe_u32 v9, v50, 24, 7
	v_cmp_ne_u32_e32 vcc, s86, v9
	v_mov_b32_e32 v5, 0x7f800001
	s_and_saveexec_b64 s[34:35], vcc
	s_cbranch_execz .LBB6_7590
; %bb.7589:                             ;   in Loop: Header=BB6_4406 Depth=4
	v_and_b32_e32 v5, 7, v8
	v_lshrrev_b32_e32 v20, 3, v9
	v_cmp_gt_u32_e32 vcc, 8, v9
	v_ffbh_u32_e32 v9, v5
	v_min_u32_e32 v21, 32, v9
	v_subrev_u32_e32 v9, 28, v21
	v_lshlrev_b64 v[8:9], v9, v[8:9]
	v_sub_u32_e32 v9, 29, v21
	v_and_b32_e32 v8, 7, v8
	v_cndmask_b32_e32 v5, v5, v8, vcc
	v_mov_b32_e32 v8, 24
	v_cndmask_b32_e32 v9, v20, v9, vcc
	v_lshlrev_b32_sdwa v8, v8, v50 dst_sel:DWORD dst_unused:UNUSED_PAD src0_sel:DWORD src1_sel:BYTE_3
	v_bfrev_b32_e32 v20, 60
	v_lshlrev_b32_e32 v5, 20, v5
	v_and_b32_e32 v8, 0x80000000, v8
	v_lshl_add_u32 v9, v9, 23, v20
	v_or3_b32 v5, v8, v9, v5
.LBB6_7590:                             ;   in Loop: Header=BB6_4406 Depth=4
	s_or_b64 exec, exec, s[34:35]
.LBB6_7591:                             ;   in Loop: Header=BB6_4406 Depth=4
	s_or_b64 exec, exec, s[30:31]
.LBB6_7592:                             ;   in Loop: Header=BB6_4406 Depth=4
	s_or_b64 exec, exec, s[28:29]
	v_cmp_lt_u64_e32 vcc, s[56:57], v[10:11]
	s_and_saveexec_b64 s[28:29], vcc
	s_cbranch_execz .LBB6_7598
; %bb.7593:                             ;   in Loop: Header=BB6_4406 Depth=4
	v_lshrrev_b32_e32 v8, 24, v11
	v_cmp_ne_u32_e32 vcc, s96, v8
	v_bfrev_b32_e32 v4, 1
	s_and_saveexec_b64 s[30:31], vcc
	s_cbranch_execz .LBB6_7597
; %bb.7594:                             ;   in Loop: Header=BB6_4406 Depth=4
	v_bfe_u32 v9, v11, 24, 7
	v_cmp_ne_u32_e32 vcc, s86, v9
	v_mov_b32_e32 v4, 0x7f800001
	s_and_saveexec_b64 s[34:35], vcc
	s_cbranch_execz .LBB6_7596
; %bb.7595:                             ;   in Loop: Header=BB6_4406 Depth=4
	v_and_b32_e32 v4, 7, v8
	v_lshrrev_b32_e32 v11, 3, v9
	v_cmp_gt_u32_e32 vcc, 8, v9
	v_ffbh_u32_e32 v9, v4
	v_min_u32_e32 v20, 32, v9
	v_subrev_u32_e32 v9, 28, v20
	v_lshlrev_b64 v[9:10], v9, v[8:9]
	v_sub_u32_e32 v10, 29, v20
	v_and_b32_e32 v9, 7, v9
	v_cndmask_b32_e32 v10, v11, v10, vcc
	v_cndmask_b32_e32 v4, v4, v9, vcc
	v_lshlrev_b32_e32 v8, 24, v8
	v_bfrev_b32_e32 v9, 60
	v_lshlrev_b32_e32 v4, 20, v4
	v_and_b32_e32 v8, 0x80000000, v8
	v_lshl_add_u32 v9, v10, 23, v9
	v_or3_b32 v4, v8, v9, v4
.LBB6_7596:                             ;   in Loop: Header=BB6_4406 Depth=4
	s_or_b64 exec, exec, s[34:35]
.LBB6_7597:                             ;   in Loop: Header=BB6_4406 Depth=4
	s_or_b64 exec, exec, s[30:31]
.LBB6_7598:                             ;   in Loop: Header=BB6_4406 Depth=4
	s_or_b64 exec, exec, s[28:29]
	v_add_f32_e32 v5, v5, v4
	v_and_b32_e32 v50, 0x7f800000, v5
	v_cmp_ne_u64_e32 vcc, s[76:77], v[50:51]
                                        ; implicit-def: $vgpr4
	s_and_saveexec_b64 s[28:29], vcc
	s_xor_b64 s[30:31], exec, s[28:29]
	s_cbranch_execz .LBB6_7612
; %bb.7599:                             ;   in Loop: Header=BB6_4406 Depth=4
	v_and_b32_e32 v50, 0x7fffffff, v5
	v_cmp_gt_u64_e32 vcc, s[78:79], v[50:51]
	v_and_b32_sdwa v10, v5, s96 dst_sel:DWORD dst_unused:UNUSED_PAD src0_sel:BYTE_3 src1_sel:DWORD
                                        ; implicit-def: $vgpr4
	s_and_saveexec_b64 s[28:29], vcc
	s_xor_b64 s[34:35], exec, s[28:29]
	s_cbranch_execz .LBB6_7609
; %bb.7600:                             ;   in Loop: Header=BB6_4406 Depth=4
	v_mov_b32_e32 v4, 0
	v_cmp_ne_u32_e32 vcc, 0, v5
	s_and_saveexec_b64 s[36:37], vcc
	s_cbranch_execz .LBB6_7608
; %bb.7601:                             ;   in Loop: Header=BB6_4406 Depth=4
	v_bfe_u32 v11, v5, 23, 8
	v_and_b32_e32 v4, 0x7fffff, v5
	v_cmp_gt_u32_e64 s[28:29], s97, v11
	v_sub_u32_e32 v5, 0x79, v11
	v_cmp_eq_u32_e32 vcc, 0, v11
	v_cndmask_b32_e64 v5, 0, v5, s[28:29]
	v_mov_b32_e32 v9, 0x78
	v_or_b32_e32 v8, 0x800000, v4
	v_cndmask_b32_e32 v23, v5, v9, vcc
	v_cndmask_b32_e32 v50, v8, v4, vcc
	v_add_u32_e32 v4, 20, v23
	v_lshlrev_b64 v[4:5], v4, -1
	v_add_u32_e32 v8, 19, v23
	v_lshlrev_b64 v[8:9], v8, 1
	v_bfi_b32 v5, v5, 0, 0
	v_bfi_b32 v4, v4, 0, v50
	v_cmp_eq_u64_e64 s[28:29], v[4:5], v[8:9]
	v_lshrrev_b64 v[8:9], v23, v[50:51]
	v_mov_b32_e32 v4, v8
	v_mov_b32_e32 v5, v9
	s_and_saveexec_b64 s[38:39], s[28:29]
; %bb.7602:                             ;   in Loop: Header=BB6_4406 Depth=4
	v_bfe_u32 v4, v8, 20, 1
	v_add_co_u32_e64 v4, s[28:29], v8, v4
	v_add_co_u32_e64 v4, s[28:29], -1, v4
; %bb.7603:                             ;   in Loop: Header=BB6_4406 Depth=4
	s_or_b64 exec, exec, s[38:39]
	v_add_u32_e32 v5, 0xffffff81, v11
	v_mov_b32_e32 v9, 0xffffff82
	v_cndmask_b32_e32 v5, v5, v9, vcc
	v_lshrrev_b32_e32 v9, 23, v8
	v_add3_u32 v11, v23, v5, v9
	v_add_u32_e32 v5, 6, v11
	v_and_b32_e32 v4, 0xfffff, v4
	v_add_u32_e32 v50, v4, v8
	v_cmp_ne_u32_e32 vcc, 0, v5
                                        ; implicit-def: $vgpr8_vgpr9
                                        ; implicit-def: $vgpr4
	s_and_saveexec_b64 s[28:29], vcc
	s_xor_b64 s[28:29], exec, s[28:29]
; %bb.7604:                             ;   in Loop: Header=BB6_4406 Depth=4
	v_cmp_lt_u64_e32 vcc, s[88:89], v[50:51]
	v_add_u32_e32 v4, 7, v11
	v_cndmask_b32_e32 v4, v5, v4, vcc
	v_cndmask_b32_e64 v5, 0, 1, vcc
	v_lshrrev_b64 v[8:9], v5, v[50:51]
; %bb.7605:                             ;   in Loop: Header=BB6_4406 Depth=4
	s_andn2_saveexec_b64 s[28:29], s[28:29]
; %bb.7606:                             ;   in Loop: Header=BB6_4406 Depth=4
	v_mov_b32_e32 v8, v50
	v_bfe_u32 v4, v50, 23, 1
	v_mov_b32_e32 v9, v51
; %bb.7607:                             ;   in Loop: Header=BB6_4406 Depth=4
	s_or_b64 exec, exec, s[28:29]
	v_lshrrev_b64 v[8:9], 20, v[8:9]
	v_cmp_gt_i32_e32 vcc, 16, v4
	v_cndmask_b32_e32 v9, 0, v9, vcc
	v_cndmask_b32_e32 v8, 7, v8, vcc
	v_cmp_eq_u32_e32 vcc, 0, v4
	v_min_i32_e32 v4, 15, v4
	v_cmp_eq_u64_e64 s[28:29], 0, v[8:9]
	v_lshlrev_b32_e32 v4, 3, v4
	v_and_b32_e32 v4, 0xf8, v4
	v_and_or_b32 v4, v8, 7, v4
	s_and_b64 s[28:29], vcc, s[28:29]
	v_cndmask_b32_e64 v4, v4, 0, s[28:29]
	v_or_b32_e32 v4, v4, v10
.LBB6_7608:                             ;   in Loop: Header=BB6_4406 Depth=4
	s_or_b64 exec, exec, s[36:37]
                                        ; implicit-def: $vgpr10
.LBB6_7609:                             ;   in Loop: Header=BB6_4406 Depth=4
	s_andn2_saveexec_b64 s[28:29], s[34:35]
; %bb.7610:                             ;   in Loop: Header=BB6_4406 Depth=4
	v_or_b32_e32 v4, 0x7e, v10
; %bb.7611:                             ;   in Loop: Header=BB6_4406 Depth=4
	s_or_b64 exec, exec, s[28:29]
                                        ; implicit-def: $vgpr5
.LBB6_7612:                             ;   in Loop: Header=BB6_4406 Depth=4
	s_andn2_saveexec_b64 s[28:29], s[30:31]
	s_cbranch_execz .LBB6_4405
; %bb.7613:                             ;   in Loop: Header=BB6_4406 Depth=4
	v_or_b32_sdwa v4, v5, s86 dst_sel:DWORD dst_unused:UNUSED_PAD src0_sel:BYTE_3 src1_sel:DWORD
	s_branch .LBB6_4405
.LBB6_7614:                             ;   in Loop: Header=BB6_4324 Depth=3
	s_or_b64 exec, exec, s[94:95]
	buffer_load_dword v48, off, s[0:3], s33 offset:436 ; 4-byte Folded Reload
	buffer_load_dword v49, off, s[0:3], s33 offset:440 ; 4-byte Folded Reload
	;; [unrolled: 1-line block ×5, first 2 shown]
.LBB6_7615:                             ;   in Loop: Header=BB6_4324 Depth=3
	s_or_b64 exec, exec, s[40:41]
	buffer_load_dword v0, off, s[0:3], s33 offset:364 ; 4-byte Folded Reload
	s_waitcnt vmcnt(1)
	v_lshlrev_b32_e32 v1, 12, v1
	s_mov_b64 s[28:29], 0
	v_mov_b32_e32 v5, 0
                                        ; implicit-def: $vgpr3
                                        ; implicit-def: $vgpr2
	s_waitcnt vmcnt(0)
	v_cmp_ne_u32_e32 vcc, v0, v1
	s_and_saveexec_b64 s[94:95], vcc
	s_cbranch_execz .LBB6_8429
; %bb.7616:                             ;   in Loop: Header=BB6_4324 Depth=3
	buffer_load_dword v0, off, s[0:3], s33 offset:364 ; 4-byte Folded Reload
	buffer_load_dword v2, off, s[0:3], s33 offset:580 ; 4-byte Folded Reload
	s_waitcnt vmcnt(1)
	v_sub_u32_e32 v3, v0, v1
	v_lshlrev_b32_e32 v0, 6, v7
	s_waitcnt vmcnt(0)
	v_sub_u32_e32 v0, v2, v0
	v_ashrrev_i32_e32 v2, 31, v0
	v_lshrrev_b32_e32 v2, 26, v2
	v_add_u32_e32 v2, v0, v2
	v_ashrrev_i32_e32 v5, 6, v2
	v_and_b32_e32 v2, 0xffffffc0, v2
	v_sub_u32_e32 v2, v0, v2
	v_lshlrev_b32_e32 v0, 4, v2
	v_lshl_add_u32 v4, v5, 10, v0
	v_ashrrev_i32_e32 v0, 31, v3
	v_lshrrev_b32_e32 v0, 22, v0
	v_add_u32_e32 v0, v3, v0
	v_ashrrev_i32_e32 v7, 10, v0
	v_and_b32_e32 v0, 0xfffffc00, v0
	v_sub_u32_e32 v6, v3, v4
	v_sub_u32_e32 v3, v3, v0
	v_cmp_lt_i32_e64 s[28:29], 15, v3
	v_addc_co_u32_e64 v7, vcc, 0, v7, s[28:29]
	v_sub_u32_e32 v7, v7, v5
	v_cmp_lt_i32_e32 vcc, 15, v6
	s_and_saveexec_b64 s[30:31], vcc
	s_cbranch_execz .LBB6_8428
; %bb.7617:                             ;   in Loop: Header=BB6_4324 Depth=3
	v_add_u32_e32 v8, v4, v1
	s_trap 2
	ds_read_b64 v[4:5], v0
	v_ashrrev_i32_e32 v9, 31, v8
	v_add_co_u32_e32 v12, vcc, v8, v52
	v_addc_co_u32_e32 v13, vcc, v9, v53, vcc
	s_waitcnt lgkmcnt(0)
	v_add_co_u32_e32 v14, vcc, v4, v8
	v_readfirstlane_b32 s9, v4
	v_addc_co_u32_e32 v15, vcc, v5, v9, vcc
	s_and_b32 s40, s9, 7
	v_add_co_u32_e32 v16, vcc, v8, v48
	s_flbit_i32_b32 s40, s40
	v_addc_co_u32_e32 v17, vcc, v9, v49, vcc
	s_min_u32 s40, s40, 32
	s_and_b32 s41, s9, 0x7f
	s_bfe_u32 vcc_lo, s9, 0x40003
	s_sub_i32 vcc_hi, s40, 28
	s_sub_i32 s40, 29, s40
	s_cmp_lt_u32 s41, 8
	s_cselect_b32 vcc_hi, vcc_hi, 0
	s_cselect_b32 s40, s40, vcc_lo
	v_lshlrev_b64 v[4:5], vcc_hi, v[4:5]
	s_lshl_b32 vcc_lo, s9, 24
	s_lshl_b32 s40, s40, 23
	s_and_b32 vcc_lo, vcc_lo, 0x80000000
	s_add_i32 s40, s40, 0x3c000000
	v_lshlrev_b32_e32 v4, 20, v4
	s_or_b32 s40, vcc_lo, s40
	v_and_b32_e32 v4, 0x700000, v4
	s_cmpk_lg_i32 s41, 0x7f
	v_or_b32_e32 v4, s40, v4
	s_cselect_b64 vcc, -1, 0
	v_mov_b32_e32 v5, 0x7f800001
	v_cndmask_b32_e32 v21, v5, v4, vcc
	s_mov_b64 s[34:35], 0
	s_and_b32 s9, s9, 0xff
	s_branch .LBB6_7619
.LBB6_7618:                             ;   in Loop: Header=BB6_7619 Depth=4
	s_or_b64 exec, exec, s[40:41]
	v_lshl_or_b32 v5, v33, 8, v20
	v_lshlrev_b32_e32 v8, 16, v35
	v_lshlrev_b32_e32 v9, 24, v36
	v_or3_b32 v9, v5, v8, v9
	v_lshl_or_b32 v5, v24, 8, v22
	v_lshlrev_b32_e32 v8, 16, v27
	v_lshlrev_b32_e32 v10, 24, v31
	v_or3_b32 v8, v5, v8, v10
	;; [unrolled: 4-line block ×3, first 2 shown]
	v_lshlrev_b32_e32 v4, 24, v4
	v_lshlrev_b32_e32 v5, 16, v23
	v_lshl_or_b32 v11, v19, 8, v18
	v_or3_b32 v11, v11, v5, v4
	buffer_load_dword v4, off, s[0:3], s33 offset:356 ; 4-byte Folded Reload
	s_waitcnt vmcnt(0)
	v_add_co_u32_e32 v12, vcc, v12, v4
	v_addc_co_u32_e32 v13, vcc, 0, v13, vcc
	v_add_co_u32_e32 v14, vcc, v14, v4
	v_addc_co_u32_e32 v15, vcc, 0, v15, vcc
	global_store_dwordx4 v[16:17], v[8:11], off glc slc
	v_add_co_u32_e32 v16, vcc, v16, v4
	v_sub_u32_e32 v6, v6, v4
	buffer_load_dword v4, off, s[0:3], s33 offset:92 ; 4-byte Folded Reload
	v_addc_co_u32_e32 v17, vcc, 0, v17, vcc
	v_cmp_gt_i32_e32 vcc, 16, v6
	s_or_b64 s[34:35], vcc, s[34:35]
	s_waitcnt vmcnt(0)
	v_sub_u32_e32 v7, v7, v4
	s_andn2_b64 exec, exec, s[34:35]
	s_cbranch_execz .LBB6_8427
.LBB6_7619:                             ;   Parent Loop BB6_47 Depth=1
                                        ;     Parent Loop BB6_4321 Depth=2
                                        ;       Parent Loop BB6_4324 Depth=3
                                        ; =>      This Inner Loop Header: Depth=4
	s_cmpk_lt_i32 s9, 0x80
	s_cbranch_scc1 .LBB6_7623
; %bb.7620:                             ;   in Loop: Header=BB6_7619 Depth=4
	s_and_b32 vcc_lo, 0xffff, s9
	s_mov_b64 s[40:41], -1
	s_cmpk_eq_i32 vcc_lo, 0x80
	s_cbranch_scc0 .LBB6_7622
; %bb.7621:                             ;   in Loop: Header=BB6_7619 Depth=4
	s_mov_b64 s[40:41], 0
.LBB6_7622:                             ;   in Loop: Header=BB6_7619 Depth=4
	s_brev_b32 s36, 1
	s_branch .LBB6_7625
.LBB6_7623:                             ;   in Loop: Header=BB6_7619 Depth=4
	s_mov_b64 s[40:41], 0
	s_brev_b32 s36, 1
	s_cbranch_execz .LBB6_7625
; %bb.7624:                             ;   in Loop: Header=BB6_7619 Depth=4
	s_and_b32 s40, 0xffff, s9
	s_cmp_lg_u32 s40, 0
	s_mov_b32 s36, 0
	s_cselect_b64 s[40:41], -1, 0
.LBB6_7625:                             ;   in Loop: Header=BB6_7619 Depth=4
	s_andn2_b64 vcc, exec, s[40:41]
	v_mov_b32_e32 v24, s36
	s_cbranch_vccnz .LBB6_7627
; %bb.7626:                             ;   in Loop: Header=BB6_7619 Depth=4
	v_mov_b32_e32 v24, v21
.LBB6_7627:                             ;   in Loop: Header=BB6_7619 Depth=4
	global_load_dwordx4 v[8:11], v[12:13], off glc slc
	v_mov_b32_e32 v4, 0
	s_waitcnt vmcnt(0)
	v_cmp_ne_u16_sdwa vcc, v8, v51 src0_sel:BYTE_0 src1_sel:DWORD
	s_and_saveexec_b64 s[40:41], vcc
	s_cbranch_execz .LBB6_7633
; %bb.7628:                             ;   in Loop: Header=BB6_7619 Depth=4
	v_cmp_ne_u16_sdwa vcc, v8, s96 src0_sel:BYTE_0 src1_sel:DWORD
	v_bfrev_b32_e32 v4, 1
	s_and_saveexec_b64 s[36:37], vcc
	s_cbranch_execz .LBB6_7632
; %bb.7629:                             ;   in Loop: Header=BB6_7619 Depth=4
	v_and_b32_e32 v5, 0x7f, v8
	v_cmp_ne_u32_e32 vcc, s86, v5
	v_mov_b32_e32 v4, 0x7f800001
	s_and_saveexec_b64 s[38:39], vcc
	s_cbranch_execz .LBB6_7631
; %bb.7630:                             ;   in Loop: Header=BB6_7619 Depth=4
	v_and_b32_e32 v4, 7, v8
	v_ffbh_u32_e32 v4, v4
	v_min_u32_e32 v4, 32, v4
	v_lshrrev_b32_e32 v18, 3, v5
	v_cmp_gt_u32_e32 vcc, 8, v5
	v_subrev_u32_e32 v5, 28, v4
	v_sub_u32_e32 v4, 29, v4
	v_cndmask_b32_e32 v18, v18, v4, vcc
	v_cndmask_b32_e32 v4, 0, v5, vcc
	v_lshlrev_b64 v[4:5], v4, v[8:9]
	v_lshlrev_b32_e32 v5, 24, v8
	v_lshlrev_b32_e32 v4, 20, v4
	v_bfrev_b32_e32 v19, 60
	v_and_b32_e32 v4, 0x700000, v4
	v_and_b32_e32 v5, 0x80000000, v5
	v_lshl_add_u32 v18, v18, 23, v19
	v_or3_b32 v4, v5, v18, v4
.LBB6_7631:                             ;   in Loop: Header=BB6_7619 Depth=4
	s_or_b64 exec, exec, s[38:39]
.LBB6_7632:                             ;   in Loop: Header=BB6_7619 Depth=4
	s_or_b64 exec, exec, s[36:37]
.LBB6_7633:                             ;   in Loop: Header=BB6_7619 Depth=4
	s_or_b64 exec, exec, s[40:41]
	v_mul_f32_e32 v4, v24, v4
	v_and_b32_e32 v50, 0x7f800000, v4
	v_cmp_ne_u64_e32 vcc, s[76:77], v[50:51]
                                        ; implicit-def: $vgpr22
	s_and_saveexec_b64 s[40:41], vcc
	s_xor_b64 s[36:37], exec, s[40:41]
	s_cbranch_execz .LBB6_7647
; %bb.7634:                             ;   in Loop: Header=BB6_7619 Depth=4
	v_and_b32_e32 v50, 0x7fffffff, v4
	v_cmp_gt_u64_e32 vcc, s[78:79], v[50:51]
	v_and_b32_sdwa v20, v4, s96 dst_sel:DWORD dst_unused:UNUSED_PAD src0_sel:BYTE_3 src1_sel:DWORD
                                        ; implicit-def: $vgpr22
	s_and_saveexec_b64 s[40:41], vcc
	s_xor_b64 s[38:39], exec, s[40:41]
	s_cbranch_execz .LBB6_7644
; %bb.7635:                             ;   in Loop: Header=BB6_7619 Depth=4
	v_mov_b32_e32 v22, 0
	v_cmp_ne_u32_e32 vcc, 0, v4
	s_and_saveexec_b64 s[48:49], vcc
	s_cbranch_execz .LBB6_7643
; %bb.7636:                             ;   in Loop: Header=BB6_7619 Depth=4
	v_bfe_u32 v22, v4, 23, 8
	v_and_b32_e32 v5, 0x7fffff, v4
	v_cmp_gt_u32_e64 s[40:41], s97, v22
	v_sub_u32_e32 v4, 0x79, v22
	v_cmp_eq_u32_e32 vcc, 0, v22
	v_cndmask_b32_e64 v4, 0, v4, s[40:41]
	v_mov_b32_e32 v19, 0x78
	v_cndmask_b32_e32 v23, v4, v19, vcc
	v_or_b32_e32 v18, 0x800000, v5
	v_add_u32_e32 v4, 20, v23
	v_cndmask_b32_e32 v50, v18, v5, vcc
	v_lshlrev_b64 v[4:5], v4, -1
	v_add_u32_e32 v18, 19, v23
	v_lshlrev_b64 v[18:19], v18, 1
	v_bfi_b32 v5, v5, 0, 0
	v_bfi_b32 v4, v4, 0, v50
	v_cmp_eq_u64_e64 s[40:41], v[4:5], v[18:19]
	v_lshrrev_b64 v[18:19], v23, v[50:51]
	v_mov_b32_e32 v4, v18
	v_mov_b32_e32 v5, v19
	s_and_saveexec_b64 s[50:51], s[40:41]
; %bb.7637:                             ;   in Loop: Header=BB6_7619 Depth=4
	v_bfe_u32 v4, v18, 20, 1
	v_add_co_u32_e64 v4, s[40:41], v18, v4
	v_add_co_u32_e64 v4, s[40:41], -1, v4
; %bb.7638:                             ;   in Loop: Header=BB6_7619 Depth=4
	s_or_b64 exec, exec, s[50:51]
	v_add_u32_e32 v5, 0xffffff81, v22
	v_mov_b32_e32 v19, 0xffffff82
	v_cndmask_b32_e32 v5, v5, v19, vcc
	v_lshrrev_b32_e32 v19, 23, v18
	v_add3_u32 v22, v23, v5, v19
	v_add_u32_e32 v5, 6, v22
	v_and_b32_e32 v4, 0xfffff, v4
	v_add_u32_e32 v50, v4, v18
	v_cmp_ne_u32_e32 vcc, 0, v5
                                        ; implicit-def: $vgpr18_vgpr19
                                        ; implicit-def: $vgpr4
	s_and_saveexec_b64 s[40:41], vcc
	s_xor_b64 s[40:41], exec, s[40:41]
; %bb.7639:                             ;   in Loop: Header=BB6_7619 Depth=4
	v_cmp_lt_u64_e32 vcc, s[88:89], v[50:51]
	v_add_u32_e32 v4, 7, v22
	v_cndmask_b32_e32 v4, v5, v4, vcc
	v_cndmask_b32_e64 v5, 0, 1, vcc
	v_lshrrev_b64 v[18:19], v5, v[50:51]
; %bb.7640:                             ;   in Loop: Header=BB6_7619 Depth=4
	s_andn2_saveexec_b64 s[40:41], s[40:41]
; %bb.7641:                             ;   in Loop: Header=BB6_7619 Depth=4
	v_mov_b32_e32 v18, v50
	v_bfe_u32 v4, v50, 23, 1
	v_mov_b32_e32 v19, v51
; %bb.7642:                             ;   in Loop: Header=BB6_7619 Depth=4
	s_or_b64 exec, exec, s[40:41]
	v_lshrrev_b64 v[18:19], 20, v[18:19]
	v_cmp_gt_i32_e32 vcc, 16, v4
	v_cndmask_b32_e32 v19, 0, v19, vcc
	v_cndmask_b32_e32 v18, 7, v18, vcc
	v_cmp_eq_u32_e32 vcc, 0, v4
	v_min_i32_e32 v4, 15, v4
	v_cmp_eq_u64_e64 s[40:41], 0, v[18:19]
	v_lshlrev_b32_e32 v4, 3, v4
	v_and_b32_e32 v4, 0xf8, v4
	v_and_or_b32 v4, v18, 7, v4
	s_and_b64 s[40:41], vcc, s[40:41]
	v_cndmask_b32_e64 v4, v4, 0, s[40:41]
	v_or_b32_e32 v22, v4, v20
.LBB6_7643:                             ;   in Loop: Header=BB6_7619 Depth=4
	s_or_b64 exec, exec, s[48:49]
                                        ; implicit-def: $vgpr20
.LBB6_7644:                             ;   in Loop: Header=BB6_7619 Depth=4
	s_andn2_saveexec_b64 s[40:41], s[38:39]
; %bb.7645:                             ;   in Loop: Header=BB6_7619 Depth=4
	v_or_b32_e32 v22, 0x7e, v20
; %bb.7646:                             ;   in Loop: Header=BB6_7619 Depth=4
	s_or_b64 exec, exec, s[40:41]
                                        ; implicit-def: $vgpr4
.LBB6_7647:                             ;   in Loop: Header=BB6_7619 Depth=4
	s_andn2_saveexec_b64 s[40:41], s[36:37]
; %bb.7648:                             ;   in Loop: Header=BB6_7619 Depth=4
	v_or_b32_sdwa v22, v4, s86 dst_sel:DWORD dst_unused:UNUSED_PAD src0_sel:BYTE_3 src1_sel:DWORD
; %bb.7649:                             ;   in Loop: Header=BB6_7619 Depth=4
	s_or_b64 exec, exec, s[40:41]
	v_lshrrev_b16_e32 v18, 8, v8
	v_cmp_ne_u16_e32 vcc, 0, v18
	v_mov_b32_e32 v4, 0
	s_and_saveexec_b64 s[40:41], vcc
	s_cbranch_execz .LBB6_7655
; %bb.7650:                             ;   in Loop: Header=BB6_7619 Depth=4
	v_cmp_ne_u16_e32 vcc, s96, v18
	v_bfrev_b32_e32 v4, 1
	s_and_saveexec_b64 s[36:37], vcc
	s_cbranch_execz .LBB6_7654
; %bb.7651:                             ;   in Loop: Header=BB6_7619 Depth=4
	v_and_b32_e32 v5, 0x7f, v18
	v_cmp_ne_u32_e32 vcc, s86, v5
	v_mov_b32_e32 v4, 0x7f800001
	s_and_saveexec_b64 s[38:39], vcc
	s_cbranch_execz .LBB6_7653
; %bb.7652:                             ;   in Loop: Header=BB6_7619 Depth=4
	v_and_b32_e32 v19, 7, v18
	v_ffbh_u32_e32 v4, v19
	v_min_u32_e32 v23, 32, v4
	v_subrev_u32_e32 v4, 28, v23
	v_lshrrev_b32_e32 v20, 3, v5
	v_cmp_gt_u32_e32 vcc, 8, v5
	v_lshlrev_b64 v[4:5], v4, v[18:19]
	v_sub_u32_e32 v5, 29, v23
	v_and_b32_e32 v4, 7, v4
	v_cndmask_b32_e32 v5, v20, v5, vcc
	v_cndmask_b32_e32 v4, v19, v4, vcc
	v_lshlrev_b32_e32 v18, 16, v8
	v_bfrev_b32_e32 v19, 60
	v_lshlrev_b32_e32 v4, 20, v4
	v_and_b32_e32 v18, 0x80000000, v18
	v_lshl_add_u32 v5, v5, 23, v19
	v_or3_b32 v4, v18, v5, v4
.LBB6_7653:                             ;   in Loop: Header=BB6_7619 Depth=4
	s_or_b64 exec, exec, s[38:39]
.LBB6_7654:                             ;   in Loop: Header=BB6_7619 Depth=4
	s_or_b64 exec, exec, s[36:37]
.LBB6_7655:                             ;   in Loop: Header=BB6_7619 Depth=4
	s_or_b64 exec, exec, s[40:41]
	v_mul_f32_e32 v4, v24, v4
	v_and_b32_e32 v50, 0x7f800000, v4
	v_cmp_ne_u64_e32 vcc, s[76:77], v[50:51]
                                        ; implicit-def: $vgpr27
	s_and_saveexec_b64 s[40:41], vcc
	s_xor_b64 s[36:37], exec, s[40:41]
	s_cbranch_execz .LBB6_7669
; %bb.7656:                             ;   in Loop: Header=BB6_7619 Depth=4
	v_and_b32_e32 v50, 0x7fffffff, v4
	v_cmp_gt_u64_e32 vcc, s[78:79], v[50:51]
	v_and_b32_sdwa v20, v4, s96 dst_sel:DWORD dst_unused:UNUSED_PAD src0_sel:BYTE_3 src1_sel:DWORD
                                        ; implicit-def: $vgpr27
	s_and_saveexec_b64 s[40:41], vcc
	s_xor_b64 s[38:39], exec, s[40:41]
	s_cbranch_execz .LBB6_7666
; %bb.7657:                             ;   in Loop: Header=BB6_7619 Depth=4
	v_mov_b32_e32 v27, 0
	v_cmp_ne_u32_e32 vcc, 0, v4
	s_and_saveexec_b64 s[48:49], vcc
	s_cbranch_execz .LBB6_7665
; %bb.7658:                             ;   in Loop: Header=BB6_7619 Depth=4
	v_bfe_u32 v23, v4, 23, 8
	v_and_b32_e32 v5, 0x7fffff, v4
	v_cmp_gt_u32_e64 s[40:41], s97, v23
	v_sub_u32_e32 v4, 0x79, v23
	v_cmp_eq_u32_e32 vcc, 0, v23
	v_cndmask_b32_e64 v4, 0, v4, s[40:41]
	v_mov_b32_e32 v19, 0x78
	v_cndmask_b32_e32 v25, v4, v19, vcc
	v_or_b32_e32 v18, 0x800000, v5
	v_add_u32_e32 v4, 20, v25
	v_cndmask_b32_e32 v50, v18, v5, vcc
	v_lshlrev_b64 v[4:5], v4, -1
	v_add_u32_e32 v18, 19, v25
	v_lshlrev_b64 v[18:19], v18, 1
	v_bfi_b32 v5, v5, 0, 0
	v_bfi_b32 v4, v4, 0, v50
	v_cmp_eq_u64_e64 s[40:41], v[4:5], v[18:19]
	v_lshrrev_b64 v[18:19], v25, v[50:51]
	v_mov_b32_e32 v4, v18
	v_mov_b32_e32 v5, v19
	s_and_saveexec_b64 s[50:51], s[40:41]
; %bb.7659:                             ;   in Loop: Header=BB6_7619 Depth=4
	v_bfe_u32 v4, v18, 20, 1
	v_add_co_u32_e64 v4, s[40:41], v18, v4
	v_add_co_u32_e64 v4, s[40:41], -1, v4
; %bb.7660:                             ;   in Loop: Header=BB6_7619 Depth=4
	s_or_b64 exec, exec, s[50:51]
	v_add_u32_e32 v5, 0xffffff81, v23
	v_mov_b32_e32 v19, 0xffffff82
	v_cndmask_b32_e32 v5, v5, v19, vcc
	v_lshrrev_b32_e32 v19, 23, v18
	v_add3_u32 v23, v25, v5, v19
	v_add_u32_e32 v5, 6, v23
	v_and_b32_e32 v4, 0xfffff, v4
	v_add_u32_e32 v50, v4, v18
	v_cmp_ne_u32_e32 vcc, 0, v5
                                        ; implicit-def: $vgpr18_vgpr19
                                        ; implicit-def: $vgpr4
	s_and_saveexec_b64 s[40:41], vcc
	s_xor_b64 s[40:41], exec, s[40:41]
; %bb.7661:                             ;   in Loop: Header=BB6_7619 Depth=4
	v_cmp_lt_u64_e32 vcc, s[88:89], v[50:51]
	v_add_u32_e32 v4, 7, v23
	v_cndmask_b32_e32 v4, v5, v4, vcc
	v_cndmask_b32_e64 v5, 0, 1, vcc
	v_lshrrev_b64 v[18:19], v5, v[50:51]
; %bb.7662:                             ;   in Loop: Header=BB6_7619 Depth=4
	s_andn2_saveexec_b64 s[40:41], s[40:41]
; %bb.7663:                             ;   in Loop: Header=BB6_7619 Depth=4
	v_mov_b32_e32 v18, v50
	v_bfe_u32 v4, v50, 23, 1
	v_mov_b32_e32 v19, v51
; %bb.7664:                             ;   in Loop: Header=BB6_7619 Depth=4
	s_or_b64 exec, exec, s[40:41]
	v_lshrrev_b64 v[18:19], 20, v[18:19]
	v_cmp_gt_i32_e32 vcc, 16, v4
	v_cndmask_b32_e32 v19, 0, v19, vcc
	v_cndmask_b32_e32 v18, 7, v18, vcc
	v_cmp_eq_u32_e32 vcc, 0, v4
	v_min_i32_e32 v4, 15, v4
	v_cmp_eq_u64_e64 s[40:41], 0, v[18:19]
	v_lshlrev_b32_e32 v4, 3, v4
	v_and_b32_e32 v4, 0xf8, v4
	v_and_or_b32 v4, v18, 7, v4
	s_and_b64 s[40:41], vcc, s[40:41]
	v_cndmask_b32_e64 v4, v4, 0, s[40:41]
	v_or_b32_e32 v27, v4, v20
.LBB6_7665:                             ;   in Loop: Header=BB6_7619 Depth=4
	s_or_b64 exec, exec, s[48:49]
                                        ; implicit-def: $vgpr20
.LBB6_7666:                             ;   in Loop: Header=BB6_7619 Depth=4
	s_andn2_saveexec_b64 s[40:41], s[38:39]
; %bb.7667:                             ;   in Loop: Header=BB6_7619 Depth=4
	v_or_b32_e32 v27, 0x7e, v20
; %bb.7668:                             ;   in Loop: Header=BB6_7619 Depth=4
	s_or_b64 exec, exec, s[40:41]
                                        ; implicit-def: $vgpr4
.LBB6_7669:                             ;   in Loop: Header=BB6_7619 Depth=4
	s_andn2_saveexec_b64 s[40:41], s[36:37]
; %bb.7670:                             ;   in Loop: Header=BB6_7619 Depth=4
	v_or_b32_sdwa v27, v4, s86 dst_sel:DWORD dst_unused:UNUSED_PAD src0_sel:BYTE_3 src1_sel:DWORD
; %bb.7671:                             ;   in Loop: Header=BB6_7619 Depth=4
	s_or_b64 exec, exec, s[40:41]
	v_lshrrev_b32_e32 v18, 16, v8
	v_cmp_ne_u16_sdwa vcc, v18, v51 src0_sel:BYTE_0 src1_sel:DWORD
	v_mov_b32_e32 v4, 0
	s_and_saveexec_b64 s[40:41], vcc
	s_cbranch_execz .LBB6_7677
; %bb.7672:                             ;   in Loop: Header=BB6_7619 Depth=4
	v_cmp_ne_u16_sdwa vcc, v18, s96 src0_sel:BYTE_0 src1_sel:DWORD
	v_bfrev_b32_e32 v4, 1
	s_and_saveexec_b64 s[36:37], vcc
	s_cbranch_execz .LBB6_7676
; %bb.7673:                             ;   in Loop: Header=BB6_7619 Depth=4
	v_bfe_u32 v5, v8, 16, 7
	v_cmp_ne_u32_e32 vcc, s86, v5
	v_mov_b32_e32 v4, 0x7f800001
	s_and_saveexec_b64 s[38:39], vcc
	s_cbranch_execz .LBB6_7675
; %bb.7674:                             ;   in Loop: Header=BB6_7619 Depth=4
	v_and_b32_e32 v19, 7, v18
	v_ffbh_u32_e32 v4, v19
	v_min_u32_e32 v23, 32, v4
	v_subrev_u32_e32 v4, 28, v23
	v_lshrrev_b32_e32 v20, 3, v5
	v_cmp_gt_u32_e32 vcc, 8, v5
	v_lshlrev_b64 v[4:5], v4, v[18:19]
	v_sub_u32_e32 v5, 29, v23
	v_and_b32_e32 v4, 7, v4
	v_cndmask_b32_e32 v5, v20, v5, vcc
	v_cndmask_b32_e32 v4, v19, v4, vcc
	v_lshlrev_b32_e32 v18, 24, v18
	v_bfrev_b32_e32 v19, 60
	v_lshlrev_b32_e32 v4, 20, v4
	v_and_b32_e32 v18, 0x80000000, v18
	v_lshl_add_u32 v5, v5, 23, v19
	v_or3_b32 v4, v18, v5, v4
.LBB6_7675:                             ;   in Loop: Header=BB6_7619 Depth=4
	s_or_b64 exec, exec, s[38:39]
.LBB6_7676:                             ;   in Loop: Header=BB6_7619 Depth=4
	s_or_b64 exec, exec, s[36:37]
.LBB6_7677:                             ;   in Loop: Header=BB6_7619 Depth=4
	s_or_b64 exec, exec, s[40:41]
	v_mul_f32_e32 v4, v24, v4
	v_and_b32_e32 v50, 0x7f800000, v4
	v_cmp_ne_u64_e32 vcc, s[76:77], v[50:51]
                                        ; implicit-def: $vgpr31
	s_and_saveexec_b64 s[40:41], vcc
	s_xor_b64 s[36:37], exec, s[40:41]
	s_cbranch_execz .LBB6_7691
; %bb.7678:                             ;   in Loop: Header=BB6_7619 Depth=4
	v_and_b32_e32 v50, 0x7fffffff, v4
	v_cmp_gt_u64_e32 vcc, s[78:79], v[50:51]
	v_and_b32_sdwa v20, v4, s96 dst_sel:DWORD dst_unused:UNUSED_PAD src0_sel:BYTE_3 src1_sel:DWORD
                                        ; implicit-def: $vgpr31
	s_and_saveexec_b64 s[40:41], vcc
	s_xor_b64 s[38:39], exec, s[40:41]
	s_cbranch_execz .LBB6_7688
; %bb.7679:                             ;   in Loop: Header=BB6_7619 Depth=4
	v_mov_b32_e32 v31, 0
	v_cmp_ne_u32_e32 vcc, 0, v4
	s_and_saveexec_b64 s[48:49], vcc
	s_cbranch_execz .LBB6_7687
; %bb.7680:                             ;   in Loop: Header=BB6_7619 Depth=4
	v_bfe_u32 v23, v4, 23, 8
	v_and_b32_e32 v5, 0x7fffff, v4
	v_cmp_gt_u32_e64 s[40:41], s97, v23
	v_sub_u32_e32 v4, 0x79, v23
	v_cmp_eq_u32_e32 vcc, 0, v23
	v_cndmask_b32_e64 v4, 0, v4, s[40:41]
	v_mov_b32_e32 v19, 0x78
	v_cndmask_b32_e32 v25, v4, v19, vcc
	v_or_b32_e32 v18, 0x800000, v5
	v_add_u32_e32 v4, 20, v25
	v_cndmask_b32_e32 v50, v18, v5, vcc
	v_lshlrev_b64 v[4:5], v4, -1
	v_add_u32_e32 v18, 19, v25
	v_lshlrev_b64 v[18:19], v18, 1
	v_bfi_b32 v5, v5, 0, 0
	v_bfi_b32 v4, v4, 0, v50
	v_cmp_eq_u64_e64 s[40:41], v[4:5], v[18:19]
	v_lshrrev_b64 v[18:19], v25, v[50:51]
	v_mov_b32_e32 v4, v18
	v_mov_b32_e32 v5, v19
	s_and_saveexec_b64 s[50:51], s[40:41]
; %bb.7681:                             ;   in Loop: Header=BB6_7619 Depth=4
	v_bfe_u32 v4, v18, 20, 1
	v_add_co_u32_e64 v4, s[40:41], v18, v4
	v_add_co_u32_e64 v4, s[40:41], -1, v4
; %bb.7682:                             ;   in Loop: Header=BB6_7619 Depth=4
	s_or_b64 exec, exec, s[50:51]
	v_add_u32_e32 v5, 0xffffff81, v23
	v_mov_b32_e32 v19, 0xffffff82
	v_cndmask_b32_e32 v5, v5, v19, vcc
	v_lshrrev_b32_e32 v19, 23, v18
	v_add3_u32 v23, v25, v5, v19
	v_add_u32_e32 v5, 6, v23
	v_and_b32_e32 v4, 0xfffff, v4
	v_add_u32_e32 v50, v4, v18
	v_cmp_ne_u32_e32 vcc, 0, v5
                                        ; implicit-def: $vgpr18_vgpr19
                                        ; implicit-def: $vgpr4
	s_and_saveexec_b64 s[40:41], vcc
	s_xor_b64 s[40:41], exec, s[40:41]
; %bb.7683:                             ;   in Loop: Header=BB6_7619 Depth=4
	v_cmp_lt_u64_e32 vcc, s[88:89], v[50:51]
	v_add_u32_e32 v4, 7, v23
	v_cndmask_b32_e32 v4, v5, v4, vcc
	v_cndmask_b32_e64 v5, 0, 1, vcc
	v_lshrrev_b64 v[18:19], v5, v[50:51]
; %bb.7684:                             ;   in Loop: Header=BB6_7619 Depth=4
	s_andn2_saveexec_b64 s[40:41], s[40:41]
; %bb.7685:                             ;   in Loop: Header=BB6_7619 Depth=4
	v_mov_b32_e32 v18, v50
	v_bfe_u32 v4, v50, 23, 1
	v_mov_b32_e32 v19, v51
; %bb.7686:                             ;   in Loop: Header=BB6_7619 Depth=4
	s_or_b64 exec, exec, s[40:41]
	v_lshrrev_b64 v[18:19], 20, v[18:19]
	v_cmp_gt_i32_e32 vcc, 16, v4
	v_cndmask_b32_e32 v19, 0, v19, vcc
	v_cndmask_b32_e32 v18, 7, v18, vcc
	v_cmp_eq_u32_e32 vcc, 0, v4
	v_min_i32_e32 v4, 15, v4
	v_cmp_eq_u64_e64 s[40:41], 0, v[18:19]
	v_lshlrev_b32_e32 v4, 3, v4
	v_and_b32_e32 v4, 0xf8, v4
	v_and_or_b32 v4, v18, 7, v4
	s_and_b64 s[40:41], vcc, s[40:41]
	v_cndmask_b32_e64 v4, v4, 0, s[40:41]
	v_or_b32_e32 v31, v4, v20
.LBB6_7687:                             ;   in Loop: Header=BB6_7619 Depth=4
	s_or_b64 exec, exec, s[48:49]
                                        ; implicit-def: $vgpr20
.LBB6_7688:                             ;   in Loop: Header=BB6_7619 Depth=4
	s_andn2_saveexec_b64 s[40:41], s[38:39]
; %bb.7689:                             ;   in Loop: Header=BB6_7619 Depth=4
	v_or_b32_e32 v31, 0x7e, v20
; %bb.7690:                             ;   in Loop: Header=BB6_7619 Depth=4
	s_or_b64 exec, exec, s[40:41]
                                        ; implicit-def: $vgpr4
.LBB6_7691:                             ;   in Loop: Header=BB6_7619 Depth=4
	s_andn2_saveexec_b64 s[40:41], s[36:37]
; %bb.7692:                             ;   in Loop: Header=BB6_7619 Depth=4
	v_or_b32_sdwa v31, v4, s86 dst_sel:DWORD dst_unused:UNUSED_PAD src0_sel:BYTE_3 src1_sel:DWORD
; %bb.7693:                             ;   in Loop: Header=BB6_7619 Depth=4
	s_or_b64 exec, exec, s[40:41]
	v_cmp_lt_u32_e32 vcc, s57, v8
	v_mov_b32_e32 v4, 0
	s_and_saveexec_b64 s[40:41], vcc
	s_cbranch_execz .LBB6_7699
; %bb.7694:                             ;   in Loop: Header=BB6_7619 Depth=4
	v_lshrrev_b32_e32 v18, 24, v8
	v_cmp_ne_u32_e32 vcc, s96, v18
	v_bfrev_b32_e32 v4, 1
	s_and_saveexec_b64 s[36:37], vcc
	s_cbranch_execz .LBB6_7698
; %bb.7695:                             ;   in Loop: Header=BB6_7619 Depth=4
	v_bfe_u32 v5, v8, 24, 7
	v_cmp_ne_u32_e32 vcc, s86, v5
	v_mov_b32_e32 v4, 0x7f800001
	s_and_saveexec_b64 s[38:39], vcc
	s_cbranch_execz .LBB6_7697
; %bb.7696:                             ;   in Loop: Header=BB6_7619 Depth=4
	v_and_b32_e32 v19, 7, v18
	v_ffbh_u32_e32 v4, v19
	v_min_u32_e32 v23, 32, v4
	v_subrev_u32_e32 v4, 28, v23
	v_lshrrev_b32_e32 v20, 3, v5
	v_cmp_gt_u32_e32 vcc, 8, v5
	v_lshlrev_b64 v[4:5], v4, v[18:19]
	v_sub_u32_e32 v5, 29, v23
	v_and_b32_e32 v4, 7, v4
	v_cndmask_b32_e32 v5, v20, v5, vcc
	v_cndmask_b32_e32 v4, v19, v4, vcc
	v_lshlrev_b32_e32 v18, 24, v18
	v_bfrev_b32_e32 v19, 60
	v_lshlrev_b32_e32 v4, 20, v4
	v_and_b32_e32 v18, 0x80000000, v18
	v_lshl_add_u32 v5, v5, 23, v19
	v_or3_b32 v4, v18, v5, v4
.LBB6_7697:                             ;   in Loop: Header=BB6_7619 Depth=4
	s_or_b64 exec, exec, s[38:39]
.LBB6_7698:                             ;   in Loop: Header=BB6_7619 Depth=4
	s_or_b64 exec, exec, s[36:37]
.LBB6_7699:                             ;   in Loop: Header=BB6_7619 Depth=4
	s_or_b64 exec, exec, s[40:41]
	v_mul_f32_e32 v4, v24, v4
	v_and_b32_e32 v50, 0x7f800000, v4
	v_cmp_ne_u64_e32 vcc, s[76:77], v[50:51]
                                        ; implicit-def: $vgpr37
	s_and_saveexec_b64 s[40:41], vcc
	s_xor_b64 s[36:37], exec, s[40:41]
	s_cbranch_execz .LBB6_7713
; %bb.7700:                             ;   in Loop: Header=BB6_7619 Depth=4
	v_and_b32_e32 v50, 0x7fffffff, v4
	v_cmp_gt_u64_e32 vcc, s[78:79], v[50:51]
	v_and_b32_sdwa v20, v4, s96 dst_sel:DWORD dst_unused:UNUSED_PAD src0_sel:BYTE_3 src1_sel:DWORD
                                        ; implicit-def: $vgpr37
	s_and_saveexec_b64 s[40:41], vcc
	s_xor_b64 s[38:39], exec, s[40:41]
	s_cbranch_execz .LBB6_7710
; %bb.7701:                             ;   in Loop: Header=BB6_7619 Depth=4
	v_mov_b32_e32 v37, 0
	v_cmp_ne_u32_e32 vcc, 0, v4
	s_and_saveexec_b64 s[48:49], vcc
	s_cbranch_execz .LBB6_7709
; %bb.7702:                             ;   in Loop: Header=BB6_7619 Depth=4
	v_bfe_u32 v23, v4, 23, 8
	v_and_b32_e32 v5, 0x7fffff, v4
	v_cmp_gt_u32_e64 s[40:41], s97, v23
	v_sub_u32_e32 v4, 0x79, v23
	v_cmp_eq_u32_e32 vcc, 0, v23
	v_cndmask_b32_e64 v4, 0, v4, s[40:41]
	v_mov_b32_e32 v19, 0x78
	v_cndmask_b32_e32 v25, v4, v19, vcc
	v_or_b32_e32 v18, 0x800000, v5
	v_add_u32_e32 v4, 20, v25
	v_cndmask_b32_e32 v50, v18, v5, vcc
	v_lshlrev_b64 v[4:5], v4, -1
	v_add_u32_e32 v18, 19, v25
	v_lshlrev_b64 v[18:19], v18, 1
	v_bfi_b32 v5, v5, 0, 0
	v_bfi_b32 v4, v4, 0, v50
	v_cmp_eq_u64_e64 s[40:41], v[4:5], v[18:19]
	v_lshrrev_b64 v[18:19], v25, v[50:51]
	v_mov_b32_e32 v4, v18
	v_mov_b32_e32 v5, v19
	s_and_saveexec_b64 s[50:51], s[40:41]
; %bb.7703:                             ;   in Loop: Header=BB6_7619 Depth=4
	v_bfe_u32 v4, v18, 20, 1
	v_add_co_u32_e64 v4, s[40:41], v18, v4
	v_add_co_u32_e64 v4, s[40:41], -1, v4
; %bb.7704:                             ;   in Loop: Header=BB6_7619 Depth=4
	s_or_b64 exec, exec, s[50:51]
	v_add_u32_e32 v5, 0xffffff81, v23
	v_mov_b32_e32 v19, 0xffffff82
	v_cndmask_b32_e32 v5, v5, v19, vcc
	v_lshrrev_b32_e32 v19, 23, v18
	v_add3_u32 v23, v25, v5, v19
	v_add_u32_e32 v5, 6, v23
	v_and_b32_e32 v4, 0xfffff, v4
	v_add_u32_e32 v50, v4, v18
	v_cmp_ne_u32_e32 vcc, 0, v5
                                        ; implicit-def: $vgpr18_vgpr19
                                        ; implicit-def: $vgpr4
	s_and_saveexec_b64 s[40:41], vcc
	s_xor_b64 s[40:41], exec, s[40:41]
; %bb.7705:                             ;   in Loop: Header=BB6_7619 Depth=4
	v_cmp_lt_u64_e32 vcc, s[88:89], v[50:51]
	v_add_u32_e32 v4, 7, v23
	v_cndmask_b32_e32 v4, v5, v4, vcc
	v_cndmask_b32_e64 v5, 0, 1, vcc
	v_lshrrev_b64 v[18:19], v5, v[50:51]
; %bb.7706:                             ;   in Loop: Header=BB6_7619 Depth=4
	s_andn2_saveexec_b64 s[40:41], s[40:41]
; %bb.7707:                             ;   in Loop: Header=BB6_7619 Depth=4
	v_mov_b32_e32 v18, v50
	v_bfe_u32 v4, v50, 23, 1
	v_mov_b32_e32 v19, v51
; %bb.7708:                             ;   in Loop: Header=BB6_7619 Depth=4
	s_or_b64 exec, exec, s[40:41]
	v_lshrrev_b64 v[18:19], 20, v[18:19]
	v_cmp_gt_i32_e32 vcc, 16, v4
	v_cndmask_b32_e32 v19, 0, v19, vcc
	v_cndmask_b32_e32 v18, 7, v18, vcc
	v_cmp_eq_u32_e32 vcc, 0, v4
	v_min_i32_e32 v4, 15, v4
	v_cmp_eq_u64_e64 s[40:41], 0, v[18:19]
	v_lshlrev_b32_e32 v4, 3, v4
	v_and_b32_e32 v4, 0xf8, v4
	v_and_or_b32 v4, v18, 7, v4
	s_and_b64 s[40:41], vcc, s[40:41]
	v_cndmask_b32_e64 v4, v4, 0, s[40:41]
	v_or_b32_e32 v37, v4, v20
.LBB6_7709:                             ;   in Loop: Header=BB6_7619 Depth=4
	s_or_b64 exec, exec, s[48:49]
                                        ; implicit-def: $vgpr20
.LBB6_7710:                             ;   in Loop: Header=BB6_7619 Depth=4
	s_andn2_saveexec_b64 s[40:41], s[38:39]
; %bb.7711:                             ;   in Loop: Header=BB6_7619 Depth=4
	v_or_b32_e32 v37, 0x7e, v20
; %bb.7712:                             ;   in Loop: Header=BB6_7619 Depth=4
	s_or_b64 exec, exec, s[40:41]
                                        ; implicit-def: $vgpr4
.LBB6_7713:                             ;   in Loop: Header=BB6_7619 Depth=4
	s_andn2_saveexec_b64 s[40:41], s[36:37]
; %bb.7714:                             ;   in Loop: Header=BB6_7619 Depth=4
	v_or_b32_sdwa v37, v4, s86 dst_sel:DWORD dst_unused:UNUSED_PAD src0_sel:BYTE_3 src1_sel:DWORD
; %bb.7715:                             ;   in Loop: Header=BB6_7619 Depth=4
	s_or_b64 exec, exec, s[40:41]
	v_mov_b32_e32 v50, v9
	v_cmp_ne_u16_sdwa vcc, v9, v51 src0_sel:BYTE_0 src1_sel:DWORD
	v_mov_b32_e32 v4, 0
	s_and_saveexec_b64 s[40:41], vcc
	s_cbranch_execz .LBB6_7721
; %bb.7716:                             ;   in Loop: Header=BB6_7619 Depth=4
	v_cmp_ne_u16_sdwa vcc, v9, s96 src0_sel:BYTE_0 src1_sel:DWORD
	v_bfrev_b32_e32 v4, 1
	s_and_saveexec_b64 s[36:37], vcc
	s_cbranch_execz .LBB6_7720
; %bb.7717:                             ;   in Loop: Header=BB6_7619 Depth=4
	v_and_b32_e32 v5, 0x7f, v9
	v_cmp_ne_u32_e32 vcc, s86, v5
	v_mov_b32_e32 v4, 0x7f800001
	s_and_saveexec_b64 s[38:39], vcc
	s_cbranch_execz .LBB6_7719
; %bb.7718:                             ;   in Loop: Header=BB6_7619 Depth=4
	v_and_b32_e32 v4, 7, v9
	v_ffbh_u32_e32 v4, v4
	v_min_u32_e32 v4, 32, v4
	v_lshrrev_b32_e32 v18, 3, v5
	v_cmp_gt_u32_e32 vcc, 8, v5
	v_subrev_u32_e32 v5, 28, v4
	v_sub_u32_e32 v4, 29, v4
	v_cndmask_b32_e32 v18, v18, v4, vcc
	v_cndmask_b32_e32 v4, 0, v5, vcc
	v_lshlrev_b64 v[4:5], v4, v[50:51]
	v_lshlrev_b32_e32 v5, 24, v50
	v_lshlrev_b32_e32 v4, 20, v4
	v_bfrev_b32_e32 v19, 60
	v_and_b32_e32 v4, 0x700000, v4
	v_and_b32_e32 v5, 0x80000000, v5
	v_lshl_add_u32 v18, v18, 23, v19
	v_or3_b32 v4, v5, v18, v4
.LBB6_7719:                             ;   in Loop: Header=BB6_7619 Depth=4
	s_or_b64 exec, exec, s[38:39]
.LBB6_7720:                             ;   in Loop: Header=BB6_7619 Depth=4
	s_or_b64 exec, exec, s[36:37]
.LBB6_7721:                             ;   in Loop: Header=BB6_7619 Depth=4
	s_or_b64 exec, exec, s[40:41]
	v_mul_f32_e32 v4, v24, v4
	v_and_b32_e32 v18, 0x7f800000, v4
	v_mov_b32_e32 v19, v51
	v_cmp_ne_u64_e32 vcc, s[76:77], v[18:19]
                                        ; implicit-def: $vgpr20
	s_and_saveexec_b64 s[40:41], vcc
	s_xor_b64 s[36:37], exec, s[40:41]
	s_cbranch_execz .LBB6_7735
; %bb.7722:                             ;   in Loop: Header=BB6_7619 Depth=4
	v_and_b32_e32 v18, 0x7fffffff, v4
	v_mov_b32_e32 v19, v51
	v_cmp_gt_u64_e32 vcc, s[78:79], v[18:19]
	v_and_b32_sdwa v23, v4, s96 dst_sel:DWORD dst_unused:UNUSED_PAD src0_sel:BYTE_3 src1_sel:DWORD
                                        ; implicit-def: $vgpr20
	s_and_saveexec_b64 s[40:41], vcc
	s_xor_b64 s[38:39], exec, s[40:41]
	s_cbranch_execz .LBB6_7732
; %bb.7723:                             ;   in Loop: Header=BB6_7619 Depth=4
	v_mov_b32_e32 v20, 0
	v_cmp_ne_u32_e32 vcc, 0, v4
	s_and_saveexec_b64 s[48:49], vcc
	s_cbranch_execz .LBB6_7731
; %bb.7724:                             ;   in Loop: Header=BB6_7619 Depth=4
	v_bfe_u32 v20, v4, 23, 8
	v_and_b32_e32 v5, 0x7fffff, v4
	v_cmp_gt_u32_e64 s[40:41], s97, v20
	v_sub_u32_e32 v4, 0x79, v20
	v_cmp_eq_u32_e32 vcc, 0, v20
	v_cndmask_b32_e64 v4, 0, v4, s[40:41]
	v_mov_b32_e32 v19, 0x78
	v_or_b32_e32 v18, 0x800000, v5
	v_cndmask_b32_e32 v25, v4, v19, vcc
	v_cndmask_b32_e32 v4, v18, v5, vcc
	v_add_u32_e32 v18, 20, v25
	v_lshlrev_b64 v[18:19], v18, -1
	v_add_u32_e32 v26, 19, v25
	v_lshlrev_b64 v[28:29], v26, 1
	v_mov_b32_e32 v5, v51
	v_bfi_b32 v19, v19, 0, 0
	v_bfi_b32 v18, v18, 0, v4
	v_cmp_eq_u64_e64 s[40:41], v[18:19], v[28:29]
	v_lshrrev_b64 v[18:19], v25, v[4:5]
	v_mov_b32_e32 v4, v18
	v_mov_b32_e32 v5, v19
	s_and_saveexec_b64 s[50:51], s[40:41]
; %bb.7725:                             ;   in Loop: Header=BB6_7619 Depth=4
	v_bfe_u32 v4, v18, 20, 1
	v_add_co_u32_e64 v4, s[40:41], v18, v4
	v_add_co_u32_e64 v4, s[40:41], -1, v4
; %bb.7726:                             ;   in Loop: Header=BB6_7619 Depth=4
	s_or_b64 exec, exec, s[50:51]
	v_add_u32_e32 v5, 0xffffff81, v20
	v_mov_b32_e32 v19, 0xffffff82
	v_cndmask_b32_e32 v5, v5, v19, vcc
	v_lshrrev_b32_e32 v19, 23, v18
	v_add3_u32 v20, v25, v5, v19
	v_add_u32_e32 v5, 6, v20
	v_and_b32_e32 v4, 0xfffff, v4
	v_add_u32_e32 v18, v4, v18
	v_mov_b32_e32 v19, v51
	v_cmp_ne_u32_e32 vcc, 0, v5
                                        ; implicit-def: $vgpr4
	s_and_saveexec_b64 s[40:41], vcc
	s_xor_b64 s[40:41], exec, s[40:41]
; %bb.7727:                             ;   in Loop: Header=BB6_7619 Depth=4
	v_cmp_lt_u64_e32 vcc, s[88:89], v[18:19]
	v_add_u32_e32 v4, 7, v20
	v_cndmask_b32_e32 v4, v5, v4, vcc
	v_cndmask_b32_e64 v5, 0, 1, vcc
	v_lshrrev_b64 v[18:19], v5, v[18:19]
; %bb.7728:                             ;   in Loop: Header=BB6_7619 Depth=4
	s_andn2_saveexec_b64 s[40:41], s[40:41]
; %bb.7729:                             ;   in Loop: Header=BB6_7619 Depth=4
	v_bfe_u32 v4, v18, 23, 1
; %bb.7730:                             ;   in Loop: Header=BB6_7619 Depth=4
	s_or_b64 exec, exec, s[40:41]
	v_lshrrev_b64 v[18:19], 20, v[18:19]
	v_cmp_gt_i32_e32 vcc, 16, v4
	v_cndmask_b32_e32 v19, 0, v19, vcc
	v_cndmask_b32_e32 v18, 7, v18, vcc
	v_cmp_eq_u32_e32 vcc, 0, v4
	v_min_i32_e32 v4, 15, v4
	v_cmp_eq_u64_e64 s[40:41], 0, v[18:19]
	v_lshlrev_b32_e32 v4, 3, v4
	v_and_b32_e32 v4, 0xf8, v4
	v_and_or_b32 v4, v18, 7, v4
	s_and_b64 s[40:41], vcc, s[40:41]
	v_cndmask_b32_e64 v4, v4, 0, s[40:41]
	v_or_b32_e32 v20, v4, v23
.LBB6_7731:                             ;   in Loop: Header=BB6_7619 Depth=4
	s_or_b64 exec, exec, s[48:49]
                                        ; implicit-def: $vgpr23
.LBB6_7732:                             ;   in Loop: Header=BB6_7619 Depth=4
	s_andn2_saveexec_b64 s[40:41], s[38:39]
; %bb.7733:                             ;   in Loop: Header=BB6_7619 Depth=4
	v_or_b32_e32 v20, 0x7e, v23
; %bb.7734:                             ;   in Loop: Header=BB6_7619 Depth=4
	s_or_b64 exec, exec, s[40:41]
                                        ; implicit-def: $vgpr4
.LBB6_7735:                             ;   in Loop: Header=BB6_7619 Depth=4
	s_andn2_saveexec_b64 s[40:41], s[36:37]
; %bb.7736:                             ;   in Loop: Header=BB6_7619 Depth=4
	v_or_b32_sdwa v20, v4, s86 dst_sel:DWORD dst_unused:UNUSED_PAD src0_sel:BYTE_3 src1_sel:DWORD
; %bb.7737:                             ;   in Loop: Header=BB6_7619 Depth=4
	s_or_b64 exec, exec, s[40:41]
	v_lshrrev_b16_e32 v18, 8, v50
	v_cmp_ne_u16_e32 vcc, 0, v18
	v_mov_b32_e32 v4, 0
	s_and_saveexec_b64 s[40:41], vcc
	s_cbranch_execz .LBB6_7743
; %bb.7738:                             ;   in Loop: Header=BB6_7619 Depth=4
	v_cmp_ne_u16_e32 vcc, s96, v18
	v_bfrev_b32_e32 v4, 1
	s_and_saveexec_b64 s[36:37], vcc
	s_cbranch_execz .LBB6_7742
; %bb.7739:                             ;   in Loop: Header=BB6_7619 Depth=4
	v_and_b32_e32 v5, 0x7f, v18
	v_cmp_ne_u32_e32 vcc, s86, v5
	v_mov_b32_e32 v4, 0x7f800001
	s_and_saveexec_b64 s[38:39], vcc
	s_cbranch_execz .LBB6_7741
; %bb.7740:                             ;   in Loop: Header=BB6_7619 Depth=4
	v_and_b32_e32 v19, 7, v18
	v_ffbh_u32_e32 v4, v19
	v_min_u32_e32 v25, 32, v4
	v_subrev_u32_e32 v4, 28, v25
	v_lshrrev_b32_e32 v23, 3, v5
	v_cmp_gt_u32_e32 vcc, 8, v5
	v_lshlrev_b64 v[4:5], v4, v[18:19]
	v_sub_u32_e32 v5, 29, v25
	v_and_b32_e32 v4, 7, v4
	v_cndmask_b32_e32 v5, v23, v5, vcc
	v_cndmask_b32_e32 v4, v19, v4, vcc
	v_lshlrev_b32_e32 v18, 16, v50
	v_bfrev_b32_e32 v19, 60
	v_lshlrev_b32_e32 v4, 20, v4
	v_and_b32_e32 v18, 0x80000000, v18
	v_lshl_add_u32 v5, v5, 23, v19
	v_or3_b32 v4, v18, v5, v4
.LBB6_7741:                             ;   in Loop: Header=BB6_7619 Depth=4
	s_or_b64 exec, exec, s[38:39]
.LBB6_7742:                             ;   in Loop: Header=BB6_7619 Depth=4
	s_or_b64 exec, exec, s[36:37]
.LBB6_7743:                             ;   in Loop: Header=BB6_7619 Depth=4
	s_or_b64 exec, exec, s[40:41]
	v_mul_f32_e32 v4, v24, v4
	v_and_b32_e32 v50, 0x7f800000, v4
	v_cmp_ne_u64_e32 vcc, s[76:77], v[50:51]
                                        ; implicit-def: $vgpr33
	s_and_saveexec_b64 s[40:41], vcc
	s_xor_b64 s[36:37], exec, s[40:41]
	s_cbranch_execz .LBB6_7757
; %bb.7744:                             ;   in Loop: Header=BB6_7619 Depth=4
	v_and_b32_e32 v50, 0x7fffffff, v4
	v_cmp_gt_u64_e32 vcc, s[78:79], v[50:51]
	v_and_b32_sdwa v23, v4, s96 dst_sel:DWORD dst_unused:UNUSED_PAD src0_sel:BYTE_3 src1_sel:DWORD
                                        ; implicit-def: $vgpr33
	s_and_saveexec_b64 s[40:41], vcc
	s_xor_b64 s[38:39], exec, s[40:41]
	s_cbranch_execz .LBB6_7754
; %bb.7745:                             ;   in Loop: Header=BB6_7619 Depth=4
	v_mov_b32_e32 v33, 0
	v_cmp_ne_u32_e32 vcc, 0, v4
	s_and_saveexec_b64 s[48:49], vcc
	s_cbranch_execz .LBB6_7753
; %bb.7746:                             ;   in Loop: Header=BB6_7619 Depth=4
	v_bfe_u32 v25, v4, 23, 8
	v_and_b32_e32 v5, 0x7fffff, v4
	v_cmp_gt_u32_e64 s[40:41], s97, v25
	v_sub_u32_e32 v4, 0x79, v25
	v_cmp_eq_u32_e32 vcc, 0, v25
	v_cndmask_b32_e64 v4, 0, v4, s[40:41]
	v_mov_b32_e32 v19, 0x78
	v_cndmask_b32_e32 v26, v4, v19, vcc
	v_or_b32_e32 v18, 0x800000, v5
	v_add_u32_e32 v4, 20, v26
	v_cndmask_b32_e32 v50, v18, v5, vcc
	v_lshlrev_b64 v[4:5], v4, -1
	v_add_u32_e32 v18, 19, v26
	v_lshlrev_b64 v[18:19], v18, 1
	v_bfi_b32 v5, v5, 0, 0
	v_bfi_b32 v4, v4, 0, v50
	v_cmp_eq_u64_e64 s[40:41], v[4:5], v[18:19]
	v_lshrrev_b64 v[18:19], v26, v[50:51]
	v_mov_b32_e32 v4, v18
	v_mov_b32_e32 v5, v19
	s_and_saveexec_b64 s[50:51], s[40:41]
; %bb.7747:                             ;   in Loop: Header=BB6_7619 Depth=4
	v_bfe_u32 v4, v18, 20, 1
	v_add_co_u32_e64 v4, s[40:41], v18, v4
	v_add_co_u32_e64 v4, s[40:41], -1, v4
; %bb.7748:                             ;   in Loop: Header=BB6_7619 Depth=4
	s_or_b64 exec, exec, s[50:51]
	v_add_u32_e32 v5, 0xffffff81, v25
	v_mov_b32_e32 v19, 0xffffff82
	v_cndmask_b32_e32 v5, v5, v19, vcc
	v_lshrrev_b32_e32 v19, 23, v18
	v_add3_u32 v25, v26, v5, v19
	v_add_u32_e32 v5, 6, v25
	v_and_b32_e32 v4, 0xfffff, v4
	v_add_u32_e32 v50, v4, v18
	v_cmp_ne_u32_e32 vcc, 0, v5
                                        ; implicit-def: $vgpr18_vgpr19
                                        ; implicit-def: $vgpr4
	s_and_saveexec_b64 s[40:41], vcc
	s_xor_b64 s[40:41], exec, s[40:41]
; %bb.7749:                             ;   in Loop: Header=BB6_7619 Depth=4
	v_cmp_lt_u64_e32 vcc, s[88:89], v[50:51]
	v_add_u32_e32 v4, 7, v25
	v_cndmask_b32_e32 v4, v5, v4, vcc
	v_cndmask_b32_e64 v5, 0, 1, vcc
	v_lshrrev_b64 v[18:19], v5, v[50:51]
; %bb.7750:                             ;   in Loop: Header=BB6_7619 Depth=4
	s_andn2_saveexec_b64 s[40:41], s[40:41]
; %bb.7751:                             ;   in Loop: Header=BB6_7619 Depth=4
	v_mov_b32_e32 v18, v50
	v_bfe_u32 v4, v50, 23, 1
	v_mov_b32_e32 v19, v51
; %bb.7752:                             ;   in Loop: Header=BB6_7619 Depth=4
	s_or_b64 exec, exec, s[40:41]
	v_lshrrev_b64 v[18:19], 20, v[18:19]
	v_cmp_gt_i32_e32 vcc, 16, v4
	v_cndmask_b32_e32 v19, 0, v19, vcc
	v_cndmask_b32_e32 v18, 7, v18, vcc
	v_cmp_eq_u32_e32 vcc, 0, v4
	v_min_i32_e32 v4, 15, v4
	v_cmp_eq_u64_e64 s[40:41], 0, v[18:19]
	v_lshlrev_b32_e32 v4, 3, v4
	v_and_b32_e32 v4, 0xf8, v4
	v_and_or_b32 v4, v18, 7, v4
	s_and_b64 s[40:41], vcc, s[40:41]
	v_cndmask_b32_e64 v4, v4, 0, s[40:41]
	v_or_b32_e32 v33, v4, v23
.LBB6_7753:                             ;   in Loop: Header=BB6_7619 Depth=4
	s_or_b64 exec, exec, s[48:49]
                                        ; implicit-def: $vgpr23
.LBB6_7754:                             ;   in Loop: Header=BB6_7619 Depth=4
	s_andn2_saveexec_b64 s[40:41], s[38:39]
; %bb.7755:                             ;   in Loop: Header=BB6_7619 Depth=4
	v_or_b32_e32 v33, 0x7e, v23
; %bb.7756:                             ;   in Loop: Header=BB6_7619 Depth=4
	s_or_b64 exec, exec, s[40:41]
                                        ; implicit-def: $vgpr4
.LBB6_7757:                             ;   in Loop: Header=BB6_7619 Depth=4
	s_andn2_saveexec_b64 s[40:41], s[36:37]
; %bb.7758:                             ;   in Loop: Header=BB6_7619 Depth=4
	v_or_b32_sdwa v33, v4, s86 dst_sel:DWORD dst_unused:UNUSED_PAD src0_sel:BYTE_3 src1_sel:DWORD
; %bb.7759:                             ;   in Loop: Header=BB6_7619 Depth=4
	s_or_b64 exec, exec, s[40:41]
	v_lshrrev_b32_e32 v18, 16, v9
	v_cmp_ne_u16_sdwa vcc, v18, v51 src0_sel:BYTE_0 src1_sel:DWORD
	v_mov_b32_e32 v4, 0
	s_and_saveexec_b64 s[40:41], vcc
	s_cbranch_execz .LBB6_7765
; %bb.7760:                             ;   in Loop: Header=BB6_7619 Depth=4
	v_cmp_ne_u16_sdwa vcc, v18, s96 src0_sel:BYTE_0 src1_sel:DWORD
	v_bfrev_b32_e32 v4, 1
	s_and_saveexec_b64 s[36:37], vcc
	s_cbranch_execz .LBB6_7764
; %bb.7761:                             ;   in Loop: Header=BB6_7619 Depth=4
	v_bfe_u32 v5, v9, 16, 7
	v_cmp_ne_u32_e32 vcc, s86, v5
	v_mov_b32_e32 v4, 0x7f800001
	s_and_saveexec_b64 s[38:39], vcc
	s_cbranch_execz .LBB6_7763
; %bb.7762:                             ;   in Loop: Header=BB6_7619 Depth=4
	v_and_b32_e32 v19, 7, v18
	v_ffbh_u32_e32 v4, v19
	v_min_u32_e32 v25, 32, v4
	v_subrev_u32_e32 v4, 28, v25
	v_lshrrev_b32_e32 v23, 3, v5
	v_cmp_gt_u32_e32 vcc, 8, v5
	v_lshlrev_b64 v[4:5], v4, v[18:19]
	v_sub_u32_e32 v5, 29, v25
	v_and_b32_e32 v4, 7, v4
	v_cndmask_b32_e32 v5, v23, v5, vcc
	v_cndmask_b32_e32 v4, v19, v4, vcc
	v_lshlrev_b32_e32 v18, 24, v18
	v_bfrev_b32_e32 v19, 60
	v_lshlrev_b32_e32 v4, 20, v4
	v_and_b32_e32 v18, 0x80000000, v18
	v_lshl_add_u32 v5, v5, 23, v19
	v_or3_b32 v4, v18, v5, v4
.LBB6_7763:                             ;   in Loop: Header=BB6_7619 Depth=4
	s_or_b64 exec, exec, s[38:39]
.LBB6_7764:                             ;   in Loop: Header=BB6_7619 Depth=4
	s_or_b64 exec, exec, s[36:37]
.LBB6_7765:                             ;   in Loop: Header=BB6_7619 Depth=4
	s_or_b64 exec, exec, s[40:41]
	v_mul_f32_e32 v4, v24, v4
	v_and_b32_e32 v50, 0x7f800000, v4
	v_cmp_ne_u64_e32 vcc, s[76:77], v[50:51]
                                        ; implicit-def: $vgpr35
	s_and_saveexec_b64 s[40:41], vcc
	s_xor_b64 s[36:37], exec, s[40:41]
	s_cbranch_execz .LBB6_7779
; %bb.7766:                             ;   in Loop: Header=BB6_7619 Depth=4
	v_and_b32_e32 v50, 0x7fffffff, v4
	v_cmp_gt_u64_e32 vcc, s[78:79], v[50:51]
	v_and_b32_sdwa v23, v4, s96 dst_sel:DWORD dst_unused:UNUSED_PAD src0_sel:BYTE_3 src1_sel:DWORD
                                        ; implicit-def: $vgpr35
	s_and_saveexec_b64 s[40:41], vcc
	s_xor_b64 s[38:39], exec, s[40:41]
	s_cbranch_execz .LBB6_7776
; %bb.7767:                             ;   in Loop: Header=BB6_7619 Depth=4
	v_mov_b32_e32 v35, 0
	v_cmp_ne_u32_e32 vcc, 0, v4
	s_and_saveexec_b64 s[48:49], vcc
	s_cbranch_execz .LBB6_7775
; %bb.7768:                             ;   in Loop: Header=BB6_7619 Depth=4
	v_bfe_u32 v25, v4, 23, 8
	v_and_b32_e32 v5, 0x7fffff, v4
	v_cmp_gt_u32_e64 s[40:41], s97, v25
	v_sub_u32_e32 v4, 0x79, v25
	v_cmp_eq_u32_e32 vcc, 0, v25
	v_cndmask_b32_e64 v4, 0, v4, s[40:41]
	v_mov_b32_e32 v19, 0x78
	v_cndmask_b32_e32 v26, v4, v19, vcc
	v_or_b32_e32 v18, 0x800000, v5
	v_add_u32_e32 v4, 20, v26
	v_cndmask_b32_e32 v50, v18, v5, vcc
	v_lshlrev_b64 v[4:5], v4, -1
	v_add_u32_e32 v18, 19, v26
	v_lshlrev_b64 v[18:19], v18, 1
	v_bfi_b32 v5, v5, 0, 0
	v_bfi_b32 v4, v4, 0, v50
	v_cmp_eq_u64_e64 s[40:41], v[4:5], v[18:19]
	v_lshrrev_b64 v[18:19], v26, v[50:51]
	v_mov_b32_e32 v4, v18
	v_mov_b32_e32 v5, v19
	s_and_saveexec_b64 s[50:51], s[40:41]
; %bb.7769:                             ;   in Loop: Header=BB6_7619 Depth=4
	v_bfe_u32 v4, v18, 20, 1
	v_add_co_u32_e64 v4, s[40:41], v18, v4
	v_add_co_u32_e64 v4, s[40:41], -1, v4
; %bb.7770:                             ;   in Loop: Header=BB6_7619 Depth=4
	s_or_b64 exec, exec, s[50:51]
	v_add_u32_e32 v5, 0xffffff81, v25
	v_mov_b32_e32 v19, 0xffffff82
	v_cndmask_b32_e32 v5, v5, v19, vcc
	v_lshrrev_b32_e32 v19, 23, v18
	v_add3_u32 v25, v26, v5, v19
	v_add_u32_e32 v5, 6, v25
	v_and_b32_e32 v4, 0xfffff, v4
	v_add_u32_e32 v50, v4, v18
	v_cmp_ne_u32_e32 vcc, 0, v5
                                        ; implicit-def: $vgpr18_vgpr19
                                        ; implicit-def: $vgpr4
	s_and_saveexec_b64 s[40:41], vcc
	s_xor_b64 s[40:41], exec, s[40:41]
; %bb.7771:                             ;   in Loop: Header=BB6_7619 Depth=4
	v_cmp_lt_u64_e32 vcc, s[88:89], v[50:51]
	v_add_u32_e32 v4, 7, v25
	v_cndmask_b32_e32 v4, v5, v4, vcc
	v_cndmask_b32_e64 v5, 0, 1, vcc
	v_lshrrev_b64 v[18:19], v5, v[50:51]
; %bb.7772:                             ;   in Loop: Header=BB6_7619 Depth=4
	s_andn2_saveexec_b64 s[40:41], s[40:41]
; %bb.7773:                             ;   in Loop: Header=BB6_7619 Depth=4
	v_mov_b32_e32 v18, v50
	v_bfe_u32 v4, v50, 23, 1
	v_mov_b32_e32 v19, v51
; %bb.7774:                             ;   in Loop: Header=BB6_7619 Depth=4
	s_or_b64 exec, exec, s[40:41]
	v_lshrrev_b64 v[18:19], 20, v[18:19]
	v_cmp_gt_i32_e32 vcc, 16, v4
	v_cndmask_b32_e32 v19, 0, v19, vcc
	v_cndmask_b32_e32 v18, 7, v18, vcc
	v_cmp_eq_u32_e32 vcc, 0, v4
	v_min_i32_e32 v4, 15, v4
	v_cmp_eq_u64_e64 s[40:41], 0, v[18:19]
	v_lshlrev_b32_e32 v4, 3, v4
	v_and_b32_e32 v4, 0xf8, v4
	v_and_or_b32 v4, v18, 7, v4
	s_and_b64 s[40:41], vcc, s[40:41]
	v_cndmask_b32_e64 v4, v4, 0, s[40:41]
	v_or_b32_e32 v35, v4, v23
.LBB6_7775:                             ;   in Loop: Header=BB6_7619 Depth=4
	s_or_b64 exec, exec, s[48:49]
                                        ; implicit-def: $vgpr23
.LBB6_7776:                             ;   in Loop: Header=BB6_7619 Depth=4
	s_andn2_saveexec_b64 s[40:41], s[38:39]
; %bb.7777:                             ;   in Loop: Header=BB6_7619 Depth=4
	v_or_b32_e32 v35, 0x7e, v23
; %bb.7778:                             ;   in Loop: Header=BB6_7619 Depth=4
	s_or_b64 exec, exec, s[40:41]
                                        ; implicit-def: $vgpr4
.LBB6_7779:                             ;   in Loop: Header=BB6_7619 Depth=4
	s_andn2_saveexec_b64 s[40:41], s[36:37]
; %bb.7780:                             ;   in Loop: Header=BB6_7619 Depth=4
	v_or_b32_sdwa v35, v4, s86 dst_sel:DWORD dst_unused:UNUSED_PAD src0_sel:BYTE_3 src1_sel:DWORD
; %bb.7781:                             ;   in Loop: Header=BB6_7619 Depth=4
	s_or_b64 exec, exec, s[40:41]
	v_cmp_lt_u64_e32 vcc, s[56:57], v[8:9]
	v_mov_b32_e32 v4, 0
	s_and_saveexec_b64 s[40:41], vcc
	s_cbranch_execz .LBB6_7787
; %bb.7782:                             ;   in Loop: Header=BB6_7619 Depth=4
	v_lshrrev_b32_e32 v8, 24, v9
	v_cmp_ne_u32_e32 vcc, s96, v8
	v_bfrev_b32_e32 v4, 1
	s_and_saveexec_b64 s[36:37], vcc
	s_cbranch_execz .LBB6_7786
; %bb.7783:                             ;   in Loop: Header=BB6_7619 Depth=4
	v_bfe_u32 v5, v9, 24, 7
	v_cmp_ne_u32_e32 vcc, s86, v5
	v_mov_b32_e32 v4, 0x7f800001
	s_and_saveexec_b64 s[38:39], vcc
	s_cbranch_execz .LBB6_7785
; %bb.7784:                             ;   in Loop: Header=BB6_7619 Depth=4
	v_and_b32_e32 v9, 7, v8
	v_ffbh_u32_e32 v4, v9
	v_min_u32_e32 v19, 32, v4
	v_subrev_u32_e32 v4, 28, v19
	v_lshrrev_b32_e32 v18, 3, v5
	v_cmp_gt_u32_e32 vcc, 8, v5
	v_lshlrev_b64 v[4:5], v4, v[8:9]
	v_sub_u32_e32 v5, 29, v19
	v_and_b32_e32 v4, 7, v4
	v_cndmask_b32_e32 v5, v18, v5, vcc
	v_cndmask_b32_e32 v4, v9, v4, vcc
	v_lshlrev_b32_e32 v8, 24, v8
	v_bfrev_b32_e32 v9, 60
	v_lshlrev_b32_e32 v4, 20, v4
	v_and_b32_e32 v8, 0x80000000, v8
	v_lshl_add_u32 v5, v5, 23, v9
	v_or3_b32 v4, v8, v5, v4
.LBB6_7785:                             ;   in Loop: Header=BB6_7619 Depth=4
	s_or_b64 exec, exec, s[38:39]
.LBB6_7786:                             ;   in Loop: Header=BB6_7619 Depth=4
	s_or_b64 exec, exec, s[36:37]
.LBB6_7787:                             ;   in Loop: Header=BB6_7619 Depth=4
	s_or_b64 exec, exec, s[40:41]
	v_mul_f32_e32 v4, v24, v4
	v_and_b32_e32 v50, 0x7f800000, v4
	v_cmp_ne_u64_e32 vcc, s[76:77], v[50:51]
                                        ; implicit-def: $vgpr36
	s_and_saveexec_b64 s[40:41], vcc
	s_xor_b64 s[36:37], exec, s[40:41]
	s_cbranch_execz .LBB6_7801
; %bb.7788:                             ;   in Loop: Header=BB6_7619 Depth=4
	v_and_b32_e32 v50, 0x7fffffff, v4
	v_cmp_gt_u64_e32 vcc, s[78:79], v[50:51]
	v_and_b32_sdwa v18, v4, s96 dst_sel:DWORD dst_unused:UNUSED_PAD src0_sel:BYTE_3 src1_sel:DWORD
                                        ; implicit-def: $vgpr36
	s_and_saveexec_b64 s[40:41], vcc
	s_xor_b64 s[38:39], exec, s[40:41]
	s_cbranch_execz .LBB6_7798
; %bb.7789:                             ;   in Loop: Header=BB6_7619 Depth=4
	v_mov_b32_e32 v36, 0
	v_cmp_ne_u32_e32 vcc, 0, v4
	s_and_saveexec_b64 s[48:49], vcc
	s_cbranch_execz .LBB6_7797
; %bb.7790:                             ;   in Loop: Header=BB6_7619 Depth=4
	v_bfe_u32 v19, v4, 23, 8
	v_and_b32_e32 v5, 0x7fffff, v4
	v_cmp_gt_u32_e64 s[40:41], s97, v19
	v_sub_u32_e32 v4, 0x79, v19
	v_cmp_eq_u32_e32 vcc, 0, v19
	v_cndmask_b32_e64 v4, 0, v4, s[40:41]
	v_mov_b32_e32 v9, 0x78
	v_cndmask_b32_e32 v23, v4, v9, vcc
	v_or_b32_e32 v8, 0x800000, v5
	v_add_u32_e32 v4, 20, v23
	v_cndmask_b32_e32 v50, v8, v5, vcc
	v_lshlrev_b64 v[4:5], v4, -1
	v_add_u32_e32 v8, 19, v23
	v_lshlrev_b64 v[8:9], v8, 1
	v_bfi_b32 v5, v5, 0, 0
	v_bfi_b32 v4, v4, 0, v50
	v_cmp_eq_u64_e64 s[40:41], v[4:5], v[8:9]
	v_lshrrev_b64 v[8:9], v23, v[50:51]
	v_mov_b32_e32 v4, v8
	v_mov_b32_e32 v5, v9
	s_and_saveexec_b64 s[50:51], s[40:41]
; %bb.7791:                             ;   in Loop: Header=BB6_7619 Depth=4
	v_bfe_u32 v4, v8, 20, 1
	v_add_co_u32_e64 v4, s[40:41], v8, v4
	v_add_co_u32_e64 v4, s[40:41], -1, v4
; %bb.7792:                             ;   in Loop: Header=BB6_7619 Depth=4
	s_or_b64 exec, exec, s[50:51]
	v_add_u32_e32 v5, 0xffffff81, v19
	v_mov_b32_e32 v9, 0xffffff82
	v_cndmask_b32_e32 v5, v5, v9, vcc
	v_lshrrev_b32_e32 v9, 23, v8
	v_add3_u32 v19, v23, v5, v9
	v_add_u32_e32 v5, 6, v19
	v_and_b32_e32 v4, 0xfffff, v4
	v_add_u32_e32 v50, v4, v8
	v_cmp_ne_u32_e32 vcc, 0, v5
                                        ; implicit-def: $vgpr8_vgpr9
                                        ; implicit-def: $vgpr4
	s_and_saveexec_b64 s[40:41], vcc
	s_xor_b64 s[40:41], exec, s[40:41]
; %bb.7793:                             ;   in Loop: Header=BB6_7619 Depth=4
	v_cmp_lt_u64_e32 vcc, s[88:89], v[50:51]
	v_add_u32_e32 v4, 7, v19
	v_cndmask_b32_e32 v4, v5, v4, vcc
	v_cndmask_b32_e64 v5, 0, 1, vcc
	v_lshrrev_b64 v[8:9], v5, v[50:51]
; %bb.7794:                             ;   in Loop: Header=BB6_7619 Depth=4
	s_andn2_saveexec_b64 s[40:41], s[40:41]
; %bb.7795:                             ;   in Loop: Header=BB6_7619 Depth=4
	v_mov_b32_e32 v8, v50
	v_bfe_u32 v4, v50, 23, 1
	v_mov_b32_e32 v9, v51
; %bb.7796:                             ;   in Loop: Header=BB6_7619 Depth=4
	s_or_b64 exec, exec, s[40:41]
	v_lshrrev_b64 v[8:9], 20, v[8:9]
	v_cmp_gt_i32_e32 vcc, 16, v4
	v_cndmask_b32_e32 v9, 0, v9, vcc
	v_cndmask_b32_e32 v8, 7, v8, vcc
	v_cmp_eq_u32_e32 vcc, 0, v4
	v_min_i32_e32 v4, 15, v4
	v_cmp_eq_u64_e64 s[40:41], 0, v[8:9]
	v_lshlrev_b32_e32 v4, 3, v4
	v_and_b32_e32 v4, 0xf8, v4
	v_and_or_b32 v4, v8, 7, v4
	s_and_b64 s[40:41], vcc, s[40:41]
	v_cndmask_b32_e64 v4, v4, 0, s[40:41]
	v_or_b32_e32 v36, v4, v18
.LBB6_7797:                             ;   in Loop: Header=BB6_7619 Depth=4
	s_or_b64 exec, exec, s[48:49]
                                        ; implicit-def: $vgpr18
.LBB6_7798:                             ;   in Loop: Header=BB6_7619 Depth=4
	s_andn2_saveexec_b64 s[40:41], s[38:39]
; %bb.7799:                             ;   in Loop: Header=BB6_7619 Depth=4
	v_or_b32_e32 v36, 0x7e, v18
; %bb.7800:                             ;   in Loop: Header=BB6_7619 Depth=4
	s_or_b64 exec, exec, s[40:41]
                                        ; implicit-def: $vgpr4
.LBB6_7801:                             ;   in Loop: Header=BB6_7619 Depth=4
	s_andn2_saveexec_b64 s[40:41], s[36:37]
; %bb.7802:                             ;   in Loop: Header=BB6_7619 Depth=4
	v_or_b32_sdwa v36, v4, s86 dst_sel:DWORD dst_unused:UNUSED_PAD src0_sel:BYTE_3 src1_sel:DWORD
; %bb.7803:                             ;   in Loop: Header=BB6_7619 Depth=4
	s_or_b64 exec, exec, s[40:41]
	v_cmp_ne_u16_sdwa vcc, v10, v51 src0_sel:BYTE_0 src1_sel:DWORD
	v_mov_b32_e32 v4, 0
	s_and_saveexec_b64 s[40:41], vcc
	s_cbranch_execz .LBB6_7809
; %bb.7804:                             ;   in Loop: Header=BB6_7619 Depth=4
	v_cmp_ne_u16_sdwa vcc, v10, s96 src0_sel:BYTE_0 src1_sel:DWORD
	v_bfrev_b32_e32 v4, 1
	s_and_saveexec_b64 s[36:37], vcc
	s_cbranch_execz .LBB6_7808
; %bb.7805:                             ;   in Loop: Header=BB6_7619 Depth=4
	v_and_b32_e32 v5, 0x7f, v10
	v_cmp_ne_u32_e32 vcc, s86, v5
	v_mov_b32_e32 v4, 0x7f800001
	s_and_saveexec_b64 s[38:39], vcc
	s_cbranch_execz .LBB6_7807
; %bb.7806:                             ;   in Loop: Header=BB6_7619 Depth=4
	v_and_b32_e32 v4, 7, v10
	v_ffbh_u32_e32 v4, v4
	v_min_u32_e32 v4, 32, v4
	v_lshrrev_b32_e32 v8, 3, v5
	v_cmp_gt_u32_e32 vcc, 8, v5
	v_subrev_u32_e32 v5, 28, v4
	v_sub_u32_e32 v4, 29, v4
	v_cndmask_b32_e32 v8, v8, v4, vcc
	v_cndmask_b32_e32 v4, 0, v5, vcc
	v_lshlrev_b64 v[4:5], v4, v[10:11]
	v_lshlrev_b32_e32 v5, 24, v10
	v_lshlrev_b32_e32 v4, 20, v4
	v_bfrev_b32_e32 v9, 60
	v_and_b32_e32 v4, 0x700000, v4
	v_and_b32_e32 v5, 0x80000000, v5
	v_lshl_add_u32 v8, v8, 23, v9
	v_or3_b32 v4, v5, v8, v4
.LBB6_7807:                             ;   in Loop: Header=BB6_7619 Depth=4
	s_or_b64 exec, exec, s[38:39]
.LBB6_7808:                             ;   in Loop: Header=BB6_7619 Depth=4
	s_or_b64 exec, exec, s[36:37]
.LBB6_7809:                             ;   in Loop: Header=BB6_7619 Depth=4
	s_or_b64 exec, exec, s[40:41]
	v_mul_f32_e32 v4, v24, v4
	v_and_b32_e32 v50, 0x7f800000, v4
	v_cmp_ne_u64_e32 vcc, s[76:77], v[50:51]
                                        ; implicit-def: $vgpr25
	s_and_saveexec_b64 s[40:41], vcc
	s_xor_b64 s[36:37], exec, s[40:41]
	s_cbranch_execz .LBB6_7823
; %bb.7810:                             ;   in Loop: Header=BB6_7619 Depth=4
	v_and_b32_e32 v50, 0x7fffffff, v4
	v_cmp_gt_u64_e32 vcc, s[78:79], v[50:51]
	v_and_b32_sdwa v18, v4, s96 dst_sel:DWORD dst_unused:UNUSED_PAD src0_sel:BYTE_3 src1_sel:DWORD
                                        ; implicit-def: $vgpr25
	s_and_saveexec_b64 s[40:41], vcc
	s_xor_b64 s[38:39], exec, s[40:41]
	s_cbranch_execz .LBB6_7820
; %bb.7811:                             ;   in Loop: Header=BB6_7619 Depth=4
	v_mov_b32_e32 v25, 0
	v_cmp_ne_u32_e32 vcc, 0, v4
	s_and_saveexec_b64 s[48:49], vcc
	s_cbranch_execz .LBB6_7819
; %bb.7812:                             ;   in Loop: Header=BB6_7619 Depth=4
	v_bfe_u32 v19, v4, 23, 8
	v_and_b32_e32 v5, 0x7fffff, v4
	v_cmp_gt_u32_e64 s[40:41], s97, v19
	v_sub_u32_e32 v4, 0x79, v19
	v_cmp_eq_u32_e32 vcc, 0, v19
	v_cndmask_b32_e64 v4, 0, v4, s[40:41]
	v_mov_b32_e32 v9, 0x78
	v_cndmask_b32_e32 v23, v4, v9, vcc
	v_or_b32_e32 v8, 0x800000, v5
	v_add_u32_e32 v4, 20, v23
	v_cndmask_b32_e32 v50, v8, v5, vcc
	v_lshlrev_b64 v[4:5], v4, -1
	v_add_u32_e32 v8, 19, v23
	v_lshlrev_b64 v[8:9], v8, 1
	v_bfi_b32 v5, v5, 0, 0
	v_bfi_b32 v4, v4, 0, v50
	v_cmp_eq_u64_e64 s[40:41], v[4:5], v[8:9]
	v_lshrrev_b64 v[8:9], v23, v[50:51]
	v_mov_b32_e32 v4, v8
	v_mov_b32_e32 v5, v9
	s_and_saveexec_b64 s[50:51], s[40:41]
; %bb.7813:                             ;   in Loop: Header=BB6_7619 Depth=4
	v_bfe_u32 v4, v8, 20, 1
	v_add_co_u32_e64 v4, s[40:41], v8, v4
	v_add_co_u32_e64 v4, s[40:41], -1, v4
; %bb.7814:                             ;   in Loop: Header=BB6_7619 Depth=4
	s_or_b64 exec, exec, s[50:51]
	v_add_u32_e32 v5, 0xffffff81, v19
	v_mov_b32_e32 v9, 0xffffff82
	v_cndmask_b32_e32 v5, v5, v9, vcc
	v_lshrrev_b32_e32 v9, 23, v8
	v_add3_u32 v19, v23, v5, v9
	v_add_u32_e32 v5, 6, v19
	v_and_b32_e32 v4, 0xfffff, v4
	v_add_u32_e32 v50, v4, v8
	v_cmp_ne_u32_e32 vcc, 0, v5
                                        ; implicit-def: $vgpr8_vgpr9
                                        ; implicit-def: $vgpr4
	s_and_saveexec_b64 s[40:41], vcc
	s_xor_b64 s[40:41], exec, s[40:41]
; %bb.7815:                             ;   in Loop: Header=BB6_7619 Depth=4
	v_cmp_lt_u64_e32 vcc, s[88:89], v[50:51]
	v_add_u32_e32 v4, 7, v19
	v_cndmask_b32_e32 v4, v5, v4, vcc
	v_cndmask_b32_e64 v5, 0, 1, vcc
	v_lshrrev_b64 v[8:9], v5, v[50:51]
; %bb.7816:                             ;   in Loop: Header=BB6_7619 Depth=4
	s_andn2_saveexec_b64 s[40:41], s[40:41]
; %bb.7817:                             ;   in Loop: Header=BB6_7619 Depth=4
	v_mov_b32_e32 v8, v50
	v_bfe_u32 v4, v50, 23, 1
	v_mov_b32_e32 v9, v51
; %bb.7818:                             ;   in Loop: Header=BB6_7619 Depth=4
	s_or_b64 exec, exec, s[40:41]
	v_lshrrev_b64 v[8:9], 20, v[8:9]
	v_cmp_gt_i32_e32 vcc, 16, v4
	v_cndmask_b32_e32 v9, 0, v9, vcc
	v_cndmask_b32_e32 v8, 7, v8, vcc
	v_cmp_eq_u32_e32 vcc, 0, v4
	v_min_i32_e32 v4, 15, v4
	v_cmp_eq_u64_e64 s[40:41], 0, v[8:9]
	v_lshlrev_b32_e32 v4, 3, v4
	v_and_b32_e32 v4, 0xf8, v4
	v_and_or_b32 v4, v8, 7, v4
	s_and_b64 s[40:41], vcc, s[40:41]
	v_cndmask_b32_e64 v4, v4, 0, s[40:41]
	v_or_b32_e32 v25, v4, v18
.LBB6_7819:                             ;   in Loop: Header=BB6_7619 Depth=4
	s_or_b64 exec, exec, s[48:49]
                                        ; implicit-def: $vgpr18
.LBB6_7820:                             ;   in Loop: Header=BB6_7619 Depth=4
	s_andn2_saveexec_b64 s[40:41], s[38:39]
; %bb.7821:                             ;   in Loop: Header=BB6_7619 Depth=4
	v_or_b32_e32 v25, 0x7e, v18
; %bb.7822:                             ;   in Loop: Header=BB6_7619 Depth=4
	s_or_b64 exec, exec, s[40:41]
                                        ; implicit-def: $vgpr4
.LBB6_7823:                             ;   in Loop: Header=BB6_7619 Depth=4
	s_andn2_saveexec_b64 s[40:41], s[36:37]
; %bb.7824:                             ;   in Loop: Header=BB6_7619 Depth=4
	v_or_b32_sdwa v25, v4, s86 dst_sel:DWORD dst_unused:UNUSED_PAD src0_sel:BYTE_3 src1_sel:DWORD
; %bb.7825:                             ;   in Loop: Header=BB6_7619 Depth=4
	s_or_b64 exec, exec, s[40:41]
	v_lshrrev_b16_e32 v8, 8, v10
	v_cmp_ne_u16_e32 vcc, 0, v8
	v_mov_b32_e32 v4, 0
	s_and_saveexec_b64 s[40:41], vcc
	s_cbranch_execz .LBB6_7831
; %bb.7826:                             ;   in Loop: Header=BB6_7619 Depth=4
	v_cmp_ne_u16_e32 vcc, s96, v8
	v_bfrev_b32_e32 v4, 1
	s_and_saveexec_b64 s[36:37], vcc
	s_cbranch_execz .LBB6_7830
; %bb.7827:                             ;   in Loop: Header=BB6_7619 Depth=4
	v_and_b32_e32 v5, 0x7f, v8
	v_cmp_ne_u32_e32 vcc, s86, v5
	v_mov_b32_e32 v4, 0x7f800001
	s_and_saveexec_b64 s[38:39], vcc
	s_cbranch_execz .LBB6_7829
; %bb.7828:                             ;   in Loop: Header=BB6_7619 Depth=4
	v_and_b32_e32 v9, 7, v8
	v_ffbh_u32_e32 v4, v9
	v_min_u32_e32 v19, 32, v4
	v_subrev_u32_e32 v4, 28, v19
	v_lshrrev_b32_e32 v18, 3, v5
	v_cmp_gt_u32_e32 vcc, 8, v5
	v_lshlrev_b64 v[4:5], v4, v[8:9]
	v_sub_u32_e32 v5, 29, v19
	v_and_b32_e32 v4, 7, v4
	v_cndmask_b32_e32 v5, v18, v5, vcc
	v_cndmask_b32_e32 v4, v9, v4, vcc
	v_lshlrev_b32_e32 v8, 16, v10
	v_bfrev_b32_e32 v9, 60
	v_lshlrev_b32_e32 v4, 20, v4
	v_and_b32_e32 v8, 0x80000000, v8
	v_lshl_add_u32 v5, v5, 23, v9
	v_or3_b32 v4, v8, v5, v4
.LBB6_7829:                             ;   in Loop: Header=BB6_7619 Depth=4
	s_or_b64 exec, exec, s[38:39]
.LBB6_7830:                             ;   in Loop: Header=BB6_7619 Depth=4
	s_or_b64 exec, exec, s[36:37]
.LBB6_7831:                             ;   in Loop: Header=BB6_7619 Depth=4
	s_or_b64 exec, exec, s[40:41]
	v_mul_f32_e32 v4, v24, v4
	v_and_b32_e32 v50, 0x7f800000, v4
	v_cmp_ne_u64_e32 vcc, s[76:77], v[50:51]
                                        ; implicit-def: $vgpr29
	s_and_saveexec_b64 s[40:41], vcc
	s_xor_b64 s[36:37], exec, s[40:41]
	s_cbranch_execz .LBB6_7845
; %bb.7832:                             ;   in Loop: Header=BB6_7619 Depth=4
	v_and_b32_e32 v50, 0x7fffffff, v4
	v_cmp_gt_u64_e32 vcc, s[78:79], v[50:51]
	v_and_b32_sdwa v18, v4, s96 dst_sel:DWORD dst_unused:UNUSED_PAD src0_sel:BYTE_3 src1_sel:DWORD
                                        ; implicit-def: $vgpr29
	s_and_saveexec_b64 s[40:41], vcc
	s_xor_b64 s[38:39], exec, s[40:41]
	s_cbranch_execz .LBB6_7842
; %bb.7833:                             ;   in Loop: Header=BB6_7619 Depth=4
	v_mov_b32_e32 v29, 0
	v_cmp_ne_u32_e32 vcc, 0, v4
	s_and_saveexec_b64 s[48:49], vcc
	s_cbranch_execz .LBB6_7841
; %bb.7834:                             ;   in Loop: Header=BB6_7619 Depth=4
	v_bfe_u32 v19, v4, 23, 8
	v_and_b32_e32 v5, 0x7fffff, v4
	v_cmp_gt_u32_e64 s[40:41], s97, v19
	v_sub_u32_e32 v4, 0x79, v19
	v_cmp_eq_u32_e32 vcc, 0, v19
	v_cndmask_b32_e64 v4, 0, v4, s[40:41]
	v_mov_b32_e32 v9, 0x78
	v_cndmask_b32_e32 v23, v4, v9, vcc
	v_or_b32_e32 v8, 0x800000, v5
	v_add_u32_e32 v4, 20, v23
	v_cndmask_b32_e32 v50, v8, v5, vcc
	v_lshlrev_b64 v[4:5], v4, -1
	v_add_u32_e32 v8, 19, v23
	v_lshlrev_b64 v[8:9], v8, 1
	v_bfi_b32 v5, v5, 0, 0
	v_bfi_b32 v4, v4, 0, v50
	v_cmp_eq_u64_e64 s[40:41], v[4:5], v[8:9]
	v_lshrrev_b64 v[8:9], v23, v[50:51]
	v_mov_b32_e32 v4, v8
	v_mov_b32_e32 v5, v9
	s_and_saveexec_b64 s[50:51], s[40:41]
; %bb.7835:                             ;   in Loop: Header=BB6_7619 Depth=4
	v_bfe_u32 v4, v8, 20, 1
	v_add_co_u32_e64 v4, s[40:41], v8, v4
	v_add_co_u32_e64 v4, s[40:41], -1, v4
; %bb.7836:                             ;   in Loop: Header=BB6_7619 Depth=4
	s_or_b64 exec, exec, s[50:51]
	v_add_u32_e32 v5, 0xffffff81, v19
	v_mov_b32_e32 v9, 0xffffff82
	v_cndmask_b32_e32 v5, v5, v9, vcc
	v_lshrrev_b32_e32 v9, 23, v8
	v_add3_u32 v19, v23, v5, v9
	v_add_u32_e32 v5, 6, v19
	v_and_b32_e32 v4, 0xfffff, v4
	v_add_u32_e32 v50, v4, v8
	v_cmp_ne_u32_e32 vcc, 0, v5
                                        ; implicit-def: $vgpr8_vgpr9
                                        ; implicit-def: $vgpr4
	s_and_saveexec_b64 s[40:41], vcc
	s_xor_b64 s[40:41], exec, s[40:41]
; %bb.7837:                             ;   in Loop: Header=BB6_7619 Depth=4
	v_cmp_lt_u64_e32 vcc, s[88:89], v[50:51]
	v_add_u32_e32 v4, 7, v19
	v_cndmask_b32_e32 v4, v5, v4, vcc
	v_cndmask_b32_e64 v5, 0, 1, vcc
	v_lshrrev_b64 v[8:9], v5, v[50:51]
; %bb.7838:                             ;   in Loop: Header=BB6_7619 Depth=4
	s_andn2_saveexec_b64 s[40:41], s[40:41]
; %bb.7839:                             ;   in Loop: Header=BB6_7619 Depth=4
	v_mov_b32_e32 v8, v50
	v_bfe_u32 v4, v50, 23, 1
	v_mov_b32_e32 v9, v51
; %bb.7840:                             ;   in Loop: Header=BB6_7619 Depth=4
	s_or_b64 exec, exec, s[40:41]
	v_lshrrev_b64 v[8:9], 20, v[8:9]
	v_cmp_gt_i32_e32 vcc, 16, v4
	v_cndmask_b32_e32 v9, 0, v9, vcc
	v_cndmask_b32_e32 v8, 7, v8, vcc
	v_cmp_eq_u32_e32 vcc, 0, v4
	v_min_i32_e32 v4, 15, v4
	v_cmp_eq_u64_e64 s[40:41], 0, v[8:9]
	v_lshlrev_b32_e32 v4, 3, v4
	v_and_b32_e32 v4, 0xf8, v4
	v_and_or_b32 v4, v8, 7, v4
	s_and_b64 s[40:41], vcc, s[40:41]
	v_cndmask_b32_e64 v4, v4, 0, s[40:41]
	v_or_b32_e32 v29, v4, v18
.LBB6_7841:                             ;   in Loop: Header=BB6_7619 Depth=4
	s_or_b64 exec, exec, s[48:49]
                                        ; implicit-def: $vgpr18
.LBB6_7842:                             ;   in Loop: Header=BB6_7619 Depth=4
	s_andn2_saveexec_b64 s[40:41], s[38:39]
; %bb.7843:                             ;   in Loop: Header=BB6_7619 Depth=4
	v_or_b32_e32 v29, 0x7e, v18
; %bb.7844:                             ;   in Loop: Header=BB6_7619 Depth=4
	s_or_b64 exec, exec, s[40:41]
                                        ; implicit-def: $vgpr4
.LBB6_7845:                             ;   in Loop: Header=BB6_7619 Depth=4
	s_andn2_saveexec_b64 s[40:41], s[36:37]
; %bb.7846:                             ;   in Loop: Header=BB6_7619 Depth=4
	v_or_b32_sdwa v29, v4, s86 dst_sel:DWORD dst_unused:UNUSED_PAD src0_sel:BYTE_3 src1_sel:DWORD
; %bb.7847:                             ;   in Loop: Header=BB6_7619 Depth=4
	s_or_b64 exec, exec, s[40:41]
	v_lshrrev_b32_e32 v8, 16, v10
	v_cmp_ne_u16_sdwa vcc, v8, v51 src0_sel:BYTE_0 src1_sel:DWORD
	v_mov_b32_e32 v4, 0
	s_and_saveexec_b64 s[40:41], vcc
	s_cbranch_execz .LBB6_7853
; %bb.7848:                             ;   in Loop: Header=BB6_7619 Depth=4
	v_cmp_ne_u16_sdwa vcc, v8, s96 src0_sel:BYTE_0 src1_sel:DWORD
	v_bfrev_b32_e32 v4, 1
	s_and_saveexec_b64 s[36:37], vcc
	s_cbranch_execz .LBB6_7852
; %bb.7849:                             ;   in Loop: Header=BB6_7619 Depth=4
	v_bfe_u32 v5, v10, 16, 7
	v_cmp_ne_u32_e32 vcc, s86, v5
	v_mov_b32_e32 v4, 0x7f800001
	s_and_saveexec_b64 s[38:39], vcc
	s_cbranch_execz .LBB6_7851
; %bb.7850:                             ;   in Loop: Header=BB6_7619 Depth=4
	v_and_b32_e32 v9, 7, v8
	v_ffbh_u32_e32 v4, v9
	v_min_u32_e32 v19, 32, v4
	v_subrev_u32_e32 v4, 28, v19
	v_lshrrev_b32_e32 v18, 3, v5
	v_cmp_gt_u32_e32 vcc, 8, v5
	v_lshlrev_b64 v[4:5], v4, v[8:9]
	v_sub_u32_e32 v5, 29, v19
	v_and_b32_e32 v4, 7, v4
	v_cndmask_b32_e32 v5, v18, v5, vcc
	v_cndmask_b32_e32 v4, v9, v4, vcc
	v_lshlrev_b32_e32 v8, 24, v8
	v_bfrev_b32_e32 v9, 60
	v_lshlrev_b32_e32 v4, 20, v4
	v_and_b32_e32 v8, 0x80000000, v8
	v_lshl_add_u32 v5, v5, 23, v9
	v_or3_b32 v4, v8, v5, v4
.LBB6_7851:                             ;   in Loop: Header=BB6_7619 Depth=4
	s_or_b64 exec, exec, s[38:39]
.LBB6_7852:                             ;   in Loop: Header=BB6_7619 Depth=4
	s_or_b64 exec, exec, s[36:37]
.LBB6_7853:                             ;   in Loop: Header=BB6_7619 Depth=4
	s_or_b64 exec, exec, s[40:41]
	v_mul_f32_e32 v4, v24, v4
	v_and_b32_e32 v50, 0x7f800000, v4
	v_cmp_ne_u64_e32 vcc, s[76:77], v[50:51]
                                        ; implicit-def: $vgpr32
	s_and_saveexec_b64 s[40:41], vcc
	s_xor_b64 s[36:37], exec, s[40:41]
	s_cbranch_execz .LBB6_7867
; %bb.7854:                             ;   in Loop: Header=BB6_7619 Depth=4
	v_and_b32_e32 v50, 0x7fffffff, v4
	v_cmp_gt_u64_e32 vcc, s[78:79], v[50:51]
	v_and_b32_sdwa v18, v4, s96 dst_sel:DWORD dst_unused:UNUSED_PAD src0_sel:BYTE_3 src1_sel:DWORD
                                        ; implicit-def: $vgpr32
	s_and_saveexec_b64 s[40:41], vcc
	s_xor_b64 s[38:39], exec, s[40:41]
	s_cbranch_execz .LBB6_7864
; %bb.7855:                             ;   in Loop: Header=BB6_7619 Depth=4
	v_mov_b32_e32 v32, 0
	v_cmp_ne_u32_e32 vcc, 0, v4
	s_and_saveexec_b64 s[48:49], vcc
	s_cbranch_execz .LBB6_7863
; %bb.7856:                             ;   in Loop: Header=BB6_7619 Depth=4
	v_bfe_u32 v19, v4, 23, 8
	v_and_b32_e32 v5, 0x7fffff, v4
	v_cmp_gt_u32_e64 s[40:41], s97, v19
	v_sub_u32_e32 v4, 0x79, v19
	v_cmp_eq_u32_e32 vcc, 0, v19
	v_cndmask_b32_e64 v4, 0, v4, s[40:41]
	v_mov_b32_e32 v9, 0x78
	v_cndmask_b32_e32 v23, v4, v9, vcc
	v_or_b32_e32 v8, 0x800000, v5
	v_add_u32_e32 v4, 20, v23
	v_cndmask_b32_e32 v50, v8, v5, vcc
	v_lshlrev_b64 v[4:5], v4, -1
	v_add_u32_e32 v8, 19, v23
	v_lshlrev_b64 v[8:9], v8, 1
	v_bfi_b32 v5, v5, 0, 0
	v_bfi_b32 v4, v4, 0, v50
	v_cmp_eq_u64_e64 s[40:41], v[4:5], v[8:9]
	v_lshrrev_b64 v[8:9], v23, v[50:51]
	v_mov_b32_e32 v4, v8
	v_mov_b32_e32 v5, v9
	s_and_saveexec_b64 s[50:51], s[40:41]
; %bb.7857:                             ;   in Loop: Header=BB6_7619 Depth=4
	v_bfe_u32 v4, v8, 20, 1
	v_add_co_u32_e64 v4, s[40:41], v8, v4
	v_add_co_u32_e64 v4, s[40:41], -1, v4
; %bb.7858:                             ;   in Loop: Header=BB6_7619 Depth=4
	s_or_b64 exec, exec, s[50:51]
	v_add_u32_e32 v5, 0xffffff81, v19
	v_mov_b32_e32 v9, 0xffffff82
	v_cndmask_b32_e32 v5, v5, v9, vcc
	v_lshrrev_b32_e32 v9, 23, v8
	v_add3_u32 v19, v23, v5, v9
	v_add_u32_e32 v5, 6, v19
	v_and_b32_e32 v4, 0xfffff, v4
	v_add_u32_e32 v50, v4, v8
	v_cmp_ne_u32_e32 vcc, 0, v5
                                        ; implicit-def: $vgpr8_vgpr9
                                        ; implicit-def: $vgpr4
	s_and_saveexec_b64 s[40:41], vcc
	s_xor_b64 s[40:41], exec, s[40:41]
; %bb.7859:                             ;   in Loop: Header=BB6_7619 Depth=4
	v_cmp_lt_u64_e32 vcc, s[88:89], v[50:51]
	v_add_u32_e32 v4, 7, v19
	v_cndmask_b32_e32 v4, v5, v4, vcc
	v_cndmask_b32_e64 v5, 0, 1, vcc
	v_lshrrev_b64 v[8:9], v5, v[50:51]
; %bb.7860:                             ;   in Loop: Header=BB6_7619 Depth=4
	s_andn2_saveexec_b64 s[40:41], s[40:41]
; %bb.7861:                             ;   in Loop: Header=BB6_7619 Depth=4
	v_mov_b32_e32 v8, v50
	v_bfe_u32 v4, v50, 23, 1
	v_mov_b32_e32 v9, v51
; %bb.7862:                             ;   in Loop: Header=BB6_7619 Depth=4
	s_or_b64 exec, exec, s[40:41]
	v_lshrrev_b64 v[8:9], 20, v[8:9]
	v_cmp_gt_i32_e32 vcc, 16, v4
	v_cndmask_b32_e32 v9, 0, v9, vcc
	v_cndmask_b32_e32 v8, 7, v8, vcc
	v_cmp_eq_u32_e32 vcc, 0, v4
	v_min_i32_e32 v4, 15, v4
	v_cmp_eq_u64_e64 s[40:41], 0, v[8:9]
	v_lshlrev_b32_e32 v4, 3, v4
	v_and_b32_e32 v4, 0xf8, v4
	v_and_or_b32 v4, v8, 7, v4
	s_and_b64 s[40:41], vcc, s[40:41]
	v_cndmask_b32_e64 v4, v4, 0, s[40:41]
	v_or_b32_e32 v32, v4, v18
.LBB6_7863:                             ;   in Loop: Header=BB6_7619 Depth=4
	s_or_b64 exec, exec, s[48:49]
                                        ; implicit-def: $vgpr18
.LBB6_7864:                             ;   in Loop: Header=BB6_7619 Depth=4
	s_andn2_saveexec_b64 s[40:41], s[38:39]
; %bb.7865:                             ;   in Loop: Header=BB6_7619 Depth=4
	v_or_b32_e32 v32, 0x7e, v18
; %bb.7866:                             ;   in Loop: Header=BB6_7619 Depth=4
	s_or_b64 exec, exec, s[40:41]
                                        ; implicit-def: $vgpr4
.LBB6_7867:                             ;   in Loop: Header=BB6_7619 Depth=4
	s_andn2_saveexec_b64 s[40:41], s[36:37]
; %bb.7868:                             ;   in Loop: Header=BB6_7619 Depth=4
	v_or_b32_sdwa v32, v4, s86 dst_sel:DWORD dst_unused:UNUSED_PAD src0_sel:BYTE_3 src1_sel:DWORD
; %bb.7869:                             ;   in Loop: Header=BB6_7619 Depth=4
	s_or_b64 exec, exec, s[40:41]
	v_cmp_lt_u32_e32 vcc, s57, v10
	v_mov_b32_e32 v4, 0
	s_and_saveexec_b64 s[40:41], vcc
	s_cbranch_execz .LBB6_7875
; %bb.7870:                             ;   in Loop: Header=BB6_7619 Depth=4
	v_lshrrev_b32_e32 v8, 24, v10
	v_cmp_ne_u32_e32 vcc, s96, v8
	v_bfrev_b32_e32 v4, 1
	s_and_saveexec_b64 s[36:37], vcc
	s_cbranch_execz .LBB6_7874
; %bb.7871:                             ;   in Loop: Header=BB6_7619 Depth=4
	v_bfe_u32 v5, v10, 24, 7
	v_cmp_ne_u32_e32 vcc, s86, v5
	v_mov_b32_e32 v4, 0x7f800001
	s_and_saveexec_b64 s[38:39], vcc
	s_cbranch_execz .LBB6_7873
; %bb.7872:                             ;   in Loop: Header=BB6_7619 Depth=4
	v_and_b32_e32 v9, 7, v8
	v_ffbh_u32_e32 v4, v9
	v_min_u32_e32 v19, 32, v4
	v_subrev_u32_e32 v4, 28, v19
	v_lshrrev_b32_e32 v18, 3, v5
	v_cmp_gt_u32_e32 vcc, 8, v5
	v_lshlrev_b64 v[4:5], v4, v[8:9]
	v_sub_u32_e32 v5, 29, v19
	v_and_b32_e32 v4, 7, v4
	v_cndmask_b32_e32 v5, v18, v5, vcc
	v_cndmask_b32_e32 v4, v9, v4, vcc
	v_lshlrev_b32_e32 v8, 24, v8
	v_bfrev_b32_e32 v9, 60
	v_lshlrev_b32_e32 v4, 20, v4
	v_and_b32_e32 v8, 0x80000000, v8
	v_lshl_add_u32 v5, v5, 23, v9
	v_or3_b32 v4, v8, v5, v4
.LBB6_7873:                             ;   in Loop: Header=BB6_7619 Depth=4
	s_or_b64 exec, exec, s[38:39]
.LBB6_7874:                             ;   in Loop: Header=BB6_7619 Depth=4
	s_or_b64 exec, exec, s[36:37]
.LBB6_7875:                             ;   in Loop: Header=BB6_7619 Depth=4
	s_or_b64 exec, exec, s[40:41]
	v_mul_f32_e32 v4, v24, v4
	v_and_b32_e32 v50, 0x7f800000, v4
	v_cmp_ne_u64_e32 vcc, s[76:77], v[50:51]
                                        ; implicit-def: $vgpr34
	s_and_saveexec_b64 s[40:41], vcc
	s_xor_b64 s[36:37], exec, s[40:41]
	s_cbranch_execz .LBB6_7889
; %bb.7876:                             ;   in Loop: Header=BB6_7619 Depth=4
	v_and_b32_e32 v50, 0x7fffffff, v4
	v_cmp_gt_u64_e32 vcc, s[78:79], v[50:51]
	v_and_b32_sdwa v18, v4, s96 dst_sel:DWORD dst_unused:UNUSED_PAD src0_sel:BYTE_3 src1_sel:DWORD
                                        ; implicit-def: $vgpr34
	s_and_saveexec_b64 s[40:41], vcc
	s_xor_b64 s[38:39], exec, s[40:41]
	s_cbranch_execz .LBB6_7886
; %bb.7877:                             ;   in Loop: Header=BB6_7619 Depth=4
	v_mov_b32_e32 v34, 0
	v_cmp_ne_u32_e32 vcc, 0, v4
	s_and_saveexec_b64 s[48:49], vcc
	s_cbranch_execz .LBB6_7885
; %bb.7878:                             ;   in Loop: Header=BB6_7619 Depth=4
	v_bfe_u32 v19, v4, 23, 8
	v_and_b32_e32 v5, 0x7fffff, v4
	v_cmp_gt_u32_e64 s[40:41], s97, v19
	v_sub_u32_e32 v4, 0x79, v19
	v_cmp_eq_u32_e32 vcc, 0, v19
	v_cndmask_b32_e64 v4, 0, v4, s[40:41]
	v_mov_b32_e32 v9, 0x78
	v_cndmask_b32_e32 v23, v4, v9, vcc
	v_or_b32_e32 v8, 0x800000, v5
	v_add_u32_e32 v4, 20, v23
	v_cndmask_b32_e32 v50, v8, v5, vcc
	v_lshlrev_b64 v[4:5], v4, -1
	v_add_u32_e32 v8, 19, v23
	v_lshlrev_b64 v[8:9], v8, 1
	v_bfi_b32 v5, v5, 0, 0
	v_bfi_b32 v4, v4, 0, v50
	v_cmp_eq_u64_e64 s[40:41], v[4:5], v[8:9]
	v_lshrrev_b64 v[8:9], v23, v[50:51]
	v_mov_b32_e32 v4, v8
	v_mov_b32_e32 v5, v9
	s_and_saveexec_b64 s[50:51], s[40:41]
; %bb.7879:                             ;   in Loop: Header=BB6_7619 Depth=4
	v_bfe_u32 v4, v8, 20, 1
	v_add_co_u32_e64 v4, s[40:41], v8, v4
	v_add_co_u32_e64 v4, s[40:41], -1, v4
; %bb.7880:                             ;   in Loop: Header=BB6_7619 Depth=4
	s_or_b64 exec, exec, s[50:51]
	v_add_u32_e32 v5, 0xffffff81, v19
	v_mov_b32_e32 v9, 0xffffff82
	v_cndmask_b32_e32 v5, v5, v9, vcc
	v_lshrrev_b32_e32 v9, 23, v8
	v_add3_u32 v19, v23, v5, v9
	v_add_u32_e32 v5, 6, v19
	v_and_b32_e32 v4, 0xfffff, v4
	v_add_u32_e32 v50, v4, v8
	v_cmp_ne_u32_e32 vcc, 0, v5
                                        ; implicit-def: $vgpr8_vgpr9
                                        ; implicit-def: $vgpr4
	s_and_saveexec_b64 s[40:41], vcc
	s_xor_b64 s[40:41], exec, s[40:41]
; %bb.7881:                             ;   in Loop: Header=BB6_7619 Depth=4
	v_cmp_lt_u64_e32 vcc, s[88:89], v[50:51]
	v_add_u32_e32 v4, 7, v19
	v_cndmask_b32_e32 v4, v5, v4, vcc
	v_cndmask_b32_e64 v5, 0, 1, vcc
	v_lshrrev_b64 v[8:9], v5, v[50:51]
; %bb.7882:                             ;   in Loop: Header=BB6_7619 Depth=4
	s_andn2_saveexec_b64 s[40:41], s[40:41]
; %bb.7883:                             ;   in Loop: Header=BB6_7619 Depth=4
	v_mov_b32_e32 v8, v50
	v_bfe_u32 v4, v50, 23, 1
	v_mov_b32_e32 v9, v51
; %bb.7884:                             ;   in Loop: Header=BB6_7619 Depth=4
	s_or_b64 exec, exec, s[40:41]
	v_lshrrev_b64 v[8:9], 20, v[8:9]
	v_cmp_gt_i32_e32 vcc, 16, v4
	v_cndmask_b32_e32 v9, 0, v9, vcc
	v_cndmask_b32_e32 v8, 7, v8, vcc
	v_cmp_eq_u32_e32 vcc, 0, v4
	v_min_i32_e32 v4, 15, v4
	v_cmp_eq_u64_e64 s[40:41], 0, v[8:9]
	v_lshlrev_b32_e32 v4, 3, v4
	v_and_b32_e32 v4, 0xf8, v4
	v_and_or_b32 v4, v8, 7, v4
	s_and_b64 s[40:41], vcc, s[40:41]
	v_cndmask_b32_e64 v4, v4, 0, s[40:41]
	v_or_b32_e32 v34, v4, v18
.LBB6_7885:                             ;   in Loop: Header=BB6_7619 Depth=4
	s_or_b64 exec, exec, s[48:49]
                                        ; implicit-def: $vgpr18
.LBB6_7886:                             ;   in Loop: Header=BB6_7619 Depth=4
	s_andn2_saveexec_b64 s[40:41], s[38:39]
; %bb.7887:                             ;   in Loop: Header=BB6_7619 Depth=4
	v_or_b32_e32 v34, 0x7e, v18
; %bb.7888:                             ;   in Loop: Header=BB6_7619 Depth=4
	s_or_b64 exec, exec, s[40:41]
                                        ; implicit-def: $vgpr4
.LBB6_7889:                             ;   in Loop: Header=BB6_7619 Depth=4
	s_andn2_saveexec_b64 s[40:41], s[36:37]
; %bb.7890:                             ;   in Loop: Header=BB6_7619 Depth=4
	v_or_b32_sdwa v34, v4, s86 dst_sel:DWORD dst_unused:UNUSED_PAD src0_sel:BYTE_3 src1_sel:DWORD
; %bb.7891:                             ;   in Loop: Header=BB6_7619 Depth=4
	s_or_b64 exec, exec, s[40:41]
	v_mov_b32_e32 v50, v11
	v_cmp_ne_u16_sdwa vcc, v11, v51 src0_sel:BYTE_0 src1_sel:DWORD
	v_mov_b32_e32 v4, 0
	s_and_saveexec_b64 s[40:41], vcc
	s_cbranch_execz .LBB6_7897
; %bb.7892:                             ;   in Loop: Header=BB6_7619 Depth=4
	v_cmp_ne_u16_sdwa vcc, v11, s96 src0_sel:BYTE_0 src1_sel:DWORD
	v_bfrev_b32_e32 v4, 1
	s_and_saveexec_b64 s[36:37], vcc
	s_cbranch_execz .LBB6_7896
; %bb.7893:                             ;   in Loop: Header=BB6_7619 Depth=4
	v_and_b32_e32 v5, 0x7f, v11
	v_cmp_ne_u32_e32 vcc, s86, v5
	v_mov_b32_e32 v4, 0x7f800001
	s_and_saveexec_b64 s[38:39], vcc
	s_cbranch_execz .LBB6_7895
; %bb.7894:                             ;   in Loop: Header=BB6_7619 Depth=4
	v_and_b32_e32 v4, 7, v11
	v_ffbh_u32_e32 v4, v4
	v_min_u32_e32 v4, 32, v4
	v_lshrrev_b32_e32 v8, 3, v5
	v_cmp_gt_u32_e32 vcc, 8, v5
	v_subrev_u32_e32 v5, 28, v4
	v_sub_u32_e32 v4, 29, v4
	v_cndmask_b32_e32 v8, v8, v4, vcc
	v_cndmask_b32_e32 v4, 0, v5, vcc
	v_lshlrev_b64 v[4:5], v4, v[50:51]
	v_lshlrev_b32_e32 v5, 24, v50
	v_lshlrev_b32_e32 v4, 20, v4
	v_bfrev_b32_e32 v9, 60
	v_and_b32_e32 v4, 0x700000, v4
	v_and_b32_e32 v5, 0x80000000, v5
	v_lshl_add_u32 v8, v8, 23, v9
	v_or3_b32 v4, v5, v8, v4
.LBB6_7895:                             ;   in Loop: Header=BB6_7619 Depth=4
	s_or_b64 exec, exec, s[38:39]
.LBB6_7896:                             ;   in Loop: Header=BB6_7619 Depth=4
	s_or_b64 exec, exec, s[36:37]
.LBB6_7897:                             ;   in Loop: Header=BB6_7619 Depth=4
	s_or_b64 exec, exec, s[40:41]
	v_mul_f32_e32 v4, v24, v4
	v_and_b32_e32 v8, 0x7f800000, v4
	v_mov_b32_e32 v9, v51
	v_cmp_ne_u64_e32 vcc, s[76:77], v[8:9]
                                        ; implicit-def: $vgpr23
	s_and_saveexec_b64 s[40:41], vcc
	s_xor_b64 s[36:37], exec, s[40:41]
	s_cbranch_execz .LBB6_7911
; %bb.7898:                             ;   in Loop: Header=BB6_7619 Depth=4
	v_and_b32_e32 v8, 0x7fffffff, v4
	v_mov_b32_e32 v9, v51
	v_cmp_gt_u64_e32 vcc, s[78:79], v[8:9]
	v_and_b32_sdwa v18, v4, s96 dst_sel:DWORD dst_unused:UNUSED_PAD src0_sel:BYTE_3 src1_sel:DWORD
                                        ; implicit-def: $vgpr23
	s_and_saveexec_b64 s[40:41], vcc
	s_xor_b64 s[38:39], exec, s[40:41]
	s_cbranch_execz .LBB6_7908
; %bb.7899:                             ;   in Loop: Header=BB6_7619 Depth=4
	v_mov_b32_e32 v23, 0
	v_cmp_ne_u32_e32 vcc, 0, v4
	s_and_saveexec_b64 s[48:49], vcc
	s_cbranch_execz .LBB6_7907
; %bb.7900:                             ;   in Loop: Header=BB6_7619 Depth=4
	v_bfe_u32 v19, v4, 23, 8
	v_and_b32_e32 v5, 0x7fffff, v4
	v_cmp_gt_u32_e64 s[40:41], s97, v19
	v_sub_u32_e32 v4, 0x79, v19
	v_cmp_eq_u32_e32 vcc, 0, v19
	v_cndmask_b32_e64 v4, 0, v4, s[40:41]
	v_mov_b32_e32 v9, 0x78
	v_or_b32_e32 v8, 0x800000, v5
	v_cndmask_b32_e32 v23, v4, v9, vcc
	v_cndmask_b32_e32 v4, v8, v5, vcc
	v_add_u32_e32 v8, 20, v23
	v_lshlrev_b64 v[8:9], v8, -1
	v_add_u32_e32 v26, 19, v23
	v_lshlrev_b64 v[38:39], v26, 1
	v_mov_b32_e32 v5, v51
	v_bfi_b32 v9, v9, 0, 0
	v_bfi_b32 v8, v8, 0, v4
	v_cmp_eq_u64_e64 s[40:41], v[8:9], v[38:39]
	v_lshrrev_b64 v[8:9], v23, v[4:5]
	v_mov_b32_e32 v4, v8
	v_mov_b32_e32 v5, v9
	s_and_saveexec_b64 s[50:51], s[40:41]
; %bb.7901:                             ;   in Loop: Header=BB6_7619 Depth=4
	v_bfe_u32 v4, v8, 20, 1
	v_add_co_u32_e64 v4, s[40:41], v8, v4
	v_add_co_u32_e64 v4, s[40:41], -1, v4
; %bb.7902:                             ;   in Loop: Header=BB6_7619 Depth=4
	s_or_b64 exec, exec, s[50:51]
	v_add_u32_e32 v5, 0xffffff81, v19
	v_mov_b32_e32 v9, 0xffffff82
	v_cndmask_b32_e32 v5, v5, v9, vcc
	v_lshrrev_b32_e32 v9, 23, v8
	v_add3_u32 v19, v23, v5, v9
	v_add_u32_e32 v5, 6, v19
	v_and_b32_e32 v4, 0xfffff, v4
	v_add_u32_e32 v8, v4, v8
	v_mov_b32_e32 v9, v51
	v_cmp_ne_u32_e32 vcc, 0, v5
                                        ; implicit-def: $vgpr4
	s_and_saveexec_b64 s[40:41], vcc
	s_xor_b64 s[40:41], exec, s[40:41]
; %bb.7903:                             ;   in Loop: Header=BB6_7619 Depth=4
	v_cmp_lt_u64_e32 vcc, s[88:89], v[8:9]
	v_add_u32_e32 v4, 7, v19
	v_cndmask_b32_e32 v4, v5, v4, vcc
	v_cndmask_b32_e64 v5, 0, 1, vcc
	v_lshrrev_b64 v[8:9], v5, v[8:9]
; %bb.7904:                             ;   in Loop: Header=BB6_7619 Depth=4
	s_andn2_saveexec_b64 s[40:41], s[40:41]
; %bb.7905:                             ;   in Loop: Header=BB6_7619 Depth=4
	v_bfe_u32 v4, v8, 23, 1
; %bb.7906:                             ;   in Loop: Header=BB6_7619 Depth=4
	s_or_b64 exec, exec, s[40:41]
	v_lshrrev_b64 v[8:9], 20, v[8:9]
	v_cmp_gt_i32_e32 vcc, 16, v4
	v_cndmask_b32_e32 v9, 0, v9, vcc
	v_cndmask_b32_e32 v8, 7, v8, vcc
	v_cmp_eq_u32_e32 vcc, 0, v4
	v_min_i32_e32 v4, 15, v4
	v_cmp_eq_u64_e64 s[40:41], 0, v[8:9]
	v_lshlrev_b32_e32 v4, 3, v4
	v_and_b32_e32 v4, 0xf8, v4
	v_and_or_b32 v4, v8, 7, v4
	s_and_b64 s[40:41], vcc, s[40:41]
	v_cndmask_b32_e64 v4, v4, 0, s[40:41]
	v_or_b32_e32 v23, v4, v18
.LBB6_7907:                             ;   in Loop: Header=BB6_7619 Depth=4
	s_or_b64 exec, exec, s[48:49]
                                        ; implicit-def: $vgpr18
.LBB6_7908:                             ;   in Loop: Header=BB6_7619 Depth=4
	s_andn2_saveexec_b64 s[40:41], s[38:39]
; %bb.7909:                             ;   in Loop: Header=BB6_7619 Depth=4
	v_or_b32_e32 v23, 0x7e, v18
; %bb.7910:                             ;   in Loop: Header=BB6_7619 Depth=4
	s_or_b64 exec, exec, s[40:41]
                                        ; implicit-def: $vgpr4
.LBB6_7911:                             ;   in Loop: Header=BB6_7619 Depth=4
	s_andn2_saveexec_b64 s[40:41], s[36:37]
; %bb.7912:                             ;   in Loop: Header=BB6_7619 Depth=4
	v_or_b32_sdwa v23, v4, s86 dst_sel:DWORD dst_unused:UNUSED_PAD src0_sel:BYTE_3 src1_sel:DWORD
; %bb.7913:                             ;   in Loop: Header=BB6_7619 Depth=4
	s_or_b64 exec, exec, s[40:41]
	v_lshrrev_b16_e32 v8, 8, v50
	v_cmp_ne_u16_e32 vcc, 0, v8
	v_mov_b32_e32 v4, 0
	s_and_saveexec_b64 s[40:41], vcc
	s_cbranch_execz .LBB6_7919
; %bb.7914:                             ;   in Loop: Header=BB6_7619 Depth=4
	v_cmp_ne_u16_e32 vcc, s96, v8
	v_bfrev_b32_e32 v4, 1
	s_and_saveexec_b64 s[36:37], vcc
	s_cbranch_execz .LBB6_7918
; %bb.7915:                             ;   in Loop: Header=BB6_7619 Depth=4
	v_and_b32_e32 v5, 0x7f, v8
	v_cmp_ne_u32_e32 vcc, s86, v5
	v_mov_b32_e32 v4, 0x7f800001
	s_and_saveexec_b64 s[38:39], vcc
	s_cbranch_execz .LBB6_7917
; %bb.7916:                             ;   in Loop: Header=BB6_7619 Depth=4
	v_and_b32_e32 v9, 7, v8
	v_ffbh_u32_e32 v4, v9
	v_min_u32_e32 v19, 32, v4
	v_subrev_u32_e32 v4, 28, v19
	v_lshrrev_b32_e32 v18, 3, v5
	v_cmp_gt_u32_e32 vcc, 8, v5
	v_lshlrev_b64 v[4:5], v4, v[8:9]
	v_sub_u32_e32 v5, 29, v19
	v_and_b32_e32 v4, 7, v4
	v_cndmask_b32_e32 v5, v18, v5, vcc
	v_cndmask_b32_e32 v4, v9, v4, vcc
	v_lshlrev_b32_e32 v8, 16, v50
	v_bfrev_b32_e32 v9, 60
	v_lshlrev_b32_e32 v4, 20, v4
	v_and_b32_e32 v8, 0x80000000, v8
	v_lshl_add_u32 v5, v5, 23, v9
	v_or3_b32 v4, v8, v5, v4
.LBB6_7917:                             ;   in Loop: Header=BB6_7619 Depth=4
	s_or_b64 exec, exec, s[38:39]
.LBB6_7918:                             ;   in Loop: Header=BB6_7619 Depth=4
	s_or_b64 exec, exec, s[36:37]
.LBB6_7919:                             ;   in Loop: Header=BB6_7619 Depth=4
	s_or_b64 exec, exec, s[40:41]
	v_mul_f32_e32 v4, v24, v4
	v_and_b32_e32 v50, 0x7f800000, v4
	v_cmp_ne_u64_e32 vcc, s[76:77], v[50:51]
                                        ; implicit-def: $vgpr26
	s_and_saveexec_b64 s[40:41], vcc
	s_xor_b64 s[36:37], exec, s[40:41]
	s_cbranch_execz .LBB6_7933
; %bb.7920:                             ;   in Loop: Header=BB6_7619 Depth=4
	v_and_b32_e32 v50, 0x7fffffff, v4
	v_cmp_gt_u64_e32 vcc, s[78:79], v[50:51]
	v_and_b32_sdwa v18, v4, s96 dst_sel:DWORD dst_unused:UNUSED_PAD src0_sel:BYTE_3 src1_sel:DWORD
                                        ; implicit-def: $vgpr26
	s_and_saveexec_b64 s[40:41], vcc
	s_xor_b64 s[38:39], exec, s[40:41]
	s_cbranch_execz .LBB6_7930
; %bb.7921:                             ;   in Loop: Header=BB6_7619 Depth=4
	v_mov_b32_e32 v26, 0
	v_cmp_ne_u32_e32 vcc, 0, v4
	s_and_saveexec_b64 s[48:49], vcc
	s_cbranch_execz .LBB6_7929
; %bb.7922:                             ;   in Loop: Header=BB6_7619 Depth=4
	v_bfe_u32 v19, v4, 23, 8
	v_and_b32_e32 v5, 0x7fffff, v4
	v_cmp_gt_u32_e64 s[40:41], s97, v19
	v_sub_u32_e32 v4, 0x79, v19
	v_cmp_eq_u32_e32 vcc, 0, v19
	v_cndmask_b32_e64 v4, 0, v4, s[40:41]
	v_mov_b32_e32 v9, 0x78
	v_cndmask_b32_e32 v26, v4, v9, vcc
	v_or_b32_e32 v8, 0x800000, v5
	v_add_u32_e32 v4, 20, v26
	v_cndmask_b32_e32 v50, v8, v5, vcc
	v_lshlrev_b64 v[4:5], v4, -1
	v_add_u32_e32 v8, 19, v26
	v_lshlrev_b64 v[8:9], v8, 1
	v_bfi_b32 v5, v5, 0, 0
	v_bfi_b32 v4, v4, 0, v50
	v_cmp_eq_u64_e64 s[40:41], v[4:5], v[8:9]
	v_lshrrev_b64 v[8:9], v26, v[50:51]
	v_mov_b32_e32 v4, v8
	v_mov_b32_e32 v5, v9
	s_and_saveexec_b64 s[50:51], s[40:41]
; %bb.7923:                             ;   in Loop: Header=BB6_7619 Depth=4
	v_bfe_u32 v4, v8, 20, 1
	v_add_co_u32_e64 v4, s[40:41], v8, v4
	v_add_co_u32_e64 v4, s[40:41], -1, v4
; %bb.7924:                             ;   in Loop: Header=BB6_7619 Depth=4
	s_or_b64 exec, exec, s[50:51]
	v_add_u32_e32 v5, 0xffffff81, v19
	v_mov_b32_e32 v9, 0xffffff82
	v_cndmask_b32_e32 v5, v5, v9, vcc
	v_lshrrev_b32_e32 v9, 23, v8
	v_add3_u32 v19, v26, v5, v9
	v_add_u32_e32 v5, 6, v19
	v_and_b32_e32 v4, 0xfffff, v4
	v_add_u32_e32 v50, v4, v8
	v_cmp_ne_u32_e32 vcc, 0, v5
                                        ; implicit-def: $vgpr8_vgpr9
                                        ; implicit-def: $vgpr4
	s_and_saveexec_b64 s[40:41], vcc
	s_xor_b64 s[40:41], exec, s[40:41]
; %bb.7925:                             ;   in Loop: Header=BB6_7619 Depth=4
	v_cmp_lt_u64_e32 vcc, s[88:89], v[50:51]
	v_add_u32_e32 v4, 7, v19
	v_cndmask_b32_e32 v4, v5, v4, vcc
	v_cndmask_b32_e64 v5, 0, 1, vcc
	v_lshrrev_b64 v[8:9], v5, v[50:51]
; %bb.7926:                             ;   in Loop: Header=BB6_7619 Depth=4
	s_andn2_saveexec_b64 s[40:41], s[40:41]
; %bb.7927:                             ;   in Loop: Header=BB6_7619 Depth=4
	v_mov_b32_e32 v8, v50
	v_bfe_u32 v4, v50, 23, 1
	v_mov_b32_e32 v9, v51
; %bb.7928:                             ;   in Loop: Header=BB6_7619 Depth=4
	s_or_b64 exec, exec, s[40:41]
	v_lshrrev_b64 v[8:9], 20, v[8:9]
	v_cmp_gt_i32_e32 vcc, 16, v4
	v_cndmask_b32_e32 v9, 0, v9, vcc
	v_cndmask_b32_e32 v8, 7, v8, vcc
	v_cmp_eq_u32_e32 vcc, 0, v4
	v_min_i32_e32 v4, 15, v4
	v_cmp_eq_u64_e64 s[40:41], 0, v[8:9]
	v_lshlrev_b32_e32 v4, 3, v4
	v_and_b32_e32 v4, 0xf8, v4
	v_and_or_b32 v4, v8, 7, v4
	s_and_b64 s[40:41], vcc, s[40:41]
	v_cndmask_b32_e64 v4, v4, 0, s[40:41]
	v_or_b32_e32 v26, v4, v18
.LBB6_7929:                             ;   in Loop: Header=BB6_7619 Depth=4
	s_or_b64 exec, exec, s[48:49]
                                        ; implicit-def: $vgpr18
.LBB6_7930:                             ;   in Loop: Header=BB6_7619 Depth=4
	s_andn2_saveexec_b64 s[40:41], s[38:39]
; %bb.7931:                             ;   in Loop: Header=BB6_7619 Depth=4
	v_or_b32_e32 v26, 0x7e, v18
; %bb.7932:                             ;   in Loop: Header=BB6_7619 Depth=4
	s_or_b64 exec, exec, s[40:41]
                                        ; implicit-def: $vgpr4
.LBB6_7933:                             ;   in Loop: Header=BB6_7619 Depth=4
	s_andn2_saveexec_b64 s[40:41], s[36:37]
; %bb.7934:                             ;   in Loop: Header=BB6_7619 Depth=4
	v_or_b32_sdwa v26, v4, s86 dst_sel:DWORD dst_unused:UNUSED_PAD src0_sel:BYTE_3 src1_sel:DWORD
; %bb.7935:                             ;   in Loop: Header=BB6_7619 Depth=4
	s_or_b64 exec, exec, s[40:41]
	v_lshrrev_b32_e32 v8, 16, v11
	v_cmp_ne_u16_sdwa vcc, v8, v51 src0_sel:BYTE_0 src1_sel:DWORD
	v_mov_b32_e32 v4, 0
	s_and_saveexec_b64 s[40:41], vcc
	s_cbranch_execz .LBB6_7941
; %bb.7936:                             ;   in Loop: Header=BB6_7619 Depth=4
	v_cmp_ne_u16_sdwa vcc, v8, s96 src0_sel:BYTE_0 src1_sel:DWORD
	v_bfrev_b32_e32 v4, 1
	s_and_saveexec_b64 s[36:37], vcc
	s_cbranch_execz .LBB6_7940
; %bb.7937:                             ;   in Loop: Header=BB6_7619 Depth=4
	v_bfe_u32 v5, v11, 16, 7
	v_cmp_ne_u32_e32 vcc, s86, v5
	v_mov_b32_e32 v4, 0x7f800001
	s_and_saveexec_b64 s[38:39], vcc
	s_cbranch_execz .LBB6_7939
; %bb.7938:                             ;   in Loop: Header=BB6_7619 Depth=4
	v_and_b32_e32 v9, 7, v8
	v_ffbh_u32_e32 v4, v9
	v_min_u32_e32 v19, 32, v4
	v_subrev_u32_e32 v4, 28, v19
	v_lshrrev_b32_e32 v18, 3, v5
	v_cmp_gt_u32_e32 vcc, 8, v5
	v_lshlrev_b64 v[4:5], v4, v[8:9]
	v_sub_u32_e32 v5, 29, v19
	v_and_b32_e32 v4, 7, v4
	v_cndmask_b32_e32 v5, v18, v5, vcc
	v_cndmask_b32_e32 v4, v9, v4, vcc
	v_lshlrev_b32_e32 v8, 24, v8
	v_bfrev_b32_e32 v9, 60
	v_lshlrev_b32_e32 v4, 20, v4
	v_and_b32_e32 v8, 0x80000000, v8
	v_lshl_add_u32 v5, v5, 23, v9
	v_or3_b32 v4, v8, v5, v4
.LBB6_7939:                             ;   in Loop: Header=BB6_7619 Depth=4
	s_or_b64 exec, exec, s[38:39]
.LBB6_7940:                             ;   in Loop: Header=BB6_7619 Depth=4
	s_or_b64 exec, exec, s[36:37]
.LBB6_7941:                             ;   in Loop: Header=BB6_7619 Depth=4
	s_or_b64 exec, exec, s[40:41]
	v_mul_f32_e32 v4, v24, v4
	v_and_b32_e32 v50, 0x7f800000, v4
	v_cmp_ne_u64_e32 vcc, s[76:77], v[50:51]
                                        ; implicit-def: $vgpr28
	s_and_saveexec_b64 s[40:41], vcc
	s_xor_b64 s[36:37], exec, s[40:41]
	s_cbranch_execz .LBB6_7955
; %bb.7942:                             ;   in Loop: Header=BB6_7619 Depth=4
	v_and_b32_e32 v50, 0x7fffffff, v4
	v_cmp_gt_u64_e32 vcc, s[78:79], v[50:51]
	v_and_b32_sdwa v18, v4, s96 dst_sel:DWORD dst_unused:UNUSED_PAD src0_sel:BYTE_3 src1_sel:DWORD
                                        ; implicit-def: $vgpr28
	s_and_saveexec_b64 s[40:41], vcc
	s_xor_b64 s[38:39], exec, s[40:41]
	s_cbranch_execz .LBB6_7952
; %bb.7943:                             ;   in Loop: Header=BB6_7619 Depth=4
	v_mov_b32_e32 v28, 0
	v_cmp_ne_u32_e32 vcc, 0, v4
	s_and_saveexec_b64 s[48:49], vcc
	s_cbranch_execz .LBB6_7951
; %bb.7944:                             ;   in Loop: Header=BB6_7619 Depth=4
	v_bfe_u32 v19, v4, 23, 8
	v_and_b32_e32 v5, 0x7fffff, v4
	v_cmp_gt_u32_e64 s[40:41], s97, v19
	v_sub_u32_e32 v4, 0x79, v19
	v_cmp_eq_u32_e32 vcc, 0, v19
	v_cndmask_b32_e64 v4, 0, v4, s[40:41]
	v_mov_b32_e32 v9, 0x78
	v_cndmask_b32_e32 v28, v4, v9, vcc
	v_or_b32_e32 v8, 0x800000, v5
	v_add_u32_e32 v4, 20, v28
	v_cndmask_b32_e32 v50, v8, v5, vcc
	v_lshlrev_b64 v[4:5], v4, -1
	v_add_u32_e32 v8, 19, v28
	v_lshlrev_b64 v[8:9], v8, 1
	v_bfi_b32 v5, v5, 0, 0
	v_bfi_b32 v4, v4, 0, v50
	v_cmp_eq_u64_e64 s[40:41], v[4:5], v[8:9]
	v_lshrrev_b64 v[8:9], v28, v[50:51]
	v_mov_b32_e32 v4, v8
	v_mov_b32_e32 v5, v9
	s_and_saveexec_b64 s[50:51], s[40:41]
; %bb.7945:                             ;   in Loop: Header=BB6_7619 Depth=4
	v_bfe_u32 v4, v8, 20, 1
	v_add_co_u32_e64 v4, s[40:41], v8, v4
	v_add_co_u32_e64 v4, s[40:41], -1, v4
; %bb.7946:                             ;   in Loop: Header=BB6_7619 Depth=4
	s_or_b64 exec, exec, s[50:51]
	v_add_u32_e32 v5, 0xffffff81, v19
	v_mov_b32_e32 v9, 0xffffff82
	v_cndmask_b32_e32 v5, v5, v9, vcc
	v_lshrrev_b32_e32 v9, 23, v8
	v_add3_u32 v19, v28, v5, v9
	v_add_u32_e32 v5, 6, v19
	v_and_b32_e32 v4, 0xfffff, v4
	v_add_u32_e32 v50, v4, v8
	v_cmp_ne_u32_e32 vcc, 0, v5
                                        ; implicit-def: $vgpr8_vgpr9
                                        ; implicit-def: $vgpr4
	s_and_saveexec_b64 s[40:41], vcc
	s_xor_b64 s[40:41], exec, s[40:41]
; %bb.7947:                             ;   in Loop: Header=BB6_7619 Depth=4
	v_cmp_lt_u64_e32 vcc, s[88:89], v[50:51]
	v_add_u32_e32 v4, 7, v19
	v_cndmask_b32_e32 v4, v5, v4, vcc
	v_cndmask_b32_e64 v5, 0, 1, vcc
	v_lshrrev_b64 v[8:9], v5, v[50:51]
; %bb.7948:                             ;   in Loop: Header=BB6_7619 Depth=4
	s_andn2_saveexec_b64 s[40:41], s[40:41]
; %bb.7949:                             ;   in Loop: Header=BB6_7619 Depth=4
	v_mov_b32_e32 v8, v50
	v_bfe_u32 v4, v50, 23, 1
	v_mov_b32_e32 v9, v51
; %bb.7950:                             ;   in Loop: Header=BB6_7619 Depth=4
	s_or_b64 exec, exec, s[40:41]
	v_lshrrev_b64 v[8:9], 20, v[8:9]
	v_cmp_gt_i32_e32 vcc, 16, v4
	v_cndmask_b32_e32 v9, 0, v9, vcc
	v_cndmask_b32_e32 v8, 7, v8, vcc
	v_cmp_eq_u32_e32 vcc, 0, v4
	v_min_i32_e32 v4, 15, v4
	v_cmp_eq_u64_e64 s[40:41], 0, v[8:9]
	v_lshlrev_b32_e32 v4, 3, v4
	v_and_b32_e32 v4, 0xf8, v4
	v_and_or_b32 v4, v8, 7, v4
	s_and_b64 s[40:41], vcc, s[40:41]
	v_cndmask_b32_e64 v4, v4, 0, s[40:41]
	v_or_b32_e32 v28, v4, v18
.LBB6_7951:                             ;   in Loop: Header=BB6_7619 Depth=4
	s_or_b64 exec, exec, s[48:49]
                                        ; implicit-def: $vgpr18
.LBB6_7952:                             ;   in Loop: Header=BB6_7619 Depth=4
	s_andn2_saveexec_b64 s[40:41], s[38:39]
; %bb.7953:                             ;   in Loop: Header=BB6_7619 Depth=4
	v_or_b32_e32 v28, 0x7e, v18
; %bb.7954:                             ;   in Loop: Header=BB6_7619 Depth=4
	s_or_b64 exec, exec, s[40:41]
                                        ; implicit-def: $vgpr4
.LBB6_7955:                             ;   in Loop: Header=BB6_7619 Depth=4
	s_andn2_saveexec_b64 s[40:41], s[36:37]
; %bb.7956:                             ;   in Loop: Header=BB6_7619 Depth=4
	v_or_b32_sdwa v28, v4, s86 dst_sel:DWORD dst_unused:UNUSED_PAD src0_sel:BYTE_3 src1_sel:DWORD
; %bb.7957:                             ;   in Loop: Header=BB6_7619 Depth=4
	s_or_b64 exec, exec, s[40:41]
	v_cmp_lt_u64_e32 vcc, s[56:57], v[10:11]
	v_mov_b32_e32 v4, 0
	s_and_saveexec_b64 s[40:41], vcc
	s_cbranch_execz .LBB6_7963
; %bb.7958:                             ;   in Loop: Header=BB6_7619 Depth=4
	v_lshrrev_b32_e32 v8, 24, v11
	v_cmp_ne_u32_e32 vcc, s96, v8
	v_bfrev_b32_e32 v4, 1
	s_and_saveexec_b64 s[36:37], vcc
	s_cbranch_execz .LBB6_7962
; %bb.7959:                             ;   in Loop: Header=BB6_7619 Depth=4
	v_bfe_u32 v5, v11, 24, 7
	v_cmp_ne_u32_e32 vcc, s86, v5
	v_mov_b32_e32 v4, 0x7f800001
	s_and_saveexec_b64 s[38:39], vcc
	s_cbranch_execz .LBB6_7961
; %bb.7960:                             ;   in Loop: Header=BB6_7619 Depth=4
	v_and_b32_e32 v9, 7, v8
	v_ffbh_u32_e32 v4, v9
	v_min_u32_e32 v11, 32, v4
	v_subrev_u32_e32 v4, 28, v11
	v_lshrrev_b32_e32 v10, 3, v5
	v_cmp_gt_u32_e32 vcc, 8, v5
	v_lshlrev_b64 v[4:5], v4, v[8:9]
	v_sub_u32_e32 v5, 29, v11
	v_and_b32_e32 v4, 7, v4
	v_cndmask_b32_e32 v5, v10, v5, vcc
	v_cndmask_b32_e32 v4, v9, v4, vcc
	v_lshlrev_b32_e32 v8, 24, v8
	v_bfrev_b32_e32 v9, 60
	v_lshlrev_b32_e32 v4, 20, v4
	v_and_b32_e32 v8, 0x80000000, v8
	v_lshl_add_u32 v5, v5, 23, v9
	v_or3_b32 v4, v8, v5, v4
.LBB6_7961:                             ;   in Loop: Header=BB6_7619 Depth=4
	s_or_b64 exec, exec, s[38:39]
.LBB6_7962:                             ;   in Loop: Header=BB6_7619 Depth=4
	s_or_b64 exec, exec, s[36:37]
.LBB6_7963:                             ;   in Loop: Header=BB6_7619 Depth=4
	s_or_b64 exec, exec, s[40:41]
	v_mul_f32_e32 v4, v24, v4
	v_and_b32_e32 v50, 0x7f800000, v4
	v_cmp_ne_u64_e32 vcc, s[76:77], v[50:51]
                                        ; implicit-def: $vgpr30
	s_and_saveexec_b64 s[40:41], vcc
	s_xor_b64 s[36:37], exec, s[40:41]
	s_cbranch_execz .LBB6_7977
; %bb.7964:                             ;   in Loop: Header=BB6_7619 Depth=4
	v_and_b32_e32 v50, 0x7fffffff, v4
	v_cmp_gt_u64_e32 vcc, s[78:79], v[50:51]
	v_and_b32_sdwa v10, v4, s96 dst_sel:DWORD dst_unused:UNUSED_PAD src0_sel:BYTE_3 src1_sel:DWORD
                                        ; implicit-def: $vgpr30
	s_and_saveexec_b64 s[40:41], vcc
	s_xor_b64 s[38:39], exec, s[40:41]
	s_cbranch_execz .LBB6_7974
; %bb.7965:                             ;   in Loop: Header=BB6_7619 Depth=4
	v_mov_b32_e32 v30, 0
	v_cmp_ne_u32_e32 vcc, 0, v4
	s_and_saveexec_b64 s[48:49], vcc
	s_cbranch_execz .LBB6_7973
; %bb.7966:                             ;   in Loop: Header=BB6_7619 Depth=4
	v_bfe_u32 v11, v4, 23, 8
	v_and_b32_e32 v5, 0x7fffff, v4
	v_cmp_gt_u32_e64 s[40:41], s97, v11
	v_sub_u32_e32 v4, 0x79, v11
	v_cmp_eq_u32_e32 vcc, 0, v11
	v_cndmask_b32_e64 v4, 0, v4, s[40:41]
	v_mov_b32_e32 v9, 0x78
	v_cndmask_b32_e32 v18, v4, v9, vcc
	v_or_b32_e32 v8, 0x800000, v5
	v_add_u32_e32 v4, 20, v18
	v_cndmask_b32_e32 v50, v8, v5, vcc
	v_lshlrev_b64 v[4:5], v4, -1
	v_add_u32_e32 v8, 19, v18
	v_lshlrev_b64 v[8:9], v8, 1
	v_bfi_b32 v5, v5, 0, 0
	v_bfi_b32 v4, v4, 0, v50
	v_cmp_eq_u64_e64 s[40:41], v[4:5], v[8:9]
	v_lshrrev_b64 v[8:9], v18, v[50:51]
	v_mov_b32_e32 v4, v8
	v_mov_b32_e32 v5, v9
	s_and_saveexec_b64 s[50:51], s[40:41]
; %bb.7967:                             ;   in Loop: Header=BB6_7619 Depth=4
	v_bfe_u32 v4, v8, 20, 1
	v_add_co_u32_e64 v4, s[40:41], v8, v4
	v_add_co_u32_e64 v4, s[40:41], -1, v4
; %bb.7968:                             ;   in Loop: Header=BB6_7619 Depth=4
	s_or_b64 exec, exec, s[50:51]
	v_add_u32_e32 v5, 0xffffff81, v11
	v_mov_b32_e32 v9, 0xffffff82
	v_cndmask_b32_e32 v5, v5, v9, vcc
	v_lshrrev_b32_e32 v9, 23, v8
	v_add3_u32 v11, v18, v5, v9
	v_add_u32_e32 v5, 6, v11
	v_and_b32_e32 v4, 0xfffff, v4
	v_add_u32_e32 v50, v4, v8
	v_cmp_ne_u32_e32 vcc, 0, v5
                                        ; implicit-def: $vgpr8_vgpr9
                                        ; implicit-def: $vgpr4
	s_and_saveexec_b64 s[40:41], vcc
	s_xor_b64 s[40:41], exec, s[40:41]
; %bb.7969:                             ;   in Loop: Header=BB6_7619 Depth=4
	v_cmp_lt_u64_e32 vcc, s[88:89], v[50:51]
	v_add_u32_e32 v4, 7, v11
	v_cndmask_b32_e32 v4, v5, v4, vcc
	v_cndmask_b32_e64 v5, 0, 1, vcc
	v_lshrrev_b64 v[8:9], v5, v[50:51]
; %bb.7970:                             ;   in Loop: Header=BB6_7619 Depth=4
	s_andn2_saveexec_b64 s[40:41], s[40:41]
; %bb.7971:                             ;   in Loop: Header=BB6_7619 Depth=4
	v_mov_b32_e32 v8, v50
	v_bfe_u32 v4, v50, 23, 1
	v_mov_b32_e32 v9, v51
; %bb.7972:                             ;   in Loop: Header=BB6_7619 Depth=4
	s_or_b64 exec, exec, s[40:41]
	v_lshrrev_b64 v[8:9], 20, v[8:9]
	v_cmp_gt_i32_e32 vcc, 16, v4
	v_cndmask_b32_e32 v9, 0, v9, vcc
	v_cndmask_b32_e32 v8, 7, v8, vcc
	v_cmp_eq_u32_e32 vcc, 0, v4
	v_min_i32_e32 v4, 15, v4
	v_cmp_eq_u64_e64 s[40:41], 0, v[8:9]
	v_lshlrev_b32_e32 v4, 3, v4
	v_and_b32_e32 v4, 0xf8, v4
	v_and_or_b32 v4, v8, 7, v4
	s_and_b64 s[40:41], vcc, s[40:41]
	v_cndmask_b32_e64 v4, v4, 0, s[40:41]
	v_or_b32_e32 v30, v4, v10
.LBB6_7973:                             ;   in Loop: Header=BB6_7619 Depth=4
	s_or_b64 exec, exec, s[48:49]
                                        ; implicit-def: $vgpr10
.LBB6_7974:                             ;   in Loop: Header=BB6_7619 Depth=4
	s_andn2_saveexec_b64 s[40:41], s[38:39]
; %bb.7975:                             ;   in Loop: Header=BB6_7619 Depth=4
	v_or_b32_e32 v30, 0x7e, v10
; %bb.7976:                             ;   in Loop: Header=BB6_7619 Depth=4
	s_or_b64 exec, exec, s[40:41]
                                        ; implicit-def: $vgpr4
.LBB6_7977:                             ;   in Loop: Header=BB6_7619 Depth=4
	s_andn2_saveexec_b64 s[40:41], s[36:37]
; %bb.7978:                             ;   in Loop: Header=BB6_7619 Depth=4
	v_or_b32_sdwa v30, v4, s86 dst_sel:DWORD dst_unused:UNUSED_PAD src0_sel:BYTE_3 src1_sel:DWORD
; %bb.7979:                             ;   in Loop: Header=BB6_7619 Depth=4
	s_or_b64 exec, exec, s[40:41]
	global_load_dwordx4 v[8:11], v[14:15], off glc slc
	v_lshl_or_b32 v24, v27, 8, v22
	v_lshlrev_b32_e32 v4, 16, v31
	v_lshlrev_b32_e32 v5, 24, v37
	v_or3_b32 v50, v4, v5, v24
	v_cmp_ne_u32_e32 vcc, 0, v22
	v_mov_b32_e32 v4, 0
	s_and_saveexec_b64 s[40:41], vcc
	s_cbranch_execz .LBB6_7985
; %bb.7980:                             ;   in Loop: Header=BB6_7619 Depth=4
	v_cmp_ne_u32_e32 vcc, s96, v22
	v_bfrev_b32_e32 v4, 1
	s_and_saveexec_b64 s[36:37], vcc
	s_cbranch_execz .LBB6_7984
; %bb.7981:                             ;   in Loop: Header=BB6_7619 Depth=4
	v_and_b32_e32 v5, 0x7f, v22
	v_cmp_ne_u32_e32 vcc, s86, v5
	v_mov_b32_e32 v4, 0x7f800001
	s_and_saveexec_b64 s[38:39], vcc
	s_cbranch_execz .LBB6_7983
; %bb.7982:                             ;   in Loop: Header=BB6_7619 Depth=4
	v_and_b32_e32 v4, 7, v22
	v_ffbh_u32_e32 v4, v4
	v_min_u32_e32 v4, 32, v4
	v_lshrrev_b32_e32 v18, 3, v5
	v_cmp_gt_u32_e32 vcc, 8, v5
	v_subrev_u32_e32 v5, 28, v4
	v_sub_u32_e32 v4, 29, v4
	v_cndmask_b32_e32 v18, v18, v4, vcc
	v_cndmask_b32_e32 v4, 0, v5, vcc
	v_lshlrev_b64 v[4:5], v4, v[50:51]
	v_lshlrev_b32_e32 v5, 24, v50
	v_lshlrev_b32_e32 v4, 20, v4
	v_bfrev_b32_e32 v19, 60
	v_and_b32_e32 v4, 0x700000, v4
	v_and_b32_e32 v5, 0x80000000, v5
	v_lshl_add_u32 v18, v18, 23, v19
	v_or3_b32 v4, v5, v18, v4
.LBB6_7983:                             ;   in Loop: Header=BB6_7619 Depth=4
	s_or_b64 exec, exec, s[38:39]
.LBB6_7984:                             ;   in Loop: Header=BB6_7619 Depth=4
	s_or_b64 exec, exec, s[36:37]
.LBB6_7985:                             ;   in Loop: Header=BB6_7619 Depth=4
	s_or_b64 exec, exec, s[40:41]
	s_waitcnt vmcnt(0)
	v_cmp_gt_i16_sdwa vcc, v8, s86 src0_sel:BYTE_0 src1_sel:DWORD
	s_mov_b64 s[40:41], 0
	s_and_saveexec_b64 s[36:37], vcc
	s_xor_b64 vcc, exec, s[36:37]
	s_cbranch_execz .LBB6_8407
; %bb.7986:                             ;   in Loop: Header=BB6_7619 Depth=4
	v_cmp_eq_u16_sdwa s[38:39], v8, s96 src0_sel:BYTE_0 src1_sel:DWORD
	s_mov_b64 s[40:41], -1
	s_and_saveexec_b64 s[36:37], s[38:39]
; %bb.7987:                             ;   in Loop: Header=BB6_7619 Depth=4
	s_xor_b64 s[40:41], exec, -1
; %bb.7988:                             ;   in Loop: Header=BB6_7619 Depth=4
	s_or_b64 exec, exec, s[36:37]
	s_and_b64 s[40:41], s[40:41], exec
	s_or_saveexec_b64 vcc, vcc
	v_bfrev_b32_e32 v5, 1
	s_xor_b64 exec, exec, vcc
	s_cbranch_execnz .LBB6_8408
.LBB6_7989:                             ;   in Loop: Header=BB6_7619 Depth=4
	s_or_b64 exec, exec, vcc
	s_and_saveexec_b64 s[36:37], s[40:41]
	s_cbranch_execz .LBB6_7991
.LBB6_7990:                             ;   in Loop: Header=BB6_7619 Depth=4
	v_and_b32_e32 v5, 7, v8
	v_ffbh_u32_e32 v5, v5
	v_and_b32_e32 v22, 0x7f, v8
	v_min_u32_e32 v5, 32, v5
	v_bfe_u32 v18, v8, 3, 4
	v_subrev_u32_e32 v19, 28, v5
	v_sub_u32_e32 v5, 29, v5
	v_cmp_gt_u32_e32 vcc, 8, v22
	v_cndmask_b32_e32 v5, v18, v5, vcc
	v_cndmask_b32_e32 v18, 0, v19, vcc
	v_lshlrev_b64 v[18:19], v18, v[8:9]
	v_lshlrev_b32_e32 v19, 24, v8
	v_lshlrev_b32_e32 v18, 20, v18
	v_bfrev_b32_e32 v27, 60
	v_and_b32_e32 v18, 0x700000, v18
	v_and_b32_e32 v19, 0x80000000, v19
	v_lshl_add_u32 v5, v5, 23, v27
	v_or3_b32 v5, v19, v5, v18
	v_cmp_ne_u32_e32 vcc, s86, v22
	v_mov_b32_e32 v18, 0x7f800001
	v_cndmask_b32_e32 v5, v18, v5, vcc
.LBB6_7991:                             ;   in Loop: Header=BB6_7619 Depth=4
	s_or_b64 exec, exec, s[36:37]
	v_add_f32_e32 v4, v4, v5
	v_and_b32_e32 v18, 0x7f800000, v4
	v_mov_b32_e32 v19, v51
	v_cmp_ne_u64_e32 vcc, s[76:77], v[18:19]
                                        ; implicit-def: $vgpr22
	s_and_saveexec_b64 s[40:41], vcc
	s_xor_b64 s[36:37], exec, s[40:41]
	s_cbranch_execz .LBB6_8005
; %bb.7992:                             ;   in Loop: Header=BB6_7619 Depth=4
	v_and_b32_e32 v18, 0x7fffffff, v4
	v_mov_b32_e32 v19, v51
	v_cmp_gt_u64_e32 vcc, s[78:79], v[18:19]
	v_and_b32_sdwa v27, v4, s96 dst_sel:DWORD dst_unused:UNUSED_PAD src0_sel:BYTE_3 src1_sel:DWORD
                                        ; implicit-def: $vgpr22
	s_and_saveexec_b64 s[40:41], vcc
	s_xor_b64 s[38:39], exec, s[40:41]
	s_cbranch_execz .LBB6_8002
; %bb.7993:                             ;   in Loop: Header=BB6_7619 Depth=4
	v_mov_b32_e32 v22, 0
	v_cmp_ne_u32_e32 vcc, 0, v4
	s_and_saveexec_b64 s[48:49], vcc
	s_cbranch_execz .LBB6_8001
; %bb.7994:                             ;   in Loop: Header=BB6_7619 Depth=4
	v_bfe_u32 v22, v4, 23, 8
	v_and_b32_e32 v5, 0x7fffff, v4
	v_cmp_gt_u32_e64 s[40:41], s97, v22
	v_sub_u32_e32 v4, 0x79, v22
	v_cmp_eq_u32_e32 vcc, 0, v22
	v_cndmask_b32_e64 v4, 0, v4, s[40:41]
	v_mov_b32_e32 v19, 0x78
	v_or_b32_e32 v18, 0x800000, v5
	v_cndmask_b32_e32 v31, v4, v19, vcc
	v_cndmask_b32_e32 v4, v18, v5, vcc
	v_add_u32_e32 v18, 20, v31
	v_lshlrev_b64 v[18:19], v18, -1
	v_add_u32_e32 v37, 19, v31
	v_lshlrev_b64 v[37:38], v37, 1
	v_mov_b32_e32 v5, v51
	v_bfi_b32 v19, v19, 0, 0
	v_bfi_b32 v18, v18, 0, v4
	v_cmp_eq_u64_e64 s[40:41], v[18:19], v[37:38]
	v_lshrrev_b64 v[18:19], v31, v[4:5]
	v_mov_b32_e32 v4, v18
	v_mov_b32_e32 v5, v19
	s_and_saveexec_b64 s[50:51], s[40:41]
; %bb.7995:                             ;   in Loop: Header=BB6_7619 Depth=4
	v_bfe_u32 v4, v18, 20, 1
	v_add_co_u32_e64 v4, s[40:41], v18, v4
	v_add_co_u32_e64 v4, s[40:41], -1, v4
; %bb.7996:                             ;   in Loop: Header=BB6_7619 Depth=4
	s_or_b64 exec, exec, s[50:51]
	v_add_u32_e32 v5, 0xffffff81, v22
	v_mov_b32_e32 v19, 0xffffff82
	v_cndmask_b32_e32 v5, v5, v19, vcc
	v_lshrrev_b32_e32 v19, 23, v18
	v_add3_u32 v22, v31, v5, v19
	v_add_u32_e32 v5, 6, v22
	v_and_b32_e32 v4, 0xfffff, v4
	v_add_u32_e32 v18, v4, v18
	v_mov_b32_e32 v19, v51
	v_cmp_ne_u32_e32 vcc, 0, v5
                                        ; implicit-def: $vgpr4
	s_and_saveexec_b64 s[40:41], vcc
	s_xor_b64 s[40:41], exec, s[40:41]
; %bb.7997:                             ;   in Loop: Header=BB6_7619 Depth=4
	v_cmp_lt_u64_e32 vcc, s[88:89], v[18:19]
	v_add_u32_e32 v4, 7, v22
	v_cndmask_b32_e32 v4, v5, v4, vcc
	v_cndmask_b32_e64 v5, 0, 1, vcc
	v_lshrrev_b64 v[18:19], v5, v[18:19]
; %bb.7998:                             ;   in Loop: Header=BB6_7619 Depth=4
	s_andn2_saveexec_b64 s[40:41], s[40:41]
; %bb.7999:                             ;   in Loop: Header=BB6_7619 Depth=4
	v_bfe_u32 v4, v18, 23, 1
; %bb.8000:                             ;   in Loop: Header=BB6_7619 Depth=4
	s_or_b64 exec, exec, s[40:41]
	v_lshrrev_b64 v[18:19], 20, v[18:19]
	v_cmp_gt_i32_e32 vcc, 16, v4
	v_cndmask_b32_e32 v19, 0, v19, vcc
	v_cndmask_b32_e32 v18, 7, v18, vcc
	v_cmp_eq_u32_e32 vcc, 0, v4
	v_min_i32_e32 v4, 15, v4
	v_cmp_eq_u64_e64 s[40:41], 0, v[18:19]
	v_lshlrev_b32_e32 v4, 3, v4
	v_and_b32_e32 v4, 0xf8, v4
	v_and_or_b32 v4, v18, 7, v4
	s_and_b64 s[40:41], vcc, s[40:41]
	v_cndmask_b32_e64 v4, v4, 0, s[40:41]
	v_or_b32_e32 v22, v4, v27
.LBB6_8001:                             ;   in Loop: Header=BB6_7619 Depth=4
	s_or_b64 exec, exec, s[48:49]
                                        ; implicit-def: $vgpr27
.LBB6_8002:                             ;   in Loop: Header=BB6_7619 Depth=4
	s_andn2_saveexec_b64 s[40:41], s[38:39]
; %bb.8003:                             ;   in Loop: Header=BB6_7619 Depth=4
	v_or_b32_e32 v22, 0x7e, v27
; %bb.8004:                             ;   in Loop: Header=BB6_7619 Depth=4
	s_or_b64 exec, exec, s[40:41]
                                        ; implicit-def: $vgpr4
.LBB6_8005:                             ;   in Loop: Header=BB6_7619 Depth=4
	s_andn2_saveexec_b64 s[40:41], s[36:37]
; %bb.8006:                             ;   in Loop: Header=BB6_7619 Depth=4
	v_or_b32_sdwa v22, v4, s86 dst_sel:DWORD dst_unused:UNUSED_PAD src0_sel:BYTE_3 src1_sel:DWORD
; %bb.8007:                             ;   in Loop: Header=BB6_7619 Depth=4
	s_or_b64 exec, exec, s[40:41]
	v_lshrrev_b16_e32 v18, 8, v24
	v_cmp_ne_u16_e32 vcc, 0, v18
	v_mov_b32_e32 v4, 0
	s_and_saveexec_b64 s[40:41], vcc
	s_cbranch_execz .LBB6_8013
; %bb.8008:                             ;   in Loop: Header=BB6_7619 Depth=4
	v_cmp_ne_u16_e32 vcc, s96, v18
	v_bfrev_b32_e32 v4, 1
	s_and_saveexec_b64 s[36:37], vcc
	s_cbranch_execz .LBB6_8012
; %bb.8009:                             ;   in Loop: Header=BB6_7619 Depth=4
	v_and_b32_e32 v5, 0x7f, v18
	v_cmp_ne_u32_e32 vcc, s86, v5
	v_mov_b32_e32 v4, 0x7f800001
	s_and_saveexec_b64 s[38:39], vcc
	s_cbranch_execz .LBB6_8011
; %bb.8010:                             ;   in Loop: Header=BB6_7619 Depth=4
	v_and_b32_e32 v19, 7, v18
	v_ffbh_u32_e32 v4, v19
	v_min_u32_e32 v31, 32, v4
	v_subrev_u32_e32 v4, 28, v31
	v_lshrrev_b32_e32 v27, 3, v5
	v_cmp_gt_u32_e32 vcc, 8, v5
	v_lshlrev_b64 v[4:5], v4, v[18:19]
	v_sub_u32_e32 v5, 29, v31
	v_and_b32_e32 v4, 7, v4
	v_cndmask_b32_e32 v5, v27, v5, vcc
	v_cndmask_b32_e32 v4, v19, v4, vcc
	v_lshlrev_b32_e32 v18, 16, v24
	v_bfrev_b32_e32 v19, 60
	v_lshlrev_b32_e32 v4, 20, v4
	v_and_b32_e32 v18, 0x80000000, v18
	v_lshl_add_u32 v5, v5, 23, v19
	v_or3_b32 v4, v18, v5, v4
.LBB6_8011:                             ;   in Loop: Header=BB6_7619 Depth=4
	s_or_b64 exec, exec, s[38:39]
.LBB6_8012:                             ;   in Loop: Header=BB6_7619 Depth=4
	s_or_b64 exec, exec, s[36:37]
.LBB6_8013:                             ;   in Loop: Header=BB6_7619 Depth=4
	s_or_b64 exec, exec, s[40:41]
	v_lshrrev_b16_e32 v18, 8, v8
	v_cmp_lt_i16_e32 vcc, s86, v18
	s_mov_b64 s[40:41], 0
	s_and_saveexec_b64 s[36:37], vcc
	s_xor_b64 s[36:37], exec, s[36:37]
	s_cbranch_execz .LBB6_8409
; %bb.8014:                             ;   in Loop: Header=BB6_7619 Depth=4
	v_cmp_eq_u16_e32 vcc, s96, v18
	s_mov_b64 s[40:41], -1
	s_and_saveexec_b64 s[38:39], vcc
; %bb.8015:                             ;   in Loop: Header=BB6_7619 Depth=4
	s_xor_b64 s[40:41], exec, -1
; %bb.8016:                             ;   in Loop: Header=BB6_7619 Depth=4
	s_or_b64 exec, exec, s[38:39]
	s_and_b64 s[40:41], s[40:41], exec
	s_or_saveexec_b64 s[36:37], s[36:37]
	v_bfrev_b32_e32 v5, 1
	s_xor_b64 exec, exec, s[36:37]
	s_cbranch_execnz .LBB6_8410
.LBB6_8017:                             ;   in Loop: Header=BB6_7619 Depth=4
	s_or_b64 exec, exec, s[36:37]
	s_and_saveexec_b64 s[36:37], s[40:41]
	s_cbranch_execz .LBB6_8019
.LBB6_8018:                             ;   in Loop: Header=BB6_7619 Depth=4
	v_and_b32_e32 v5, 7, v18
	v_ffbh_u32_e32 v31, v5
	v_min_u32_e32 v31, 32, v31
	v_mov_b32_e32 v19, v51
	v_subrev_u32_e32 v37, 28, v31
	v_lshlrev_b64 v[37:38], v37, v[18:19]
	v_and_b32_e32 v24, 0x7f, v18
	v_bfe_u32 v27, v18, 3, 4
	v_sub_u32_e32 v19, 29, v31
	v_and_b32_e32 v31, 7, v37
	v_cmp_gt_u32_e32 vcc, 8, v24
	v_cndmask_b32_e32 v19, v27, v19, vcc
	v_cndmask_b32_e32 v5, v5, v31, vcc
	v_lshlrev_b32_e32 v18, 24, v18
	v_bfrev_b32_e32 v27, 60
	v_lshlrev_b32_e32 v5, 20, v5
	v_and_b32_e32 v18, 0x80000000, v18
	v_lshl_add_u32 v19, v19, 23, v27
	v_or3_b32 v5, v18, v19, v5
	v_cmp_ne_u32_e32 vcc, s86, v24
	v_mov_b32_e32 v18, 0x7f800001
	v_cndmask_b32_e32 v5, v18, v5, vcc
.LBB6_8019:                             ;   in Loop: Header=BB6_7619 Depth=4
	s_or_b64 exec, exec, s[36:37]
	v_add_f32_e32 v4, v4, v5
	v_and_b32_e32 v18, 0x7f800000, v4
	v_mov_b32_e32 v19, v51
	v_cmp_ne_u64_e32 vcc, s[76:77], v[18:19]
                                        ; implicit-def: $vgpr24
	s_and_saveexec_b64 s[40:41], vcc
	s_xor_b64 s[36:37], exec, s[40:41]
	s_cbranch_execz .LBB6_8033
; %bb.8020:                             ;   in Loop: Header=BB6_7619 Depth=4
	v_and_b32_e32 v18, 0x7fffffff, v4
	v_mov_b32_e32 v19, v51
	v_cmp_gt_u64_e32 vcc, s[78:79], v[18:19]
	v_and_b32_sdwa v27, v4, s96 dst_sel:DWORD dst_unused:UNUSED_PAD src0_sel:BYTE_3 src1_sel:DWORD
                                        ; implicit-def: $vgpr24
	s_and_saveexec_b64 s[40:41], vcc
	s_xor_b64 s[38:39], exec, s[40:41]
	s_cbranch_execz .LBB6_8030
; %bb.8021:                             ;   in Loop: Header=BB6_7619 Depth=4
	v_mov_b32_e32 v24, 0
	v_cmp_ne_u32_e32 vcc, 0, v4
	s_and_saveexec_b64 s[48:49], vcc
	s_cbranch_execz .LBB6_8029
; %bb.8022:                             ;   in Loop: Header=BB6_7619 Depth=4
	v_bfe_u32 v24, v4, 23, 8
	v_and_b32_e32 v5, 0x7fffff, v4
	v_cmp_gt_u32_e64 s[40:41], s97, v24
	v_sub_u32_e32 v4, 0x79, v24
	v_cmp_eq_u32_e32 vcc, 0, v24
	v_cndmask_b32_e64 v4, 0, v4, s[40:41]
	v_mov_b32_e32 v19, 0x78
	v_or_b32_e32 v18, 0x800000, v5
	v_cndmask_b32_e32 v31, v4, v19, vcc
	v_cndmask_b32_e32 v4, v18, v5, vcc
	v_add_u32_e32 v18, 20, v31
	v_lshlrev_b64 v[18:19], v18, -1
	v_add_u32_e32 v37, 19, v31
	v_lshlrev_b64 v[37:38], v37, 1
	v_mov_b32_e32 v5, v51
	v_bfi_b32 v19, v19, 0, 0
	v_bfi_b32 v18, v18, 0, v4
	v_cmp_eq_u64_e64 s[40:41], v[18:19], v[37:38]
	v_lshrrev_b64 v[18:19], v31, v[4:5]
	v_mov_b32_e32 v4, v18
	v_mov_b32_e32 v5, v19
	s_and_saveexec_b64 s[50:51], s[40:41]
; %bb.8023:                             ;   in Loop: Header=BB6_7619 Depth=4
	v_bfe_u32 v4, v18, 20, 1
	v_add_co_u32_e64 v4, s[40:41], v18, v4
	v_add_co_u32_e64 v4, s[40:41], -1, v4
; %bb.8024:                             ;   in Loop: Header=BB6_7619 Depth=4
	s_or_b64 exec, exec, s[50:51]
	v_add_u32_e32 v5, 0xffffff81, v24
	v_mov_b32_e32 v19, 0xffffff82
	v_cndmask_b32_e32 v5, v5, v19, vcc
	v_lshrrev_b32_e32 v19, 23, v18
	v_add3_u32 v24, v31, v5, v19
	v_add_u32_e32 v5, 6, v24
	v_and_b32_e32 v4, 0xfffff, v4
	v_add_u32_e32 v18, v4, v18
	v_mov_b32_e32 v19, v51
	v_cmp_ne_u32_e32 vcc, 0, v5
                                        ; implicit-def: $vgpr4
	s_and_saveexec_b64 s[40:41], vcc
	s_xor_b64 s[40:41], exec, s[40:41]
; %bb.8025:                             ;   in Loop: Header=BB6_7619 Depth=4
	v_cmp_lt_u64_e32 vcc, s[88:89], v[18:19]
	v_add_u32_e32 v4, 7, v24
	v_cndmask_b32_e32 v4, v5, v4, vcc
	v_cndmask_b32_e64 v5, 0, 1, vcc
	v_lshrrev_b64 v[18:19], v5, v[18:19]
; %bb.8026:                             ;   in Loop: Header=BB6_7619 Depth=4
	s_andn2_saveexec_b64 s[40:41], s[40:41]
; %bb.8027:                             ;   in Loop: Header=BB6_7619 Depth=4
	v_bfe_u32 v4, v18, 23, 1
; %bb.8028:                             ;   in Loop: Header=BB6_7619 Depth=4
	s_or_b64 exec, exec, s[40:41]
	v_lshrrev_b64 v[18:19], 20, v[18:19]
	v_cmp_gt_i32_e32 vcc, 16, v4
	v_cndmask_b32_e32 v19, 0, v19, vcc
	v_cndmask_b32_e32 v18, 7, v18, vcc
	v_cmp_eq_u32_e32 vcc, 0, v4
	v_min_i32_e32 v4, 15, v4
	v_cmp_eq_u64_e64 s[40:41], 0, v[18:19]
	v_lshlrev_b32_e32 v4, 3, v4
	v_and_b32_e32 v4, 0xf8, v4
	v_and_or_b32 v4, v18, 7, v4
	s_and_b64 s[40:41], vcc, s[40:41]
	v_cndmask_b32_e64 v4, v4, 0, s[40:41]
	v_or_b32_e32 v24, v4, v27
.LBB6_8029:                             ;   in Loop: Header=BB6_7619 Depth=4
	s_or_b64 exec, exec, s[48:49]
                                        ; implicit-def: $vgpr27
.LBB6_8030:                             ;   in Loop: Header=BB6_7619 Depth=4
	s_andn2_saveexec_b64 s[40:41], s[38:39]
; %bb.8031:                             ;   in Loop: Header=BB6_7619 Depth=4
	v_or_b32_e32 v24, 0x7e, v27
; %bb.8032:                             ;   in Loop: Header=BB6_7619 Depth=4
	s_or_b64 exec, exec, s[40:41]
                                        ; implicit-def: $vgpr4
.LBB6_8033:                             ;   in Loop: Header=BB6_7619 Depth=4
	s_andn2_saveexec_b64 s[40:41], s[36:37]
; %bb.8034:                             ;   in Loop: Header=BB6_7619 Depth=4
	v_or_b32_sdwa v24, v4, s86 dst_sel:DWORD dst_unused:UNUSED_PAD src0_sel:BYTE_3 src1_sel:DWORD
; %bb.8035:                             ;   in Loop: Header=BB6_7619 Depth=4
	s_or_b64 exec, exec, s[40:41]
	v_and_b32_sdwa v5, v50, s87 dst_sel:DWORD dst_unused:UNUSED_PAD src0_sel:WORD_1 src1_sel:DWORD
	v_lshrrev_b32_e32 v18, 16, v50
	v_cmp_ne_u16_e32 vcc, 0, v5
	v_mov_b32_e32 v4, 0
	s_and_saveexec_b64 s[40:41], vcc
	s_cbranch_execz .LBB6_8041
; %bb.8036:                             ;   in Loop: Header=BB6_7619 Depth=4
	v_cmp_ne_u16_e32 vcc, s96, v5
	v_bfrev_b32_e32 v4, 1
	s_and_saveexec_b64 s[36:37], vcc
	s_cbranch_execz .LBB6_8040
; %bb.8037:                             ;   in Loop: Header=BB6_7619 Depth=4
	v_bfe_u32 v5, v50, 16, 7
	v_cmp_ne_u32_e32 vcc, s86, v5
	v_mov_b32_e32 v4, 0x7f800001
	s_and_saveexec_b64 s[38:39], vcc
	s_cbranch_execz .LBB6_8039
; %bb.8038:                             ;   in Loop: Header=BB6_7619 Depth=4
	v_and_b32_e32 v19, 7, v18
	v_ffbh_u32_e32 v4, v19
	v_min_u32_e32 v31, 32, v4
	v_subrev_u32_e32 v4, 28, v31
	v_lshrrev_b32_e32 v27, 3, v5
	v_cmp_gt_u32_e32 vcc, 8, v5
	v_lshlrev_b64 v[4:5], v4, v[18:19]
	v_sub_u32_e32 v5, 29, v31
	v_and_b32_e32 v4, 7, v4
	v_mov_b32_e32 v18, 24
	v_cndmask_b32_e32 v5, v27, v5, vcc
	v_cndmask_b32_e32 v4, v19, v4, vcc
	v_lshlrev_b32_sdwa v18, v18, v50 dst_sel:DWORD dst_unused:UNUSED_PAD src0_sel:DWORD src1_sel:WORD_1
	v_bfrev_b32_e32 v19, 60
	v_lshlrev_b32_e32 v4, 20, v4
	v_and_b32_e32 v18, 0x80000000, v18
	v_lshl_add_u32 v5, v5, 23, v19
	v_or3_b32 v4, v18, v5, v4
.LBB6_8039:                             ;   in Loop: Header=BB6_7619 Depth=4
	s_or_b64 exec, exec, s[38:39]
.LBB6_8040:                             ;   in Loop: Header=BB6_7619 Depth=4
	s_or_b64 exec, exec, s[36:37]
.LBB6_8041:                             ;   in Loop: Header=BB6_7619 Depth=4
	s_or_b64 exec, exec, s[40:41]
	v_lshrrev_b32_e32 v18, 16, v8
	v_cmp_gt_i16_sdwa vcc, v18, s86 src0_sel:BYTE_0 src1_sel:DWORD
	s_mov_b64 s[40:41], 0
	s_and_saveexec_b64 s[36:37], vcc
	s_xor_b64 vcc, exec, s[36:37]
	s_cbranch_execz .LBB6_8411
; %bb.8042:                             ;   in Loop: Header=BB6_7619 Depth=4
	v_cmp_eq_u16_sdwa s[38:39], v18, s96 src0_sel:BYTE_0 src1_sel:DWORD
	s_mov_b64 s[40:41], -1
	s_and_saveexec_b64 s[36:37], s[38:39]
; %bb.8043:                             ;   in Loop: Header=BB6_7619 Depth=4
	s_xor_b64 s[40:41], exec, -1
; %bb.8044:                             ;   in Loop: Header=BB6_7619 Depth=4
	s_or_b64 exec, exec, s[36:37]
	s_and_b64 s[40:41], s[40:41], exec
	s_or_saveexec_b64 vcc, vcc
	v_bfrev_b32_e32 v5, 1
	s_xor_b64 exec, exec, vcc
	s_cbranch_execnz .LBB6_8412
.LBB6_8045:                             ;   in Loop: Header=BB6_7619 Depth=4
	s_or_b64 exec, exec, vcc
	s_and_saveexec_b64 s[36:37], s[40:41]
	s_cbranch_execz .LBB6_8047
.LBB6_8046:                             ;   in Loop: Header=BB6_7619 Depth=4
	v_and_b32_e32 v5, 7, v18
	v_ffbh_u32_e32 v31, v5
	v_min_u32_e32 v31, 32, v31
	v_and_b32_e32 v19, 0x7f, v18
	v_subrev_u32_e32 v37, 28, v31
	v_lshlrev_b64 v[37:38], v37, v[18:19]
	v_bfe_u32 v27, v18, 3, 4
	v_sub_u32_e32 v31, 29, v31
	v_and_b32_e32 v37, 7, v37
	v_cmp_gt_u32_e32 vcc, 8, v19
	v_cndmask_b32_e32 v27, v27, v31, vcc
	v_cndmask_b32_e32 v5, v5, v37, vcc
	v_lshlrev_b32_e32 v18, 24, v18
	v_bfrev_b32_e32 v31, 60
	v_lshlrev_b32_e32 v5, 20, v5
	v_and_b32_e32 v18, 0x80000000, v18
	v_lshl_add_u32 v27, v27, 23, v31
	v_or3_b32 v5, v18, v27, v5
	v_cmp_ne_u32_e32 vcc, s86, v19
	v_mov_b32_e32 v18, 0x7f800001
	v_cndmask_b32_e32 v5, v18, v5, vcc
.LBB6_8047:                             ;   in Loop: Header=BB6_7619 Depth=4
	s_or_b64 exec, exec, s[36:37]
	v_add_f32_e32 v4, v4, v5
	v_and_b32_e32 v18, 0x7f800000, v4
	v_mov_b32_e32 v19, v51
	v_cmp_ne_u64_e32 vcc, s[76:77], v[18:19]
                                        ; implicit-def: $vgpr27
	s_and_saveexec_b64 s[40:41], vcc
	s_xor_b64 s[36:37], exec, s[40:41]
	s_cbranch_execz .LBB6_8061
; %bb.8048:                             ;   in Loop: Header=BB6_7619 Depth=4
	v_and_b32_e32 v18, 0x7fffffff, v4
	v_mov_b32_e32 v19, v51
	v_cmp_gt_u64_e32 vcc, s[78:79], v[18:19]
	v_and_b32_sdwa v31, v4, s96 dst_sel:DWORD dst_unused:UNUSED_PAD src0_sel:BYTE_3 src1_sel:DWORD
                                        ; implicit-def: $vgpr27
	s_and_saveexec_b64 s[40:41], vcc
	s_xor_b64 s[38:39], exec, s[40:41]
	s_cbranch_execz .LBB6_8058
; %bb.8049:                             ;   in Loop: Header=BB6_7619 Depth=4
	v_mov_b32_e32 v27, 0
	v_cmp_ne_u32_e32 vcc, 0, v4
	s_and_saveexec_b64 s[48:49], vcc
	s_cbranch_execz .LBB6_8057
; %bb.8050:                             ;   in Loop: Header=BB6_7619 Depth=4
	v_bfe_u32 v27, v4, 23, 8
	v_and_b32_e32 v5, 0x7fffff, v4
	v_cmp_gt_u32_e64 s[40:41], s97, v27
	v_sub_u32_e32 v4, 0x79, v27
	v_cmp_eq_u32_e32 vcc, 0, v27
	v_cndmask_b32_e64 v4, 0, v4, s[40:41]
	v_mov_b32_e32 v19, 0x78
	v_or_b32_e32 v18, 0x800000, v5
	v_cndmask_b32_e32 v37, v4, v19, vcc
	v_cndmask_b32_e32 v4, v18, v5, vcc
	v_add_u32_e32 v18, 20, v37
	v_lshlrev_b64 v[18:19], v18, -1
	v_add_u32_e32 v38, 19, v37
	v_lshlrev_b64 v[38:39], v38, 1
	v_mov_b32_e32 v5, v51
	v_bfi_b32 v19, v19, 0, 0
	v_bfi_b32 v18, v18, 0, v4
	v_cmp_eq_u64_e64 s[40:41], v[18:19], v[38:39]
	v_lshrrev_b64 v[18:19], v37, v[4:5]
	v_mov_b32_e32 v4, v18
	v_mov_b32_e32 v5, v19
	s_and_saveexec_b64 s[50:51], s[40:41]
; %bb.8051:                             ;   in Loop: Header=BB6_7619 Depth=4
	v_bfe_u32 v4, v18, 20, 1
	v_add_co_u32_e64 v4, s[40:41], v18, v4
	v_add_co_u32_e64 v4, s[40:41], -1, v4
; %bb.8052:                             ;   in Loop: Header=BB6_7619 Depth=4
	s_or_b64 exec, exec, s[50:51]
	v_add_u32_e32 v5, 0xffffff81, v27
	v_mov_b32_e32 v19, 0xffffff82
	v_cndmask_b32_e32 v5, v5, v19, vcc
	v_lshrrev_b32_e32 v19, 23, v18
	v_add3_u32 v27, v37, v5, v19
	v_add_u32_e32 v5, 6, v27
	v_and_b32_e32 v4, 0xfffff, v4
	v_add_u32_e32 v18, v4, v18
	v_mov_b32_e32 v19, v51
	v_cmp_ne_u32_e32 vcc, 0, v5
                                        ; implicit-def: $vgpr4
	s_and_saveexec_b64 s[40:41], vcc
	s_xor_b64 s[40:41], exec, s[40:41]
; %bb.8053:                             ;   in Loop: Header=BB6_7619 Depth=4
	v_cmp_lt_u64_e32 vcc, s[88:89], v[18:19]
	v_add_u32_e32 v4, 7, v27
	v_cndmask_b32_e32 v4, v5, v4, vcc
	v_cndmask_b32_e64 v5, 0, 1, vcc
	v_lshrrev_b64 v[18:19], v5, v[18:19]
; %bb.8054:                             ;   in Loop: Header=BB6_7619 Depth=4
	s_andn2_saveexec_b64 s[40:41], s[40:41]
; %bb.8055:                             ;   in Loop: Header=BB6_7619 Depth=4
	v_bfe_u32 v4, v18, 23, 1
; %bb.8056:                             ;   in Loop: Header=BB6_7619 Depth=4
	s_or_b64 exec, exec, s[40:41]
	v_lshrrev_b64 v[18:19], 20, v[18:19]
	v_cmp_gt_i32_e32 vcc, 16, v4
	v_cndmask_b32_e32 v19, 0, v19, vcc
	v_cndmask_b32_e32 v18, 7, v18, vcc
	v_cmp_eq_u32_e32 vcc, 0, v4
	v_min_i32_e32 v4, 15, v4
	v_cmp_eq_u64_e64 s[40:41], 0, v[18:19]
	v_lshlrev_b32_e32 v4, 3, v4
	v_and_b32_e32 v4, 0xf8, v4
	v_and_or_b32 v4, v18, 7, v4
	s_and_b64 s[40:41], vcc, s[40:41]
	v_cndmask_b32_e64 v4, v4, 0, s[40:41]
	v_or_b32_e32 v27, v4, v31
.LBB6_8057:                             ;   in Loop: Header=BB6_7619 Depth=4
	s_or_b64 exec, exec, s[48:49]
                                        ; implicit-def: $vgpr31
.LBB6_8058:                             ;   in Loop: Header=BB6_7619 Depth=4
	s_andn2_saveexec_b64 s[40:41], s[38:39]
; %bb.8059:                             ;   in Loop: Header=BB6_7619 Depth=4
	v_or_b32_e32 v27, 0x7e, v31
; %bb.8060:                             ;   in Loop: Header=BB6_7619 Depth=4
	s_or_b64 exec, exec, s[40:41]
                                        ; implicit-def: $vgpr4
.LBB6_8061:                             ;   in Loop: Header=BB6_7619 Depth=4
	s_andn2_saveexec_b64 s[40:41], s[36:37]
; %bb.8062:                             ;   in Loop: Header=BB6_7619 Depth=4
	v_or_b32_sdwa v27, v4, s86 dst_sel:DWORD dst_unused:UNUSED_PAD src0_sel:BYTE_3 src1_sel:DWORD
; %bb.8063:                             ;   in Loop: Header=BB6_7619 Depth=4
	s_or_b64 exec, exec, s[40:41]
	v_cmp_lt_u32_e32 vcc, s57, v50
	v_mov_b32_e32 v4, 0
	s_and_saveexec_b64 s[40:41], vcc
	s_cbranch_execz .LBB6_8069
; %bb.8064:                             ;   in Loop: Header=BB6_7619 Depth=4
	v_lshrrev_b32_e32 v18, 24, v50
	v_cmp_ne_u32_e32 vcc, s96, v18
	v_bfrev_b32_e32 v4, 1
	s_and_saveexec_b64 s[36:37], vcc
	s_cbranch_execz .LBB6_8068
; %bb.8065:                             ;   in Loop: Header=BB6_7619 Depth=4
	v_bfe_u32 v5, v50, 24, 7
	v_cmp_ne_u32_e32 vcc, s86, v5
	v_mov_b32_e32 v4, 0x7f800001
	s_and_saveexec_b64 s[38:39], vcc
	s_cbranch_execz .LBB6_8067
; %bb.8066:                             ;   in Loop: Header=BB6_7619 Depth=4
	v_and_b32_e32 v19, 7, v18
	v_ffbh_u32_e32 v4, v19
	v_min_u32_e32 v37, 32, v4
	v_subrev_u32_e32 v4, 28, v37
	v_lshrrev_b32_e32 v31, 3, v5
	v_cmp_gt_u32_e32 vcc, 8, v5
	v_lshlrev_b64 v[4:5], v4, v[18:19]
	v_sub_u32_e32 v5, 29, v37
	v_and_b32_e32 v4, 7, v4
	v_cndmask_b32_e32 v5, v31, v5, vcc
	v_cndmask_b32_e32 v4, v19, v4, vcc
	v_lshlrev_b32_e32 v18, 24, v18
	v_bfrev_b32_e32 v19, 60
	v_lshlrev_b32_e32 v4, 20, v4
	v_and_b32_e32 v18, 0x80000000, v18
	v_lshl_add_u32 v5, v5, 23, v19
	v_or3_b32 v4, v18, v5, v4
.LBB6_8067:                             ;   in Loop: Header=BB6_7619 Depth=4
	s_or_b64 exec, exec, s[38:39]
.LBB6_8068:                             ;   in Loop: Header=BB6_7619 Depth=4
	s_or_b64 exec, exec, s[36:37]
.LBB6_8069:                             ;   in Loop: Header=BB6_7619 Depth=4
	s_or_b64 exec, exec, s[40:41]
	v_bfe_u32 v31, v8, 24, 3
	v_ffbh_u32_e32 v18, v31
	v_min_u32_e32 v39, 32, v18
	v_lshrrev_b32_e32 v5, 24, v8
	v_subrev_u32_e32 v18, 28, v39
	v_lshlrev_b64 v[18:19], v18, v[5:6]
	v_bfe_u32 v37, v8, 24, 7
	v_bfe_u32 v38, v5, 3, 4
	v_sub_u32_e32 v19, 29, v39
	v_and_b32_e32 v18, 7, v18
	v_cmp_gt_u32_e32 vcc, 8, v37
	v_cndmask_b32_e32 v19, v38, v19, vcc
	v_cndmask_b32_e32 v18, v31, v18, vcc
	v_bfrev_b32_e32 v38, 60
	v_lshlrev_b32_e32 v18, 20, v18
	v_and_b32_e32 v31, 0x80000000, v8
	v_lshl_add_u32 v19, v19, 23, v38
	v_or3_b32 v18, v31, v19, v18
	v_cmp_ne_u32_e32 vcc, s86, v37
	v_mov_b32_e32 v19, 0x7f800001
	v_cndmask_b32_e32 v18, v19, v18, vcc
	v_cmp_ne_u32_e32 vcc, s96, v5
	v_bfrev_b32_e32 v5, 1
	v_cndmask_b32_e32 v5, v5, v18, vcc
	v_cmp_lt_u32_e32 vcc, s57, v8
	v_cndmask_b32_e32 v5, 0, v5, vcc
	v_add_f32_e32 v4, v5, v4
	v_and_b32_e32 v50, 0x7f800000, v4
	v_cmp_ne_u64_e32 vcc, s[76:77], v[50:51]
                                        ; implicit-def: $vgpr31
	s_and_saveexec_b64 s[40:41], vcc
	s_xor_b64 s[36:37], exec, s[40:41]
	s_cbranch_execz .LBB6_8083
; %bb.8070:                             ;   in Loop: Header=BB6_7619 Depth=4
	v_and_b32_e32 v50, 0x7fffffff, v4
	v_cmp_gt_u64_e32 vcc, s[78:79], v[50:51]
	v_and_b32_sdwa v37, v4, s96 dst_sel:DWORD dst_unused:UNUSED_PAD src0_sel:BYTE_3 src1_sel:DWORD
                                        ; implicit-def: $vgpr31
	s_and_saveexec_b64 s[40:41], vcc
	s_xor_b64 s[38:39], exec, s[40:41]
	s_cbranch_execz .LBB6_8080
; %bb.8071:                             ;   in Loop: Header=BB6_7619 Depth=4
	v_mov_b32_e32 v31, 0
	v_cmp_ne_u32_e32 vcc, 0, v4
	s_and_saveexec_b64 s[48:49], vcc
	s_cbranch_execz .LBB6_8079
; %bb.8072:                             ;   in Loop: Header=BB6_7619 Depth=4
	v_bfe_u32 v31, v4, 23, 8
	v_and_b32_e32 v5, 0x7fffff, v4
	v_cmp_gt_u32_e64 s[40:41], s97, v31
	v_sub_u32_e32 v4, 0x79, v31
	v_cmp_eq_u32_e32 vcc, 0, v31
	v_cndmask_b32_e64 v4, 0, v4, s[40:41]
	v_mov_b32_e32 v19, 0x78
	v_cndmask_b32_e32 v38, v4, v19, vcc
	v_or_b32_e32 v18, 0x800000, v5
	v_add_u32_e32 v4, 20, v38
	v_cndmask_b32_e32 v50, v18, v5, vcc
	v_lshlrev_b64 v[4:5], v4, -1
	v_add_u32_e32 v18, 19, v38
	v_lshlrev_b64 v[18:19], v18, 1
	v_bfi_b32 v5, v5, 0, 0
	v_bfi_b32 v4, v4, 0, v50
	v_cmp_eq_u64_e64 s[40:41], v[4:5], v[18:19]
	v_lshrrev_b64 v[18:19], v38, v[50:51]
	v_mov_b32_e32 v4, v18
	v_mov_b32_e32 v5, v19
	s_and_saveexec_b64 s[50:51], s[40:41]
; %bb.8073:                             ;   in Loop: Header=BB6_7619 Depth=4
	v_bfe_u32 v4, v18, 20, 1
	v_add_co_u32_e64 v4, s[40:41], v18, v4
	v_add_co_u32_e64 v4, s[40:41], -1, v4
; %bb.8074:                             ;   in Loop: Header=BB6_7619 Depth=4
	s_or_b64 exec, exec, s[50:51]
	v_add_u32_e32 v5, 0xffffff81, v31
	v_mov_b32_e32 v19, 0xffffff82
	v_cndmask_b32_e32 v5, v5, v19, vcc
	v_lshrrev_b32_e32 v19, 23, v18
	v_add3_u32 v31, v38, v5, v19
	v_add_u32_e32 v5, 6, v31
	v_and_b32_e32 v4, 0xfffff, v4
	v_add_u32_e32 v50, v4, v18
	v_cmp_ne_u32_e32 vcc, 0, v5
                                        ; implicit-def: $vgpr18_vgpr19
                                        ; implicit-def: $vgpr4
	s_and_saveexec_b64 s[40:41], vcc
	s_xor_b64 s[40:41], exec, s[40:41]
; %bb.8075:                             ;   in Loop: Header=BB6_7619 Depth=4
	v_cmp_lt_u64_e32 vcc, s[88:89], v[50:51]
	v_add_u32_e32 v4, 7, v31
	v_cndmask_b32_e32 v4, v5, v4, vcc
	v_cndmask_b32_e64 v5, 0, 1, vcc
	v_lshrrev_b64 v[18:19], v5, v[50:51]
; %bb.8076:                             ;   in Loop: Header=BB6_7619 Depth=4
	s_andn2_saveexec_b64 s[40:41], s[40:41]
; %bb.8077:                             ;   in Loop: Header=BB6_7619 Depth=4
	v_mov_b32_e32 v18, v50
	v_bfe_u32 v4, v50, 23, 1
	v_mov_b32_e32 v19, v51
; %bb.8078:                             ;   in Loop: Header=BB6_7619 Depth=4
	s_or_b64 exec, exec, s[40:41]
	v_lshrrev_b64 v[18:19], 20, v[18:19]
	v_cmp_gt_i32_e32 vcc, 16, v4
	v_cndmask_b32_e32 v19, 0, v19, vcc
	v_cndmask_b32_e32 v18, 7, v18, vcc
	v_cmp_eq_u32_e32 vcc, 0, v4
	v_min_i32_e32 v4, 15, v4
	v_cmp_eq_u64_e64 s[40:41], 0, v[18:19]
	v_lshlrev_b32_e32 v4, 3, v4
	v_and_b32_e32 v4, 0xf8, v4
	v_and_or_b32 v4, v18, 7, v4
	s_and_b64 s[40:41], vcc, s[40:41]
	v_cndmask_b32_e64 v4, v4, 0, s[40:41]
	v_or_b32_e32 v31, v4, v37
.LBB6_8079:                             ;   in Loop: Header=BB6_7619 Depth=4
	s_or_b64 exec, exec, s[48:49]
                                        ; implicit-def: $vgpr37
.LBB6_8080:                             ;   in Loop: Header=BB6_7619 Depth=4
	s_andn2_saveexec_b64 s[40:41], s[38:39]
; %bb.8081:                             ;   in Loop: Header=BB6_7619 Depth=4
	v_or_b32_e32 v31, 0x7e, v37
; %bb.8082:                             ;   in Loop: Header=BB6_7619 Depth=4
	s_or_b64 exec, exec, s[40:41]
                                        ; implicit-def: $vgpr4
.LBB6_8083:                             ;   in Loop: Header=BB6_7619 Depth=4
	s_andn2_saveexec_b64 s[40:41], s[36:37]
; %bb.8084:                             ;   in Loop: Header=BB6_7619 Depth=4
	v_or_b32_sdwa v31, v4, s86 dst_sel:DWORD dst_unused:UNUSED_PAD src0_sel:BYTE_3 src1_sel:DWORD
; %bb.8085:                             ;   in Loop: Header=BB6_7619 Depth=4
	s_or_b64 exec, exec, s[40:41]
	v_lshl_or_b32 v33, v33, 8, v20
	v_lshlrev_b32_e32 v4, 16, v35
	v_lshlrev_b32_e32 v5, 24, v36
	v_or3_b32 v50, v4, v5, v33
	v_cmp_ne_u32_e32 vcc, 0, v20
	v_mov_b32_e32 v4, 0
	s_and_saveexec_b64 s[40:41], vcc
	s_cbranch_execz .LBB6_8091
; %bb.8086:                             ;   in Loop: Header=BB6_7619 Depth=4
	v_cmp_ne_u32_e32 vcc, s96, v20
	v_bfrev_b32_e32 v4, 1
	s_and_saveexec_b64 s[36:37], vcc
	s_cbranch_execz .LBB6_8090
; %bb.8087:                             ;   in Loop: Header=BB6_7619 Depth=4
	v_and_b32_e32 v5, 0x7f, v20
	v_cmp_ne_u32_e32 vcc, s86, v5
	v_mov_b32_e32 v4, 0x7f800001
	s_and_saveexec_b64 s[38:39], vcc
	s_cbranch_execz .LBB6_8089
; %bb.8088:                             ;   in Loop: Header=BB6_7619 Depth=4
	v_and_b32_e32 v4, 7, v20
	v_ffbh_u32_e32 v4, v4
	v_min_u32_e32 v4, 32, v4
	v_lshrrev_b32_e32 v18, 3, v5
	v_cmp_gt_u32_e32 vcc, 8, v5
	v_subrev_u32_e32 v5, 28, v4
	v_sub_u32_e32 v4, 29, v4
	v_cndmask_b32_e32 v18, v18, v4, vcc
	v_cndmask_b32_e32 v4, 0, v5, vcc
	v_lshlrev_b64 v[4:5], v4, v[50:51]
	v_lshlrev_b32_e32 v5, 24, v50
	v_lshlrev_b32_e32 v4, 20, v4
	v_bfrev_b32_e32 v19, 60
	v_and_b32_e32 v4, 0x700000, v4
	v_and_b32_e32 v5, 0x80000000, v5
	v_lshl_add_u32 v18, v18, 23, v19
	v_or3_b32 v4, v5, v18, v4
.LBB6_8089:                             ;   in Loop: Header=BB6_7619 Depth=4
	s_or_b64 exec, exec, s[38:39]
.LBB6_8090:                             ;   in Loop: Header=BB6_7619 Depth=4
	s_or_b64 exec, exec, s[36:37]
.LBB6_8091:                             ;   in Loop: Header=BB6_7619 Depth=4
	s_or_b64 exec, exec, s[40:41]
	v_cmp_gt_i16_sdwa vcc, v9, s86 src0_sel:BYTE_0 src1_sel:DWORD
	s_mov_b64 s[40:41], 0
	s_and_saveexec_b64 s[36:37], vcc
	s_xor_b64 vcc, exec, s[36:37]
	s_cbranch_execz .LBB6_8095
; %bb.8092:                             ;   in Loop: Header=BB6_7619 Depth=4
	v_cmp_eq_u16_sdwa s[38:39], v9, s96 src0_sel:BYTE_0 src1_sel:DWORD
	s_mov_b64 s[40:41], -1
	s_and_saveexec_b64 s[36:37], s[38:39]
; %bb.8093:                             ;   in Loop: Header=BB6_7619 Depth=4
	s_xor_b64 s[40:41], exec, -1
; %bb.8094:                             ;   in Loop: Header=BB6_7619 Depth=4
	s_or_b64 exec, exec, s[36:37]
	s_and_b64 s[40:41], s[40:41], exec
.LBB6_8095:                             ;   in Loop: Header=BB6_7619 Depth=4
	s_or_saveexec_b64 vcc, vcc
	v_bfrev_b32_e32 v5, 1
	s_xor_b64 exec, exec, vcc
; %bb.8096:                             ;   in Loop: Header=BB6_7619 Depth=4
	v_cmp_ne_u16_sdwa s[36:37], v9, v51 src0_sel:BYTE_0 src1_sel:DWORD
	s_andn2_b64 s[40:41], s[40:41], exec
	s_and_b64 s[36:37], s[36:37], exec
	v_mov_b32_e32 v5, 0
	s_or_b64 s[40:41], s[40:41], s[36:37]
; %bb.8097:                             ;   in Loop: Header=BB6_7619 Depth=4
	s_or_b64 exec, exec, vcc
	v_mov_b32_e32 v18, v9
	v_mov_b32_e32 v19, v51
	s_and_saveexec_b64 s[36:37], s[40:41]
	s_cbranch_execz .LBB6_8099
; %bb.8098:                             ;   in Loop: Header=BB6_7619 Depth=4
	v_and_b32_e32 v5, 7, v9
	v_ffbh_u32_e32 v5, v5
	v_and_b32_e32 v35, 0x7f, v9
	v_min_u32_e32 v5, 32, v5
	v_bfe_u32 v20, v9, 3, 4
	v_subrev_u32_e32 v36, 28, v5
	v_sub_u32_e32 v5, 29, v5
	v_cmp_gt_u32_e32 vcc, 8, v35
	v_cndmask_b32_e32 v5, v20, v5, vcc
	v_cndmask_b32_e32 v20, 0, v36, vcc
	v_lshlrev_b64 v[19:20], v20, v[18:19]
	v_lshlrev_b32_e32 v20, 24, v18
	v_lshlrev_b32_e32 v19, 20, v19
	v_bfrev_b32_e32 v36, 60
	v_and_b32_e32 v19, 0x700000, v19
	v_and_b32_e32 v20, 0x80000000, v20
	v_lshl_add_u32 v5, v5, 23, v36
	v_or3_b32 v5, v20, v5, v19
	v_cmp_ne_u32_e32 vcc, s86, v35
	v_mov_b32_e32 v19, 0x7f800001
	v_cndmask_b32_e32 v5, v19, v5, vcc
.LBB6_8099:                             ;   in Loop: Header=BB6_7619 Depth=4
	s_or_b64 exec, exec, s[36:37]
	v_add_f32_e32 v4, v4, v5
	v_and_b32_e32 v19, 0x7f800000, v4
	v_mov_b32_e32 v20, v51
	v_cmp_ne_u64_e32 vcc, s[76:77], v[19:20]
                                        ; implicit-def: $vgpr20
	s_and_saveexec_b64 s[40:41], vcc
	s_xor_b64 s[36:37], exec, s[40:41]
	s_cbranch_execz .LBB6_8113
; %bb.8100:                             ;   in Loop: Header=BB6_7619 Depth=4
	v_and_b32_e32 v19, 0x7fffffff, v4
	v_mov_b32_e32 v20, v51
	v_cmp_gt_u64_e32 vcc, s[78:79], v[19:20]
	v_and_b32_sdwa v35, v4, s96 dst_sel:DWORD dst_unused:UNUSED_PAD src0_sel:BYTE_3 src1_sel:DWORD
                                        ; implicit-def: $vgpr20
	s_and_saveexec_b64 s[40:41], vcc
	s_xor_b64 s[38:39], exec, s[40:41]
	s_cbranch_execz .LBB6_8110
; %bb.8101:                             ;   in Loop: Header=BB6_7619 Depth=4
	v_mov_b32_e32 v20, 0
	v_cmp_ne_u32_e32 vcc, 0, v4
	s_and_saveexec_b64 s[48:49], vcc
	s_cbranch_execz .LBB6_8109
; %bb.8102:                             ;   in Loop: Header=BB6_7619 Depth=4
	v_bfe_u32 v36, v4, 23, 8
	v_and_b32_e32 v5, 0x7fffff, v4
	v_cmp_gt_u32_e64 s[40:41], s97, v36
	v_sub_u32_e32 v4, 0x79, v36
	v_cmp_eq_u32_e32 vcc, 0, v36
	v_cndmask_b32_e64 v4, 0, v4, s[40:41]
	v_mov_b32_e32 v20, 0x78
	v_or_b32_e32 v19, 0x800000, v5
	v_cndmask_b32_e32 v37, v4, v20, vcc
	v_cndmask_b32_e32 v4, v19, v5, vcc
	v_add_u32_e32 v19, 20, v37
	v_lshlrev_b64 v[19:20], v19, -1
	v_add_u32_e32 v38, 19, v37
	v_lshlrev_b64 v[38:39], v38, 1
	v_mov_b32_e32 v5, v51
	v_bfi_b32 v20, v20, 0, 0
	v_bfi_b32 v19, v19, 0, v4
	v_cmp_eq_u64_e64 s[40:41], v[19:20], v[38:39]
	v_lshrrev_b64 v[19:20], v37, v[4:5]
	v_mov_b32_e32 v4, v19
	v_mov_b32_e32 v5, v20
	s_and_saveexec_b64 s[50:51], s[40:41]
; %bb.8103:                             ;   in Loop: Header=BB6_7619 Depth=4
	v_bfe_u32 v4, v19, 20, 1
	v_add_co_u32_e64 v4, s[40:41], v19, v4
	v_add_co_u32_e64 v4, s[40:41], -1, v4
; %bb.8104:                             ;   in Loop: Header=BB6_7619 Depth=4
	s_or_b64 exec, exec, s[50:51]
	v_add_u32_e32 v5, 0xffffff81, v36
	v_mov_b32_e32 v20, 0xffffff82
	v_cndmask_b32_e32 v5, v5, v20, vcc
	v_lshrrev_b32_e32 v20, 23, v19
	v_add3_u32 v36, v37, v5, v20
	v_add_u32_e32 v5, 6, v36
	v_and_b32_e32 v4, 0xfffff, v4
	v_add_u32_e32 v19, v4, v19
	v_mov_b32_e32 v20, v51
	v_cmp_ne_u32_e32 vcc, 0, v5
                                        ; implicit-def: $vgpr4
	s_and_saveexec_b64 s[40:41], vcc
	s_xor_b64 s[40:41], exec, s[40:41]
; %bb.8105:                             ;   in Loop: Header=BB6_7619 Depth=4
	v_cmp_lt_u64_e32 vcc, s[88:89], v[19:20]
	v_add_u32_e32 v4, 7, v36
	v_cndmask_b32_e32 v4, v5, v4, vcc
	v_cndmask_b32_e64 v5, 0, 1, vcc
	v_lshrrev_b64 v[19:20], v5, v[19:20]
; %bb.8106:                             ;   in Loop: Header=BB6_7619 Depth=4
	s_andn2_saveexec_b64 s[40:41], s[40:41]
; %bb.8107:                             ;   in Loop: Header=BB6_7619 Depth=4
	v_bfe_u32 v4, v19, 23, 1
; %bb.8108:                             ;   in Loop: Header=BB6_7619 Depth=4
	s_or_b64 exec, exec, s[40:41]
	v_lshrrev_b64 v[19:20], 20, v[19:20]
	v_cmp_gt_i32_e32 vcc, 16, v4
	v_cndmask_b32_e32 v20, 0, v20, vcc
	v_cndmask_b32_e32 v19, 7, v19, vcc
	v_cmp_eq_u32_e32 vcc, 0, v4
	v_min_i32_e32 v4, 15, v4
	v_cmp_eq_u64_e64 s[40:41], 0, v[19:20]
	v_lshlrev_b32_e32 v4, 3, v4
	v_and_b32_e32 v4, 0xf8, v4
	v_and_or_b32 v4, v19, 7, v4
	s_and_b64 s[40:41], vcc, s[40:41]
	v_cndmask_b32_e64 v4, v4, 0, s[40:41]
	v_or_b32_e32 v20, v4, v35
.LBB6_8109:                             ;   in Loop: Header=BB6_7619 Depth=4
	s_or_b64 exec, exec, s[48:49]
                                        ; implicit-def: $vgpr35
.LBB6_8110:                             ;   in Loop: Header=BB6_7619 Depth=4
	s_andn2_saveexec_b64 s[40:41], s[38:39]
; %bb.8111:                             ;   in Loop: Header=BB6_7619 Depth=4
	v_or_b32_e32 v20, 0x7e, v35
; %bb.8112:                             ;   in Loop: Header=BB6_7619 Depth=4
	s_or_b64 exec, exec, s[40:41]
                                        ; implicit-def: $vgpr4
.LBB6_8113:                             ;   in Loop: Header=BB6_7619 Depth=4
	s_andn2_saveexec_b64 s[40:41], s[36:37]
; %bb.8114:                             ;   in Loop: Header=BB6_7619 Depth=4
	v_or_b32_sdwa v20, v4, s86 dst_sel:DWORD dst_unused:UNUSED_PAD src0_sel:BYTE_3 src1_sel:DWORD
; %bb.8115:                             ;   in Loop: Header=BB6_7619 Depth=4
	s_or_b64 exec, exec, s[40:41]
	v_lshrrev_b16_e32 v19, 8, v33
	v_cmp_ne_u16_e32 vcc, 0, v19
	v_mov_b32_e32 v4, 0
	s_and_saveexec_b64 s[40:41], vcc
	s_cbranch_execz .LBB6_8121
; %bb.8116:                             ;   in Loop: Header=BB6_7619 Depth=4
	v_cmp_ne_u16_e32 vcc, s96, v19
	v_bfrev_b32_e32 v4, 1
	s_and_saveexec_b64 s[36:37], vcc
	s_cbranch_execz .LBB6_8120
; %bb.8117:                             ;   in Loop: Header=BB6_7619 Depth=4
	v_and_b32_e32 v5, 0x7f, v19
	v_cmp_ne_u32_e32 vcc, s86, v5
	v_mov_b32_e32 v4, 0x7f800001
	s_and_saveexec_b64 s[38:39], vcc
	s_cbranch_execz .LBB6_8119
; %bb.8118:                             ;   in Loop: Header=BB6_7619 Depth=4
	v_and_b32_e32 v35, 7, v19
	v_ffbh_u32_e32 v4, v35
	v_min_u32_e32 v37, 32, v4
	v_subrev_u32_e32 v4, 28, v37
	v_lshrrev_b32_e32 v36, 3, v5
	v_cmp_gt_u32_e32 vcc, 8, v5
	v_lshlrev_b64 v[4:5], v4, v[19:20]
	v_sub_u32_e32 v5, 29, v37
	v_and_b32_e32 v4, 7, v4
	v_cndmask_b32_e32 v5, v36, v5, vcc
	v_cndmask_b32_e32 v4, v35, v4, vcc
	v_lshlrev_b32_e32 v19, 16, v33
	v_bfrev_b32_e32 v33, 60
	v_lshlrev_b32_e32 v4, 20, v4
	v_and_b32_e32 v19, 0x80000000, v19
	v_lshl_add_u32 v5, v5, 23, v33
	v_or3_b32 v4, v19, v5, v4
.LBB6_8119:                             ;   in Loop: Header=BB6_7619 Depth=4
	s_or_b64 exec, exec, s[38:39]
.LBB6_8120:                             ;   in Loop: Header=BB6_7619 Depth=4
	s_or_b64 exec, exec, s[36:37]
.LBB6_8121:                             ;   in Loop: Header=BB6_7619 Depth=4
	s_or_b64 exec, exec, s[40:41]
	v_lshrrev_b16_e32 v18, 8, v18
	v_cmp_lt_i16_e32 vcc, s86, v18
	s_mov_b64 s[40:41], 0
	s_and_saveexec_b64 s[36:37], vcc
	s_xor_b64 s[36:37], exec, s[36:37]
	s_cbranch_execz .LBB6_8413
; %bb.8122:                             ;   in Loop: Header=BB6_7619 Depth=4
	v_cmp_eq_u16_e32 vcc, s96, v18
	s_mov_b64 s[40:41], -1
	s_and_saveexec_b64 s[38:39], vcc
; %bb.8123:                             ;   in Loop: Header=BB6_7619 Depth=4
	s_xor_b64 s[40:41], exec, -1
; %bb.8124:                             ;   in Loop: Header=BB6_7619 Depth=4
	s_or_b64 exec, exec, s[38:39]
	s_and_b64 s[40:41], s[40:41], exec
	s_or_saveexec_b64 s[36:37], s[36:37]
	v_bfrev_b32_e32 v5, 1
	s_xor_b64 exec, exec, s[36:37]
	s_cbranch_execnz .LBB6_8414
.LBB6_8125:                             ;   in Loop: Header=BB6_7619 Depth=4
	s_or_b64 exec, exec, s[36:37]
	s_and_saveexec_b64 s[36:37], s[40:41]
	s_cbranch_execz .LBB6_8127
.LBB6_8126:                             ;   in Loop: Header=BB6_7619 Depth=4
	v_and_b32_e32 v5, 7, v18
	v_ffbh_u32_e32 v35, v5
	v_min_u32_e32 v38, 32, v35
	v_mov_b32_e32 v19, v51
	v_subrev_u32_e32 v35, 28, v38
	v_lshlrev_b64 v[35:36], v35, v[18:19]
	v_and_b32_e32 v33, 0x7f, v18
	v_bfe_u32 v37, v18, 3, 4
	v_sub_u32_e32 v19, 29, v38
	v_and_b32_e32 v35, 7, v35
	v_cmp_gt_u32_e32 vcc, 8, v33
	v_cndmask_b32_e32 v19, v37, v19, vcc
	v_cndmask_b32_e32 v5, v5, v35, vcc
	v_lshlrev_b32_e32 v18, 24, v18
	v_bfrev_b32_e32 v35, 60
	v_lshlrev_b32_e32 v5, 20, v5
	v_and_b32_e32 v18, 0x80000000, v18
	v_lshl_add_u32 v19, v19, 23, v35
	v_or3_b32 v5, v18, v19, v5
	v_cmp_ne_u32_e32 vcc, s86, v33
	v_mov_b32_e32 v18, 0x7f800001
	v_cndmask_b32_e32 v5, v18, v5, vcc
.LBB6_8127:                             ;   in Loop: Header=BB6_7619 Depth=4
	s_or_b64 exec, exec, s[36:37]
	v_add_f32_e32 v4, v4, v5
	v_and_b32_e32 v18, 0x7f800000, v4
	v_mov_b32_e32 v19, v51
	v_cmp_ne_u64_e32 vcc, s[76:77], v[18:19]
                                        ; implicit-def: $vgpr33
	s_and_saveexec_b64 s[40:41], vcc
	s_xor_b64 s[36:37], exec, s[40:41]
	s_cbranch_execz .LBB6_8141
; %bb.8128:                             ;   in Loop: Header=BB6_7619 Depth=4
	v_and_b32_e32 v18, 0x7fffffff, v4
	v_mov_b32_e32 v19, v51
	v_cmp_gt_u64_e32 vcc, s[78:79], v[18:19]
	v_and_b32_sdwa v35, v4, s96 dst_sel:DWORD dst_unused:UNUSED_PAD src0_sel:BYTE_3 src1_sel:DWORD
                                        ; implicit-def: $vgpr33
	s_and_saveexec_b64 s[40:41], vcc
	s_xor_b64 s[38:39], exec, s[40:41]
	s_cbranch_execz .LBB6_8138
; %bb.8129:                             ;   in Loop: Header=BB6_7619 Depth=4
	v_mov_b32_e32 v33, 0
	v_cmp_ne_u32_e32 vcc, 0, v4
	s_and_saveexec_b64 s[48:49], vcc
	s_cbranch_execz .LBB6_8137
; %bb.8130:                             ;   in Loop: Header=BB6_7619 Depth=4
	v_bfe_u32 v33, v4, 23, 8
	v_and_b32_e32 v5, 0x7fffff, v4
	v_cmp_gt_u32_e64 s[40:41], s97, v33
	v_sub_u32_e32 v4, 0x79, v33
	v_cmp_eq_u32_e32 vcc, 0, v33
	v_cndmask_b32_e64 v4, 0, v4, s[40:41]
	v_mov_b32_e32 v19, 0x78
	v_or_b32_e32 v18, 0x800000, v5
	v_cndmask_b32_e32 v36, v4, v19, vcc
	v_cndmask_b32_e32 v4, v18, v5, vcc
	v_add_u32_e32 v18, 20, v36
	v_lshlrev_b64 v[18:19], v18, -1
	v_add_u32_e32 v37, 19, v36
	v_lshlrev_b64 v[37:38], v37, 1
	v_mov_b32_e32 v5, v51
	v_bfi_b32 v19, v19, 0, 0
	v_bfi_b32 v18, v18, 0, v4
	v_cmp_eq_u64_e64 s[40:41], v[18:19], v[37:38]
	v_lshrrev_b64 v[18:19], v36, v[4:5]
	v_mov_b32_e32 v4, v18
	v_mov_b32_e32 v5, v19
	s_and_saveexec_b64 s[50:51], s[40:41]
; %bb.8131:                             ;   in Loop: Header=BB6_7619 Depth=4
	v_bfe_u32 v4, v18, 20, 1
	v_add_co_u32_e64 v4, s[40:41], v18, v4
	v_add_co_u32_e64 v4, s[40:41], -1, v4
; %bb.8132:                             ;   in Loop: Header=BB6_7619 Depth=4
	s_or_b64 exec, exec, s[50:51]
	v_add_u32_e32 v5, 0xffffff81, v33
	v_mov_b32_e32 v19, 0xffffff82
	v_cndmask_b32_e32 v5, v5, v19, vcc
	v_lshrrev_b32_e32 v19, 23, v18
	v_add3_u32 v33, v36, v5, v19
	v_add_u32_e32 v5, 6, v33
	v_and_b32_e32 v4, 0xfffff, v4
	v_add_u32_e32 v18, v4, v18
	v_mov_b32_e32 v19, v51
	v_cmp_ne_u32_e32 vcc, 0, v5
                                        ; implicit-def: $vgpr4
	s_and_saveexec_b64 s[40:41], vcc
	s_xor_b64 s[40:41], exec, s[40:41]
; %bb.8133:                             ;   in Loop: Header=BB6_7619 Depth=4
	v_cmp_lt_u64_e32 vcc, s[88:89], v[18:19]
	v_add_u32_e32 v4, 7, v33
	v_cndmask_b32_e32 v4, v5, v4, vcc
	v_cndmask_b32_e64 v5, 0, 1, vcc
	v_lshrrev_b64 v[18:19], v5, v[18:19]
; %bb.8134:                             ;   in Loop: Header=BB6_7619 Depth=4
	s_andn2_saveexec_b64 s[40:41], s[40:41]
; %bb.8135:                             ;   in Loop: Header=BB6_7619 Depth=4
	v_bfe_u32 v4, v18, 23, 1
; %bb.8136:                             ;   in Loop: Header=BB6_7619 Depth=4
	s_or_b64 exec, exec, s[40:41]
	v_lshrrev_b64 v[18:19], 20, v[18:19]
	v_cmp_gt_i32_e32 vcc, 16, v4
	v_cndmask_b32_e32 v19, 0, v19, vcc
	v_cndmask_b32_e32 v18, 7, v18, vcc
	v_cmp_eq_u32_e32 vcc, 0, v4
	v_min_i32_e32 v4, 15, v4
	v_cmp_eq_u64_e64 s[40:41], 0, v[18:19]
	v_lshlrev_b32_e32 v4, 3, v4
	v_and_b32_e32 v4, 0xf8, v4
	v_and_or_b32 v4, v18, 7, v4
	s_and_b64 s[40:41], vcc, s[40:41]
	v_cndmask_b32_e64 v4, v4, 0, s[40:41]
	v_or_b32_e32 v33, v4, v35
.LBB6_8137:                             ;   in Loop: Header=BB6_7619 Depth=4
	s_or_b64 exec, exec, s[48:49]
                                        ; implicit-def: $vgpr35
.LBB6_8138:                             ;   in Loop: Header=BB6_7619 Depth=4
	s_andn2_saveexec_b64 s[40:41], s[38:39]
; %bb.8139:                             ;   in Loop: Header=BB6_7619 Depth=4
	v_or_b32_e32 v33, 0x7e, v35
; %bb.8140:                             ;   in Loop: Header=BB6_7619 Depth=4
	s_or_b64 exec, exec, s[40:41]
                                        ; implicit-def: $vgpr4
.LBB6_8141:                             ;   in Loop: Header=BB6_7619 Depth=4
	s_andn2_saveexec_b64 s[40:41], s[36:37]
; %bb.8142:                             ;   in Loop: Header=BB6_7619 Depth=4
	v_or_b32_sdwa v33, v4, s86 dst_sel:DWORD dst_unused:UNUSED_PAD src0_sel:BYTE_3 src1_sel:DWORD
; %bb.8143:                             ;   in Loop: Header=BB6_7619 Depth=4
	s_or_b64 exec, exec, s[40:41]
	v_lshrrev_b32_e32 v18, 16, v50
	v_cmp_ne_u16_sdwa vcc, v18, v51 src0_sel:BYTE_0 src1_sel:DWORD
	v_mov_b32_e32 v4, 0
	s_and_saveexec_b64 s[40:41], vcc
	s_cbranch_execz .LBB6_8149
; %bb.8144:                             ;   in Loop: Header=BB6_7619 Depth=4
	v_cmp_ne_u16_sdwa vcc, v18, s96 src0_sel:BYTE_0 src1_sel:DWORD
	v_bfrev_b32_e32 v4, 1
	s_and_saveexec_b64 s[36:37], vcc
	s_cbranch_execz .LBB6_8148
; %bb.8145:                             ;   in Loop: Header=BB6_7619 Depth=4
	v_bfe_u32 v5, v50, 16, 7
	v_cmp_ne_u32_e32 vcc, s86, v5
	v_mov_b32_e32 v4, 0x7f800001
	s_and_saveexec_b64 s[38:39], vcc
	s_cbranch_execz .LBB6_8147
; %bb.8146:                             ;   in Loop: Header=BB6_7619 Depth=4
	v_and_b32_e32 v19, 7, v18
	v_ffbh_u32_e32 v4, v19
	v_min_u32_e32 v36, 32, v4
	v_subrev_u32_e32 v4, 28, v36
	v_lshrrev_b32_e32 v35, 3, v5
	v_cmp_gt_u32_e32 vcc, 8, v5
	v_lshlrev_b64 v[4:5], v4, v[18:19]
	v_sub_u32_e32 v5, 29, v36
	v_and_b32_e32 v4, 7, v4
	v_cndmask_b32_e32 v5, v35, v5, vcc
	v_cndmask_b32_e32 v4, v19, v4, vcc
	v_lshlrev_b32_e32 v18, 24, v18
	v_bfrev_b32_e32 v19, 60
	v_lshlrev_b32_e32 v4, 20, v4
	v_and_b32_e32 v18, 0x80000000, v18
	v_lshl_add_u32 v5, v5, 23, v19
	v_or3_b32 v4, v18, v5, v4
.LBB6_8147:                             ;   in Loop: Header=BB6_7619 Depth=4
	s_or_b64 exec, exec, s[38:39]
.LBB6_8148:                             ;   in Loop: Header=BB6_7619 Depth=4
	s_or_b64 exec, exec, s[36:37]
.LBB6_8149:                             ;   in Loop: Header=BB6_7619 Depth=4
	s_or_b64 exec, exec, s[40:41]
	v_lshrrev_b32_e32 v18, 16, v9
	v_cmp_gt_i16_sdwa vcc, v18, s86 src0_sel:BYTE_0 src1_sel:DWORD
	s_mov_b64 s[40:41], 0
	s_and_saveexec_b64 s[36:37], vcc
	s_xor_b64 vcc, exec, s[36:37]
	s_cbranch_execz .LBB6_8415
; %bb.8150:                             ;   in Loop: Header=BB6_7619 Depth=4
	v_cmp_eq_u16_sdwa s[38:39], v18, s96 src0_sel:BYTE_0 src1_sel:DWORD
	s_mov_b64 s[40:41], -1
	s_and_saveexec_b64 s[36:37], s[38:39]
; %bb.8151:                             ;   in Loop: Header=BB6_7619 Depth=4
	s_xor_b64 s[40:41], exec, -1
; %bb.8152:                             ;   in Loop: Header=BB6_7619 Depth=4
	s_or_b64 exec, exec, s[36:37]
	s_and_b64 s[40:41], s[40:41], exec
	s_or_saveexec_b64 vcc, vcc
	v_bfrev_b32_e32 v5, 1
	s_xor_b64 exec, exec, vcc
	s_cbranch_execnz .LBB6_8416
.LBB6_8153:                             ;   in Loop: Header=BB6_7619 Depth=4
	s_or_b64 exec, exec, vcc
	s_and_saveexec_b64 s[36:37], s[40:41]
	s_cbranch_execz .LBB6_8155
.LBB6_8154:                             ;   in Loop: Header=BB6_7619 Depth=4
	v_and_b32_e32 v5, 7, v18
	v_ffbh_u32_e32 v35, v5
	v_min_u32_e32 v38, 32, v35
	v_and_b32_e32 v19, 0x7f, v18
	v_subrev_u32_e32 v35, 28, v38
	v_lshlrev_b64 v[35:36], v35, v[18:19]
	v_bfe_u32 v37, v18, 3, 4
	v_sub_u32_e32 v36, 29, v38
	v_and_b32_e32 v35, 7, v35
	v_cmp_gt_u32_e32 vcc, 8, v19
	v_cndmask_b32_e32 v36, v37, v36, vcc
	v_cndmask_b32_e32 v5, v5, v35, vcc
	v_lshlrev_b32_e32 v18, 24, v18
	v_bfrev_b32_e32 v35, 60
	v_lshlrev_b32_e32 v5, 20, v5
	v_and_b32_e32 v18, 0x80000000, v18
	v_lshl_add_u32 v35, v36, 23, v35
	v_or3_b32 v5, v18, v35, v5
	v_cmp_ne_u32_e32 vcc, s86, v19
	v_mov_b32_e32 v18, 0x7f800001
	v_cndmask_b32_e32 v5, v18, v5, vcc
.LBB6_8155:                             ;   in Loop: Header=BB6_7619 Depth=4
	s_or_b64 exec, exec, s[36:37]
	v_add_f32_e32 v4, v4, v5
	v_and_b32_e32 v18, 0x7f800000, v4
	v_mov_b32_e32 v19, v51
	v_cmp_ne_u64_e32 vcc, s[76:77], v[18:19]
                                        ; implicit-def: $vgpr35
	s_and_saveexec_b64 s[40:41], vcc
	s_xor_b64 s[36:37], exec, s[40:41]
	s_cbranch_execz .LBB6_8169
; %bb.8156:                             ;   in Loop: Header=BB6_7619 Depth=4
	v_and_b32_e32 v18, 0x7fffffff, v4
	v_mov_b32_e32 v19, v51
	v_cmp_gt_u64_e32 vcc, s[78:79], v[18:19]
	v_and_b32_sdwa v36, v4, s96 dst_sel:DWORD dst_unused:UNUSED_PAD src0_sel:BYTE_3 src1_sel:DWORD
                                        ; implicit-def: $vgpr35
	s_and_saveexec_b64 s[40:41], vcc
	s_xor_b64 s[38:39], exec, s[40:41]
	s_cbranch_execz .LBB6_8166
; %bb.8157:                             ;   in Loop: Header=BB6_7619 Depth=4
	v_mov_b32_e32 v35, 0
	v_cmp_ne_u32_e32 vcc, 0, v4
	s_and_saveexec_b64 s[48:49], vcc
	s_cbranch_execz .LBB6_8165
; %bb.8158:                             ;   in Loop: Header=BB6_7619 Depth=4
	v_bfe_u32 v35, v4, 23, 8
	v_and_b32_e32 v5, 0x7fffff, v4
	v_cmp_gt_u32_e64 s[40:41], s97, v35
	v_sub_u32_e32 v4, 0x79, v35
	v_cmp_eq_u32_e32 vcc, 0, v35
	v_cndmask_b32_e64 v4, 0, v4, s[40:41]
	v_mov_b32_e32 v19, 0x78
	v_or_b32_e32 v18, 0x800000, v5
	v_cndmask_b32_e32 v37, v4, v19, vcc
	v_cndmask_b32_e32 v4, v18, v5, vcc
	v_add_u32_e32 v18, 20, v37
	v_lshlrev_b64 v[18:19], v18, -1
	v_add_u32_e32 v38, 19, v37
	v_lshlrev_b64 v[38:39], v38, 1
	v_mov_b32_e32 v5, v51
	v_bfi_b32 v19, v19, 0, 0
	v_bfi_b32 v18, v18, 0, v4
	v_cmp_eq_u64_e64 s[40:41], v[18:19], v[38:39]
	v_lshrrev_b64 v[18:19], v37, v[4:5]
	v_mov_b32_e32 v4, v18
	v_mov_b32_e32 v5, v19
	s_and_saveexec_b64 s[50:51], s[40:41]
; %bb.8159:                             ;   in Loop: Header=BB6_7619 Depth=4
	v_bfe_u32 v4, v18, 20, 1
	v_add_co_u32_e64 v4, s[40:41], v18, v4
	v_add_co_u32_e64 v4, s[40:41], -1, v4
; %bb.8160:                             ;   in Loop: Header=BB6_7619 Depth=4
	s_or_b64 exec, exec, s[50:51]
	v_add_u32_e32 v5, 0xffffff81, v35
	v_mov_b32_e32 v19, 0xffffff82
	v_cndmask_b32_e32 v5, v5, v19, vcc
	v_lshrrev_b32_e32 v19, 23, v18
	v_add3_u32 v35, v37, v5, v19
	v_add_u32_e32 v5, 6, v35
	v_and_b32_e32 v4, 0xfffff, v4
	v_add_u32_e32 v18, v4, v18
	v_mov_b32_e32 v19, v51
	v_cmp_ne_u32_e32 vcc, 0, v5
                                        ; implicit-def: $vgpr4
	s_and_saveexec_b64 s[40:41], vcc
	s_xor_b64 s[40:41], exec, s[40:41]
; %bb.8161:                             ;   in Loop: Header=BB6_7619 Depth=4
	v_cmp_lt_u64_e32 vcc, s[88:89], v[18:19]
	v_add_u32_e32 v4, 7, v35
	v_cndmask_b32_e32 v4, v5, v4, vcc
	v_cndmask_b32_e64 v5, 0, 1, vcc
	v_lshrrev_b64 v[18:19], v5, v[18:19]
; %bb.8162:                             ;   in Loop: Header=BB6_7619 Depth=4
	s_andn2_saveexec_b64 s[40:41], s[40:41]
; %bb.8163:                             ;   in Loop: Header=BB6_7619 Depth=4
	v_bfe_u32 v4, v18, 23, 1
; %bb.8164:                             ;   in Loop: Header=BB6_7619 Depth=4
	s_or_b64 exec, exec, s[40:41]
	v_lshrrev_b64 v[18:19], 20, v[18:19]
	v_cmp_gt_i32_e32 vcc, 16, v4
	v_cndmask_b32_e32 v19, 0, v19, vcc
	v_cndmask_b32_e32 v18, 7, v18, vcc
	v_cmp_eq_u32_e32 vcc, 0, v4
	v_min_i32_e32 v4, 15, v4
	v_cmp_eq_u64_e64 s[40:41], 0, v[18:19]
	v_lshlrev_b32_e32 v4, 3, v4
	v_and_b32_e32 v4, 0xf8, v4
	v_and_or_b32 v4, v18, 7, v4
	s_and_b64 s[40:41], vcc, s[40:41]
	v_cndmask_b32_e64 v4, v4, 0, s[40:41]
	v_or_b32_e32 v35, v4, v36
.LBB6_8165:                             ;   in Loop: Header=BB6_7619 Depth=4
	s_or_b64 exec, exec, s[48:49]
                                        ; implicit-def: $vgpr36
.LBB6_8166:                             ;   in Loop: Header=BB6_7619 Depth=4
	s_andn2_saveexec_b64 s[40:41], s[38:39]
; %bb.8167:                             ;   in Loop: Header=BB6_7619 Depth=4
	v_or_b32_e32 v35, 0x7e, v36
; %bb.8168:                             ;   in Loop: Header=BB6_7619 Depth=4
	s_or_b64 exec, exec, s[40:41]
                                        ; implicit-def: $vgpr4
.LBB6_8169:                             ;   in Loop: Header=BB6_7619 Depth=4
	s_andn2_saveexec_b64 s[40:41], s[36:37]
; %bb.8170:                             ;   in Loop: Header=BB6_7619 Depth=4
	v_or_b32_sdwa v35, v4, s86 dst_sel:DWORD dst_unused:UNUSED_PAD src0_sel:BYTE_3 src1_sel:DWORD
; %bb.8171:                             ;   in Loop: Header=BB6_7619 Depth=4
	s_or_b64 exec, exec, s[40:41]
	v_cmp_lt_u32_e32 vcc, s57, v50
	v_mov_b32_e32 v4, 0
	s_and_saveexec_b64 s[40:41], vcc
	s_cbranch_execz .LBB6_8177
; %bb.8172:                             ;   in Loop: Header=BB6_7619 Depth=4
	v_lshrrev_b32_e32 v18, 24, v50
	v_cmp_ne_u32_sdwa vcc, v50, s96 src0_sel:BYTE_3 src1_sel:DWORD
	v_bfrev_b32_e32 v4, 1
	s_and_saveexec_b64 s[36:37], vcc
	s_cbranch_execz .LBB6_8176
; %bb.8173:                             ;   in Loop: Header=BB6_7619 Depth=4
	v_bfe_u32 v5, v50, 24, 7
	v_cmp_ne_u32_e32 vcc, s86, v5
	v_mov_b32_e32 v4, 0x7f800001
	s_and_saveexec_b64 s[38:39], vcc
	s_cbranch_execz .LBB6_8175
; %bb.8174:                             ;   in Loop: Header=BB6_7619 Depth=4
	v_and_b32_e32 v19, 7, v18
	v_ffbh_u32_e32 v4, v19
	v_min_u32_e32 v37, 32, v4
	v_subrev_u32_e32 v4, 28, v37
	v_lshrrev_b32_e32 v36, 3, v5
	v_cmp_gt_u32_e32 vcc, 8, v5
	v_lshlrev_b64 v[4:5], v4, v[18:19]
	v_sub_u32_e32 v5, 29, v37
	v_and_b32_e32 v4, 7, v4
	v_mov_b32_e32 v18, 24
	v_cndmask_b32_e32 v5, v36, v5, vcc
	v_cndmask_b32_e32 v4, v19, v4, vcc
	v_lshlrev_b32_sdwa v18, v18, v50 dst_sel:DWORD dst_unused:UNUSED_PAD src0_sel:DWORD src1_sel:BYTE_3
	v_bfrev_b32_e32 v19, 60
	v_lshlrev_b32_e32 v4, 20, v4
	v_and_b32_e32 v18, 0x80000000, v18
	v_lshl_add_u32 v5, v5, 23, v19
	v_or3_b32 v4, v18, v5, v4
.LBB6_8175:                             ;   in Loop: Header=BB6_7619 Depth=4
	s_or_b64 exec, exec, s[38:39]
.LBB6_8176:                             ;   in Loop: Header=BB6_7619 Depth=4
	s_or_b64 exec, exec, s[36:37]
.LBB6_8177:                             ;   in Loop: Header=BB6_7619 Depth=4
	s_or_b64 exec, exec, s[40:41]
	v_bfe_u32 v36, v9, 24, 3
	v_ffbh_u32_e32 v18, v36
	v_min_u32_e32 v39, 32, v18
	v_lshrrev_b32_e32 v5, 24, v9
	v_subrev_u32_e32 v18, 28, v39
	v_lshlrev_b64 v[18:19], v18, v[5:6]
	v_bfe_u32 v37, v9, 24, 7
	v_bfe_u32 v38, v5, 3, 4
	v_sub_u32_e32 v19, 29, v39
	v_and_b32_e32 v18, 7, v18
	v_cmp_gt_u32_e32 vcc, 8, v37
	v_cndmask_b32_e32 v19, v38, v19, vcc
	v_cndmask_b32_e32 v18, v36, v18, vcc
	v_bfrev_b32_e32 v38, 60
	v_lshlrev_b32_e32 v18, 20, v18
	v_and_b32_e32 v36, 0x80000000, v9
	v_lshl_add_u32 v19, v19, 23, v38
	v_or3_b32 v18, v36, v19, v18
	v_cmp_ne_u32_e32 vcc, s86, v37
	v_mov_b32_e32 v19, 0x7f800001
	v_cndmask_b32_e32 v18, v19, v18, vcc
	v_cmp_ne_u32_e32 vcc, s96, v5
	v_bfrev_b32_e32 v5, 1
	v_cndmask_b32_e32 v5, v5, v18, vcc
	v_cmp_lt_u64_e32 vcc, s[56:57], v[8:9]
                                        ; implicit-def: $vgpr36
	v_cndmask_b32_e32 v5, 0, v5, vcc
	v_add_f32_e32 v4, v5, v4
	v_and_b32_e32 v50, 0x7f800000, v4
	v_cmp_ne_u64_e32 vcc, s[76:77], v[50:51]
	s_and_saveexec_b64 s[40:41], vcc
	s_xor_b64 s[36:37], exec, s[40:41]
	s_cbranch_execz .LBB6_8191
; %bb.8178:                             ;   in Loop: Header=BB6_7619 Depth=4
	v_and_b32_e32 v50, 0x7fffffff, v4
	v_cmp_gt_u64_e32 vcc, s[78:79], v[50:51]
	v_and_b32_sdwa v18, v4, s96 dst_sel:DWORD dst_unused:UNUSED_PAD src0_sel:BYTE_3 src1_sel:DWORD
                                        ; implicit-def: $vgpr36
	s_and_saveexec_b64 s[40:41], vcc
	s_xor_b64 s[38:39], exec, s[40:41]
	s_cbranch_execz .LBB6_8188
; %bb.8179:                             ;   in Loop: Header=BB6_7619 Depth=4
	v_mov_b32_e32 v36, 0
	v_cmp_ne_u32_e32 vcc, 0, v4
	s_and_saveexec_b64 s[48:49], vcc
	s_cbranch_execz .LBB6_8187
; %bb.8180:                             ;   in Loop: Header=BB6_7619 Depth=4
	v_bfe_u32 v19, v4, 23, 8
	v_and_b32_e32 v5, 0x7fffff, v4
	v_cmp_gt_u32_e64 s[40:41], s97, v19
	v_sub_u32_e32 v4, 0x79, v19
	v_cmp_eq_u32_e32 vcc, 0, v19
	v_cndmask_b32_e64 v4, 0, v4, s[40:41]
	v_mov_b32_e32 v9, 0x78
	v_cndmask_b32_e32 v36, v4, v9, vcc
	v_or_b32_e32 v8, 0x800000, v5
	v_add_u32_e32 v4, 20, v36
	v_cndmask_b32_e32 v50, v8, v5, vcc
	v_lshlrev_b64 v[4:5], v4, -1
	v_add_u32_e32 v8, 19, v36
	v_lshlrev_b64 v[8:9], v8, 1
	v_bfi_b32 v5, v5, 0, 0
	v_bfi_b32 v4, v4, 0, v50
	v_cmp_eq_u64_e64 s[40:41], v[4:5], v[8:9]
	v_lshrrev_b64 v[8:9], v36, v[50:51]
	v_mov_b32_e32 v4, v8
	v_mov_b32_e32 v5, v9
	s_and_saveexec_b64 s[50:51], s[40:41]
; %bb.8181:                             ;   in Loop: Header=BB6_7619 Depth=4
	v_bfe_u32 v4, v8, 20, 1
	v_add_co_u32_e64 v4, s[40:41], v8, v4
	v_add_co_u32_e64 v4, s[40:41], -1, v4
; %bb.8182:                             ;   in Loop: Header=BB6_7619 Depth=4
	s_or_b64 exec, exec, s[50:51]
	v_add_u32_e32 v5, 0xffffff81, v19
	v_mov_b32_e32 v9, 0xffffff82
	v_cndmask_b32_e32 v5, v5, v9, vcc
	v_lshrrev_b32_e32 v9, 23, v8
	v_add3_u32 v19, v36, v5, v9
	v_add_u32_e32 v5, 6, v19
	v_and_b32_e32 v4, 0xfffff, v4
	v_add_u32_e32 v50, v4, v8
	v_cmp_ne_u32_e32 vcc, 0, v5
                                        ; implicit-def: $vgpr8_vgpr9
                                        ; implicit-def: $vgpr4
	s_and_saveexec_b64 s[40:41], vcc
	s_xor_b64 s[40:41], exec, s[40:41]
; %bb.8183:                             ;   in Loop: Header=BB6_7619 Depth=4
	v_cmp_lt_u64_e32 vcc, s[88:89], v[50:51]
	v_add_u32_e32 v4, 7, v19
	v_cndmask_b32_e32 v4, v5, v4, vcc
	v_cndmask_b32_e64 v5, 0, 1, vcc
	v_lshrrev_b64 v[8:9], v5, v[50:51]
; %bb.8184:                             ;   in Loop: Header=BB6_7619 Depth=4
	s_andn2_saveexec_b64 s[40:41], s[40:41]
; %bb.8185:                             ;   in Loop: Header=BB6_7619 Depth=4
	v_mov_b32_e32 v8, v50
	v_bfe_u32 v4, v50, 23, 1
	v_mov_b32_e32 v9, v51
; %bb.8186:                             ;   in Loop: Header=BB6_7619 Depth=4
	s_or_b64 exec, exec, s[40:41]
	v_lshrrev_b64 v[8:9], 20, v[8:9]
	v_cmp_gt_i32_e32 vcc, 16, v4
	v_cndmask_b32_e32 v9, 0, v9, vcc
	v_cndmask_b32_e32 v8, 7, v8, vcc
	v_cmp_eq_u32_e32 vcc, 0, v4
	v_min_i32_e32 v4, 15, v4
	v_cmp_eq_u64_e64 s[40:41], 0, v[8:9]
	v_lshlrev_b32_e32 v4, 3, v4
	v_and_b32_e32 v4, 0xf8, v4
	v_and_or_b32 v4, v8, 7, v4
	s_and_b64 s[40:41], vcc, s[40:41]
	v_cndmask_b32_e64 v4, v4, 0, s[40:41]
	v_or_b32_e32 v36, v4, v18
.LBB6_8187:                             ;   in Loop: Header=BB6_7619 Depth=4
	s_or_b64 exec, exec, s[48:49]
                                        ; implicit-def: $vgpr18
.LBB6_8188:                             ;   in Loop: Header=BB6_7619 Depth=4
	s_andn2_saveexec_b64 s[40:41], s[38:39]
; %bb.8189:                             ;   in Loop: Header=BB6_7619 Depth=4
	v_or_b32_e32 v36, 0x7e, v18
; %bb.8190:                             ;   in Loop: Header=BB6_7619 Depth=4
	s_or_b64 exec, exec, s[40:41]
                                        ; implicit-def: $vgpr4
.LBB6_8191:                             ;   in Loop: Header=BB6_7619 Depth=4
	s_andn2_saveexec_b64 s[40:41], s[36:37]
; %bb.8192:                             ;   in Loop: Header=BB6_7619 Depth=4
	v_or_b32_sdwa v36, v4, s86 dst_sel:DWORD dst_unused:UNUSED_PAD src0_sel:BYTE_3 src1_sel:DWORD
; %bb.8193:                             ;   in Loop: Header=BB6_7619 Depth=4
	s_or_b64 exec, exec, s[40:41]
	v_lshl_or_b32 v18, v29, 8, v25
	v_lshlrev_b32_e32 v4, 16, v32
	v_lshlrev_b32_e32 v5, 24, v34
	v_or3_b32 v50, v4, v5, v18
	v_cmp_ne_u32_e32 vcc, 0, v25
	v_mov_b32_e32 v4, 0
	s_and_saveexec_b64 s[40:41], vcc
	s_cbranch_execz .LBB6_8199
; %bb.8194:                             ;   in Loop: Header=BB6_7619 Depth=4
	v_cmp_ne_u32_e32 vcc, s96, v25
	v_bfrev_b32_e32 v4, 1
	s_and_saveexec_b64 s[36:37], vcc
	s_cbranch_execz .LBB6_8198
; %bb.8195:                             ;   in Loop: Header=BB6_7619 Depth=4
	v_and_b32_e32 v5, 0x7f, v25
	v_cmp_ne_u32_e32 vcc, s86, v5
	v_mov_b32_e32 v4, 0x7f800001
	s_and_saveexec_b64 s[38:39], vcc
	s_cbranch_execz .LBB6_8197
; %bb.8196:                             ;   in Loop: Header=BB6_7619 Depth=4
	v_and_b32_e32 v4, 7, v25
	v_ffbh_u32_e32 v4, v4
	v_min_u32_e32 v4, 32, v4
	v_lshrrev_b32_e32 v8, 3, v5
	v_cmp_gt_u32_e32 vcc, 8, v5
	v_subrev_u32_e32 v5, 28, v4
	v_sub_u32_e32 v4, 29, v4
	v_cndmask_b32_e32 v8, v8, v4, vcc
	v_cndmask_b32_e32 v4, 0, v5, vcc
	v_lshlrev_b64 v[4:5], v4, v[50:51]
	v_lshlrev_b32_e32 v5, 24, v50
	v_lshlrev_b32_e32 v4, 20, v4
	v_bfrev_b32_e32 v9, 60
	v_and_b32_e32 v4, 0x700000, v4
	v_and_b32_e32 v5, 0x80000000, v5
	v_lshl_add_u32 v8, v8, 23, v9
	v_or3_b32 v4, v5, v8, v4
.LBB6_8197:                             ;   in Loop: Header=BB6_7619 Depth=4
	s_or_b64 exec, exec, s[38:39]
.LBB6_8198:                             ;   in Loop: Header=BB6_7619 Depth=4
	s_or_b64 exec, exec, s[36:37]
.LBB6_8199:                             ;   in Loop: Header=BB6_7619 Depth=4
	s_or_b64 exec, exec, s[40:41]
	v_cmp_gt_i16_sdwa vcc, v10, s86 src0_sel:BYTE_0 src1_sel:DWORD
	s_mov_b64 s[40:41], 0
	s_and_saveexec_b64 s[36:37], vcc
	s_xor_b64 vcc, exec, s[36:37]
	s_cbranch_execz .LBB6_8417
; %bb.8200:                             ;   in Loop: Header=BB6_7619 Depth=4
	v_cmp_eq_u16_sdwa s[38:39], v10, s96 src0_sel:BYTE_0 src1_sel:DWORD
	s_mov_b64 s[40:41], -1
	s_and_saveexec_b64 s[36:37], s[38:39]
; %bb.8201:                             ;   in Loop: Header=BB6_7619 Depth=4
	s_xor_b64 s[40:41], exec, -1
; %bb.8202:                             ;   in Loop: Header=BB6_7619 Depth=4
	s_or_b64 exec, exec, s[36:37]
	s_and_b64 s[40:41], s[40:41], exec
	s_or_saveexec_b64 vcc, vcc
	v_bfrev_b32_e32 v5, 1
	s_xor_b64 exec, exec, vcc
	s_cbranch_execnz .LBB6_8418
.LBB6_8203:                             ;   in Loop: Header=BB6_7619 Depth=4
	s_or_b64 exec, exec, vcc
	s_and_saveexec_b64 s[36:37], s[40:41]
	s_cbranch_execz .LBB6_8205
.LBB6_8204:                             ;   in Loop: Header=BB6_7619 Depth=4
	v_and_b32_e32 v5, 7, v10
	v_ffbh_u32_e32 v5, v5
	v_and_b32_e32 v19, 0x7f, v10
	v_min_u32_e32 v5, 32, v5
	v_bfe_u32 v8, v10, 3, 4
	v_subrev_u32_e32 v9, 28, v5
	v_sub_u32_e32 v5, 29, v5
	v_cmp_gt_u32_e32 vcc, 8, v19
	v_cndmask_b32_e32 v5, v8, v5, vcc
	v_cndmask_b32_e32 v8, 0, v9, vcc
	v_lshlrev_b64 v[8:9], v8, v[10:11]
	v_lshlrev_b32_e32 v9, 24, v10
	v_lshlrev_b32_e32 v8, 20, v8
	v_bfrev_b32_e32 v25, 60
	v_and_b32_e32 v8, 0x700000, v8
	v_and_b32_e32 v9, 0x80000000, v9
	v_lshl_add_u32 v5, v5, 23, v25
	v_or3_b32 v5, v9, v5, v8
	v_cmp_ne_u32_e32 vcc, s86, v19
	v_mov_b32_e32 v8, 0x7f800001
	v_cndmask_b32_e32 v5, v8, v5, vcc
.LBB6_8205:                             ;   in Loop: Header=BB6_7619 Depth=4
	s_or_b64 exec, exec, s[36:37]
	v_add_f32_e32 v4, v4, v5
	v_and_b32_e32 v8, 0x7f800000, v4
	v_mov_b32_e32 v9, v51
	v_cmp_ne_u64_e32 vcc, s[76:77], v[8:9]
                                        ; implicit-def: $vgpr25
	s_and_saveexec_b64 s[40:41], vcc
	s_xor_b64 s[36:37], exec, s[40:41]
	s_cbranch_execz .LBB6_8219
; %bb.8206:                             ;   in Loop: Header=BB6_7619 Depth=4
	v_and_b32_e32 v8, 0x7fffffff, v4
	v_mov_b32_e32 v9, v51
	v_cmp_gt_u64_e32 vcc, s[78:79], v[8:9]
	v_and_b32_sdwa v19, v4, s96 dst_sel:DWORD dst_unused:UNUSED_PAD src0_sel:BYTE_3 src1_sel:DWORD
                                        ; implicit-def: $vgpr25
	s_and_saveexec_b64 s[40:41], vcc
	s_xor_b64 s[38:39], exec, s[40:41]
	s_cbranch_execz .LBB6_8216
; %bb.8207:                             ;   in Loop: Header=BB6_7619 Depth=4
	v_mov_b32_e32 v25, 0
	v_cmp_ne_u32_e32 vcc, 0, v4
	s_and_saveexec_b64 s[48:49], vcc
	s_cbranch_execz .LBB6_8215
; %bb.8208:                             ;   in Loop: Header=BB6_7619 Depth=4
	v_bfe_u32 v25, v4, 23, 8
	v_and_b32_e32 v5, 0x7fffff, v4
	v_cmp_gt_u32_e64 s[40:41], s97, v25
	v_sub_u32_e32 v4, 0x79, v25
	v_cmp_eq_u32_e32 vcc, 0, v25
	v_cndmask_b32_e64 v4, 0, v4, s[40:41]
	v_mov_b32_e32 v9, 0x78
	v_or_b32_e32 v8, 0x800000, v5
	v_cndmask_b32_e32 v29, v4, v9, vcc
	v_cndmask_b32_e32 v4, v8, v5, vcc
	v_add_u32_e32 v8, 20, v29
	v_lshlrev_b64 v[8:9], v8, -1
	v_add_u32_e32 v32, 19, v29
	v_lshlrev_b64 v[37:38], v32, 1
	v_mov_b32_e32 v5, v51
	v_bfi_b32 v9, v9, 0, 0
	v_bfi_b32 v8, v8, 0, v4
	v_cmp_eq_u64_e64 s[40:41], v[8:9], v[37:38]
	v_lshrrev_b64 v[8:9], v29, v[4:5]
	v_mov_b32_e32 v4, v8
	v_mov_b32_e32 v5, v9
	s_and_saveexec_b64 s[50:51], s[40:41]
; %bb.8209:                             ;   in Loop: Header=BB6_7619 Depth=4
	v_bfe_u32 v4, v8, 20, 1
	v_add_co_u32_e64 v4, s[40:41], v8, v4
	v_add_co_u32_e64 v4, s[40:41], -1, v4
; %bb.8210:                             ;   in Loop: Header=BB6_7619 Depth=4
	s_or_b64 exec, exec, s[50:51]
	v_add_u32_e32 v5, 0xffffff81, v25
	v_mov_b32_e32 v9, 0xffffff82
	v_cndmask_b32_e32 v5, v5, v9, vcc
	v_lshrrev_b32_e32 v9, 23, v8
	v_add3_u32 v25, v29, v5, v9
	v_add_u32_e32 v5, 6, v25
	v_and_b32_e32 v4, 0xfffff, v4
	v_add_u32_e32 v8, v4, v8
	v_mov_b32_e32 v9, v51
	v_cmp_ne_u32_e32 vcc, 0, v5
                                        ; implicit-def: $vgpr4
	s_and_saveexec_b64 s[40:41], vcc
	s_xor_b64 s[40:41], exec, s[40:41]
; %bb.8211:                             ;   in Loop: Header=BB6_7619 Depth=4
	v_cmp_lt_u64_e32 vcc, s[88:89], v[8:9]
	v_add_u32_e32 v4, 7, v25
	v_cndmask_b32_e32 v4, v5, v4, vcc
	v_cndmask_b32_e64 v5, 0, 1, vcc
	v_lshrrev_b64 v[8:9], v5, v[8:9]
; %bb.8212:                             ;   in Loop: Header=BB6_7619 Depth=4
	s_andn2_saveexec_b64 s[40:41], s[40:41]
; %bb.8213:                             ;   in Loop: Header=BB6_7619 Depth=4
	v_bfe_u32 v4, v8, 23, 1
; %bb.8214:                             ;   in Loop: Header=BB6_7619 Depth=4
	s_or_b64 exec, exec, s[40:41]
	v_lshrrev_b64 v[8:9], 20, v[8:9]
	v_cmp_gt_i32_e32 vcc, 16, v4
	v_cndmask_b32_e32 v9, 0, v9, vcc
	v_cndmask_b32_e32 v8, 7, v8, vcc
	v_cmp_eq_u32_e32 vcc, 0, v4
	v_min_i32_e32 v4, 15, v4
	v_cmp_eq_u64_e64 s[40:41], 0, v[8:9]
	v_lshlrev_b32_e32 v4, 3, v4
	v_and_b32_e32 v4, 0xf8, v4
	v_and_or_b32 v4, v8, 7, v4
	s_and_b64 s[40:41], vcc, s[40:41]
	v_cndmask_b32_e64 v4, v4, 0, s[40:41]
	v_or_b32_e32 v25, v4, v19
.LBB6_8215:                             ;   in Loop: Header=BB6_7619 Depth=4
	s_or_b64 exec, exec, s[48:49]
                                        ; implicit-def: $vgpr19
.LBB6_8216:                             ;   in Loop: Header=BB6_7619 Depth=4
	s_andn2_saveexec_b64 s[40:41], s[38:39]
; %bb.8217:                             ;   in Loop: Header=BB6_7619 Depth=4
	v_or_b32_e32 v25, 0x7e, v19
; %bb.8218:                             ;   in Loop: Header=BB6_7619 Depth=4
	s_or_b64 exec, exec, s[40:41]
                                        ; implicit-def: $vgpr4
.LBB6_8219:                             ;   in Loop: Header=BB6_7619 Depth=4
	s_andn2_saveexec_b64 s[40:41], s[36:37]
; %bb.8220:                             ;   in Loop: Header=BB6_7619 Depth=4
	v_or_b32_sdwa v25, v4, s86 dst_sel:DWORD dst_unused:UNUSED_PAD src0_sel:BYTE_3 src1_sel:DWORD
; %bb.8221:                             ;   in Loop: Header=BB6_7619 Depth=4
	s_or_b64 exec, exec, s[40:41]
	v_lshrrev_b16_e32 v8, 8, v18
	v_cmp_ne_u16_e32 vcc, 0, v8
	v_mov_b32_e32 v4, 0
	s_and_saveexec_b64 s[40:41], vcc
	s_cbranch_execz .LBB6_8227
; %bb.8222:                             ;   in Loop: Header=BB6_7619 Depth=4
	v_cmp_ne_u16_e32 vcc, s96, v8
	v_bfrev_b32_e32 v4, 1
	s_and_saveexec_b64 s[36:37], vcc
	s_cbranch_execz .LBB6_8226
; %bb.8223:                             ;   in Loop: Header=BB6_7619 Depth=4
	v_and_b32_e32 v5, 0x7f, v8
	v_cmp_ne_u32_e32 vcc, s86, v5
	v_mov_b32_e32 v4, 0x7f800001
	s_and_saveexec_b64 s[38:39], vcc
	s_cbranch_execz .LBB6_8225
; %bb.8224:                             ;   in Loop: Header=BB6_7619 Depth=4
	v_and_b32_e32 v9, 7, v8
	v_ffbh_u32_e32 v4, v9
	v_min_u32_e32 v29, 32, v4
	v_subrev_u32_e32 v4, 28, v29
	v_lshrrev_b32_e32 v19, 3, v5
	v_cmp_gt_u32_e32 vcc, 8, v5
	v_lshlrev_b64 v[4:5], v4, v[8:9]
	v_sub_u32_e32 v5, 29, v29
	v_and_b32_e32 v4, 7, v4
	v_cndmask_b32_e32 v5, v19, v5, vcc
	v_cndmask_b32_e32 v4, v9, v4, vcc
	v_lshlrev_b32_e32 v8, 16, v18
	v_bfrev_b32_e32 v9, 60
	v_lshlrev_b32_e32 v4, 20, v4
	v_and_b32_e32 v8, 0x80000000, v8
	v_lshl_add_u32 v5, v5, 23, v9
	v_or3_b32 v4, v8, v5, v4
.LBB6_8225:                             ;   in Loop: Header=BB6_7619 Depth=4
	s_or_b64 exec, exec, s[38:39]
.LBB6_8226:                             ;   in Loop: Header=BB6_7619 Depth=4
	s_or_b64 exec, exec, s[36:37]
.LBB6_8227:                             ;   in Loop: Header=BB6_7619 Depth=4
	s_or_b64 exec, exec, s[40:41]
	v_lshrrev_b16_e32 v8, 8, v10
	v_cmp_lt_i16_e32 vcc, s86, v8
	s_mov_b64 s[40:41], 0
	s_and_saveexec_b64 s[36:37], vcc
	s_xor_b64 s[36:37], exec, s[36:37]
	s_cbranch_execz .LBB6_8419
; %bb.8228:                             ;   in Loop: Header=BB6_7619 Depth=4
	v_cmp_eq_u16_e32 vcc, s96, v8
	s_mov_b64 s[40:41], -1
	s_and_saveexec_b64 s[38:39], vcc
; %bb.8229:                             ;   in Loop: Header=BB6_7619 Depth=4
	s_xor_b64 s[40:41], exec, -1
; %bb.8230:                             ;   in Loop: Header=BB6_7619 Depth=4
	s_or_b64 exec, exec, s[38:39]
	s_and_b64 s[40:41], s[40:41], exec
	s_or_saveexec_b64 s[36:37], s[36:37]
	v_bfrev_b32_e32 v5, 1
	s_xor_b64 exec, exec, s[36:37]
	s_cbranch_execnz .LBB6_8420
.LBB6_8231:                             ;   in Loop: Header=BB6_7619 Depth=4
	s_or_b64 exec, exec, s[36:37]
	s_and_saveexec_b64 s[36:37], s[40:41]
	s_cbranch_execz .LBB6_8233
.LBB6_8232:                             ;   in Loop: Header=BB6_7619 Depth=4
	v_and_b32_e32 v5, 7, v8
	v_ffbh_u32_e32 v18, v5
	v_min_u32_e32 v34, 32, v18
	v_mov_b32_e32 v9, v51
	v_subrev_u32_e32 v18, 28, v34
	v_lshlrev_b64 v[18:19], v18, v[8:9]
	v_and_b32_e32 v29, 0x7f, v8
	v_bfe_u32 v32, v8, 3, 4
	v_sub_u32_e32 v9, 29, v34
	v_and_b32_e32 v18, 7, v18
	v_cmp_gt_u32_e32 vcc, 8, v29
	v_cndmask_b32_e32 v9, v32, v9, vcc
	v_cndmask_b32_e32 v5, v5, v18, vcc
	v_lshlrev_b32_e32 v8, 24, v8
	v_bfrev_b32_e32 v18, 60
	v_lshlrev_b32_e32 v5, 20, v5
	v_and_b32_e32 v8, 0x80000000, v8
	v_lshl_add_u32 v9, v9, 23, v18
	v_or3_b32 v5, v8, v9, v5
	v_cmp_ne_u32_e32 vcc, s86, v29
	v_mov_b32_e32 v8, 0x7f800001
	v_cndmask_b32_e32 v5, v8, v5, vcc
.LBB6_8233:                             ;   in Loop: Header=BB6_7619 Depth=4
	s_or_b64 exec, exec, s[36:37]
	v_add_f32_e32 v4, v4, v5
	v_and_b32_e32 v8, 0x7f800000, v4
	v_mov_b32_e32 v9, v51
	v_cmp_ne_u64_e32 vcc, s[76:77], v[8:9]
                                        ; implicit-def: $vgpr29
	s_and_saveexec_b64 s[40:41], vcc
	s_xor_b64 s[36:37], exec, s[40:41]
	s_cbranch_execz .LBB6_8247
; %bb.8234:                             ;   in Loop: Header=BB6_7619 Depth=4
	v_and_b32_e32 v8, 0x7fffffff, v4
	v_mov_b32_e32 v9, v51
	v_cmp_gt_u64_e32 vcc, s[78:79], v[8:9]
	v_and_b32_sdwa v18, v4, s96 dst_sel:DWORD dst_unused:UNUSED_PAD src0_sel:BYTE_3 src1_sel:DWORD
                                        ; implicit-def: $vgpr29
	s_and_saveexec_b64 s[40:41], vcc
	s_xor_b64 s[38:39], exec, s[40:41]
	s_cbranch_execz .LBB6_8244
; %bb.8235:                             ;   in Loop: Header=BB6_7619 Depth=4
	v_mov_b32_e32 v29, 0
	v_cmp_ne_u32_e32 vcc, 0, v4
	s_and_saveexec_b64 s[48:49], vcc
	s_cbranch_execz .LBB6_8243
; %bb.8236:                             ;   in Loop: Header=BB6_7619 Depth=4
	v_bfe_u32 v19, v4, 23, 8
	v_and_b32_e32 v5, 0x7fffff, v4
	v_cmp_gt_u32_e64 s[40:41], s97, v19
	v_sub_u32_e32 v4, 0x79, v19
	v_cmp_eq_u32_e32 vcc, 0, v19
	v_cndmask_b32_e64 v4, 0, v4, s[40:41]
	v_mov_b32_e32 v9, 0x78
	v_or_b32_e32 v8, 0x800000, v5
	v_cndmask_b32_e32 v29, v4, v9, vcc
	v_cndmask_b32_e32 v4, v8, v5, vcc
	v_add_u32_e32 v8, 20, v29
	v_lshlrev_b64 v[8:9], v8, -1
	v_add_u32_e32 v32, 19, v29
	v_lshlrev_b64 v[37:38], v32, 1
	v_mov_b32_e32 v5, v51
	v_bfi_b32 v9, v9, 0, 0
	v_bfi_b32 v8, v8, 0, v4
	v_cmp_eq_u64_e64 s[40:41], v[8:9], v[37:38]
	v_lshrrev_b64 v[8:9], v29, v[4:5]
	v_mov_b32_e32 v4, v8
	v_mov_b32_e32 v5, v9
	s_and_saveexec_b64 s[50:51], s[40:41]
; %bb.8237:                             ;   in Loop: Header=BB6_7619 Depth=4
	v_bfe_u32 v4, v8, 20, 1
	v_add_co_u32_e64 v4, s[40:41], v8, v4
	v_add_co_u32_e64 v4, s[40:41], -1, v4
; %bb.8238:                             ;   in Loop: Header=BB6_7619 Depth=4
	s_or_b64 exec, exec, s[50:51]
	v_add_u32_e32 v5, 0xffffff81, v19
	v_mov_b32_e32 v9, 0xffffff82
	v_cndmask_b32_e32 v5, v5, v9, vcc
	v_lshrrev_b32_e32 v9, 23, v8
	v_add3_u32 v19, v29, v5, v9
	v_add_u32_e32 v5, 6, v19
	v_and_b32_e32 v4, 0xfffff, v4
	v_add_u32_e32 v8, v4, v8
	v_mov_b32_e32 v9, v51
	v_cmp_ne_u32_e32 vcc, 0, v5
                                        ; implicit-def: $vgpr4
	s_and_saveexec_b64 s[40:41], vcc
	s_xor_b64 s[40:41], exec, s[40:41]
; %bb.8239:                             ;   in Loop: Header=BB6_7619 Depth=4
	v_cmp_lt_u64_e32 vcc, s[88:89], v[8:9]
	v_add_u32_e32 v4, 7, v19
	v_cndmask_b32_e32 v4, v5, v4, vcc
	v_cndmask_b32_e64 v5, 0, 1, vcc
	v_lshrrev_b64 v[8:9], v5, v[8:9]
; %bb.8240:                             ;   in Loop: Header=BB6_7619 Depth=4
	s_andn2_saveexec_b64 s[40:41], s[40:41]
; %bb.8241:                             ;   in Loop: Header=BB6_7619 Depth=4
	v_bfe_u32 v4, v8, 23, 1
; %bb.8242:                             ;   in Loop: Header=BB6_7619 Depth=4
	s_or_b64 exec, exec, s[40:41]
	v_lshrrev_b64 v[8:9], 20, v[8:9]
	v_cmp_gt_i32_e32 vcc, 16, v4
	v_cndmask_b32_e32 v9, 0, v9, vcc
	v_cndmask_b32_e32 v8, 7, v8, vcc
	v_cmp_eq_u32_e32 vcc, 0, v4
	v_min_i32_e32 v4, 15, v4
	v_cmp_eq_u64_e64 s[40:41], 0, v[8:9]
	v_lshlrev_b32_e32 v4, 3, v4
	v_and_b32_e32 v4, 0xf8, v4
	v_and_or_b32 v4, v8, 7, v4
	s_and_b64 s[40:41], vcc, s[40:41]
	v_cndmask_b32_e64 v4, v4, 0, s[40:41]
	v_or_b32_e32 v29, v4, v18
.LBB6_8243:                             ;   in Loop: Header=BB6_7619 Depth=4
	s_or_b64 exec, exec, s[48:49]
                                        ; implicit-def: $vgpr18
.LBB6_8244:                             ;   in Loop: Header=BB6_7619 Depth=4
	s_andn2_saveexec_b64 s[40:41], s[38:39]
; %bb.8245:                             ;   in Loop: Header=BB6_7619 Depth=4
	v_or_b32_e32 v29, 0x7e, v18
; %bb.8246:                             ;   in Loop: Header=BB6_7619 Depth=4
	s_or_b64 exec, exec, s[40:41]
                                        ; implicit-def: $vgpr4
.LBB6_8247:                             ;   in Loop: Header=BB6_7619 Depth=4
	s_andn2_saveexec_b64 s[40:41], s[36:37]
; %bb.8248:                             ;   in Loop: Header=BB6_7619 Depth=4
	v_or_b32_sdwa v29, v4, s86 dst_sel:DWORD dst_unused:UNUSED_PAD src0_sel:BYTE_3 src1_sel:DWORD
; %bb.8249:                             ;   in Loop: Header=BB6_7619 Depth=4
	s_or_b64 exec, exec, s[40:41]
	v_lshrrev_b32_e32 v8, 16, v50
	v_cmp_ne_u16_sdwa vcc, v8, v51 src0_sel:BYTE_0 src1_sel:DWORD
	v_mov_b32_e32 v4, 0
	s_and_saveexec_b64 s[40:41], vcc
	s_cbranch_execz .LBB6_8255
; %bb.8250:                             ;   in Loop: Header=BB6_7619 Depth=4
	v_cmp_ne_u16_sdwa vcc, v8, s96 src0_sel:BYTE_0 src1_sel:DWORD
	v_bfrev_b32_e32 v4, 1
	s_and_saveexec_b64 s[36:37], vcc
	s_cbranch_execz .LBB6_8254
; %bb.8251:                             ;   in Loop: Header=BB6_7619 Depth=4
	v_bfe_u32 v5, v50, 16, 7
	v_cmp_ne_u32_e32 vcc, s86, v5
	v_mov_b32_e32 v4, 0x7f800001
	s_and_saveexec_b64 s[38:39], vcc
	s_cbranch_execz .LBB6_8253
; %bb.8252:                             ;   in Loop: Header=BB6_7619 Depth=4
	v_and_b32_e32 v9, 7, v8
	v_ffbh_u32_e32 v4, v9
	v_min_u32_e32 v19, 32, v4
	v_subrev_u32_e32 v4, 28, v19
	v_lshrrev_b32_e32 v18, 3, v5
	v_cmp_gt_u32_e32 vcc, 8, v5
	v_lshlrev_b64 v[4:5], v4, v[8:9]
	v_sub_u32_e32 v5, 29, v19
	v_and_b32_e32 v4, 7, v4
	v_cndmask_b32_e32 v5, v18, v5, vcc
	v_cndmask_b32_e32 v4, v9, v4, vcc
	v_lshlrev_b32_e32 v8, 24, v8
	v_bfrev_b32_e32 v9, 60
	v_lshlrev_b32_e32 v4, 20, v4
	v_and_b32_e32 v8, 0x80000000, v8
	v_lshl_add_u32 v5, v5, 23, v9
	v_or3_b32 v4, v8, v5, v4
.LBB6_8253:                             ;   in Loop: Header=BB6_7619 Depth=4
	s_or_b64 exec, exec, s[38:39]
.LBB6_8254:                             ;   in Loop: Header=BB6_7619 Depth=4
	s_or_b64 exec, exec, s[36:37]
.LBB6_8255:                             ;   in Loop: Header=BB6_7619 Depth=4
	s_or_b64 exec, exec, s[40:41]
	v_lshrrev_b32_e32 v8, 16, v10
	v_cmp_gt_i16_sdwa vcc, v8, s86 src0_sel:BYTE_0 src1_sel:DWORD
	s_mov_b64 s[40:41], 0
	s_and_saveexec_b64 s[36:37], vcc
	s_xor_b64 vcc, exec, s[36:37]
	s_cbranch_execz .LBB6_8421
; %bb.8256:                             ;   in Loop: Header=BB6_7619 Depth=4
	v_cmp_eq_u16_sdwa s[38:39], v8, s96 src0_sel:BYTE_0 src1_sel:DWORD
	s_mov_b64 s[40:41], -1
	s_and_saveexec_b64 s[36:37], s[38:39]
; %bb.8257:                             ;   in Loop: Header=BB6_7619 Depth=4
	s_xor_b64 s[40:41], exec, -1
; %bb.8258:                             ;   in Loop: Header=BB6_7619 Depth=4
	s_or_b64 exec, exec, s[36:37]
	s_and_b64 s[40:41], s[40:41], exec
	s_or_saveexec_b64 vcc, vcc
	v_bfrev_b32_e32 v5, 1
	s_xor_b64 exec, exec, vcc
	s_cbranch_execnz .LBB6_8422
.LBB6_8259:                             ;   in Loop: Header=BB6_7619 Depth=4
	s_or_b64 exec, exec, vcc
	s_and_saveexec_b64 s[36:37], s[40:41]
	s_cbranch_execz .LBB6_8261
.LBB6_8260:                             ;   in Loop: Header=BB6_7619 Depth=4
	v_and_b32_e32 v5, 7, v8
	v_ffbh_u32_e32 v18, v5
	v_min_u32_e32 v34, 32, v18
	v_and_b32_e32 v9, 0x7f, v8
	v_subrev_u32_e32 v18, 28, v34
	v_lshlrev_b64 v[18:19], v18, v[8:9]
	v_bfe_u32 v32, v8, 3, 4
	v_sub_u32_e32 v19, 29, v34
	v_and_b32_e32 v18, 7, v18
	v_cmp_gt_u32_e32 vcc, 8, v9
	v_cndmask_b32_e32 v19, v32, v19, vcc
	v_cndmask_b32_e32 v5, v5, v18, vcc
	v_lshlrev_b32_e32 v8, 24, v8
	v_bfrev_b32_e32 v18, 60
	v_lshlrev_b32_e32 v5, 20, v5
	v_and_b32_e32 v8, 0x80000000, v8
	v_lshl_add_u32 v18, v19, 23, v18
	v_or3_b32 v5, v8, v18, v5
	v_cmp_ne_u32_e32 vcc, s86, v9
	v_mov_b32_e32 v8, 0x7f800001
	v_cndmask_b32_e32 v5, v8, v5, vcc
.LBB6_8261:                             ;   in Loop: Header=BB6_7619 Depth=4
	s_or_b64 exec, exec, s[36:37]
	v_add_f32_e32 v4, v4, v5
	v_and_b32_e32 v8, 0x7f800000, v4
	v_mov_b32_e32 v9, v51
	v_cmp_ne_u64_e32 vcc, s[76:77], v[8:9]
                                        ; implicit-def: $vgpr32
	s_and_saveexec_b64 s[40:41], vcc
	s_xor_b64 s[36:37], exec, s[40:41]
	s_cbranch_execz .LBB6_8275
; %bb.8262:                             ;   in Loop: Header=BB6_7619 Depth=4
	v_and_b32_e32 v8, 0x7fffffff, v4
	v_mov_b32_e32 v9, v51
	v_cmp_gt_u64_e32 vcc, s[78:79], v[8:9]
	v_and_b32_sdwa v18, v4, s96 dst_sel:DWORD dst_unused:UNUSED_PAD src0_sel:BYTE_3 src1_sel:DWORD
                                        ; implicit-def: $vgpr32
	s_and_saveexec_b64 s[40:41], vcc
	s_xor_b64 s[38:39], exec, s[40:41]
	s_cbranch_execz .LBB6_8272
; %bb.8263:                             ;   in Loop: Header=BB6_7619 Depth=4
	v_mov_b32_e32 v32, 0
	v_cmp_ne_u32_e32 vcc, 0, v4
	s_and_saveexec_b64 s[48:49], vcc
	s_cbranch_execz .LBB6_8271
; %bb.8264:                             ;   in Loop: Header=BB6_7619 Depth=4
	v_bfe_u32 v19, v4, 23, 8
	v_and_b32_e32 v5, 0x7fffff, v4
	v_cmp_gt_u32_e64 s[40:41], s97, v19
	v_sub_u32_e32 v4, 0x79, v19
	v_cmp_eq_u32_e32 vcc, 0, v19
	v_cndmask_b32_e64 v4, 0, v4, s[40:41]
	v_mov_b32_e32 v9, 0x78
	v_or_b32_e32 v8, 0x800000, v5
	v_cndmask_b32_e32 v32, v4, v9, vcc
	v_cndmask_b32_e32 v4, v8, v5, vcc
	v_add_u32_e32 v8, 20, v32
	v_lshlrev_b64 v[8:9], v8, -1
	v_add_u32_e32 v34, 19, v32
	v_lshlrev_b64 v[37:38], v34, 1
	v_mov_b32_e32 v5, v51
	v_bfi_b32 v9, v9, 0, 0
	v_bfi_b32 v8, v8, 0, v4
	v_cmp_eq_u64_e64 s[40:41], v[8:9], v[37:38]
	v_lshrrev_b64 v[8:9], v32, v[4:5]
	v_mov_b32_e32 v4, v8
	v_mov_b32_e32 v5, v9
	s_and_saveexec_b64 s[50:51], s[40:41]
; %bb.8265:                             ;   in Loop: Header=BB6_7619 Depth=4
	v_bfe_u32 v4, v8, 20, 1
	v_add_co_u32_e64 v4, s[40:41], v8, v4
	v_add_co_u32_e64 v4, s[40:41], -1, v4
; %bb.8266:                             ;   in Loop: Header=BB6_7619 Depth=4
	s_or_b64 exec, exec, s[50:51]
	v_add_u32_e32 v5, 0xffffff81, v19
	v_mov_b32_e32 v9, 0xffffff82
	v_cndmask_b32_e32 v5, v5, v9, vcc
	v_lshrrev_b32_e32 v9, 23, v8
	v_add3_u32 v19, v32, v5, v9
	v_add_u32_e32 v5, 6, v19
	v_and_b32_e32 v4, 0xfffff, v4
	v_add_u32_e32 v8, v4, v8
	v_mov_b32_e32 v9, v51
	v_cmp_ne_u32_e32 vcc, 0, v5
                                        ; implicit-def: $vgpr4
	s_and_saveexec_b64 s[40:41], vcc
	s_xor_b64 s[40:41], exec, s[40:41]
; %bb.8267:                             ;   in Loop: Header=BB6_7619 Depth=4
	v_cmp_lt_u64_e32 vcc, s[88:89], v[8:9]
	v_add_u32_e32 v4, 7, v19
	v_cndmask_b32_e32 v4, v5, v4, vcc
	v_cndmask_b32_e64 v5, 0, 1, vcc
	v_lshrrev_b64 v[8:9], v5, v[8:9]
; %bb.8268:                             ;   in Loop: Header=BB6_7619 Depth=4
	s_andn2_saveexec_b64 s[40:41], s[40:41]
; %bb.8269:                             ;   in Loop: Header=BB6_7619 Depth=4
	v_bfe_u32 v4, v8, 23, 1
; %bb.8270:                             ;   in Loop: Header=BB6_7619 Depth=4
	s_or_b64 exec, exec, s[40:41]
	v_lshrrev_b64 v[8:9], 20, v[8:9]
	v_cmp_gt_i32_e32 vcc, 16, v4
	v_cndmask_b32_e32 v9, 0, v9, vcc
	v_cndmask_b32_e32 v8, 7, v8, vcc
	v_cmp_eq_u32_e32 vcc, 0, v4
	v_min_i32_e32 v4, 15, v4
	v_cmp_eq_u64_e64 s[40:41], 0, v[8:9]
	v_lshlrev_b32_e32 v4, 3, v4
	v_and_b32_e32 v4, 0xf8, v4
	v_and_or_b32 v4, v8, 7, v4
	s_and_b64 s[40:41], vcc, s[40:41]
	v_cndmask_b32_e64 v4, v4, 0, s[40:41]
	v_or_b32_e32 v32, v4, v18
.LBB6_8271:                             ;   in Loop: Header=BB6_7619 Depth=4
	s_or_b64 exec, exec, s[48:49]
                                        ; implicit-def: $vgpr18
.LBB6_8272:                             ;   in Loop: Header=BB6_7619 Depth=4
	s_andn2_saveexec_b64 s[40:41], s[38:39]
; %bb.8273:                             ;   in Loop: Header=BB6_7619 Depth=4
	v_or_b32_e32 v32, 0x7e, v18
; %bb.8274:                             ;   in Loop: Header=BB6_7619 Depth=4
	s_or_b64 exec, exec, s[40:41]
                                        ; implicit-def: $vgpr4
.LBB6_8275:                             ;   in Loop: Header=BB6_7619 Depth=4
	s_andn2_saveexec_b64 s[40:41], s[36:37]
; %bb.8276:                             ;   in Loop: Header=BB6_7619 Depth=4
	v_or_b32_sdwa v32, v4, s86 dst_sel:DWORD dst_unused:UNUSED_PAD src0_sel:BYTE_3 src1_sel:DWORD
; %bb.8277:                             ;   in Loop: Header=BB6_7619 Depth=4
	s_or_b64 exec, exec, s[40:41]
	v_cmp_lt_u32_e32 vcc, s57, v50
	v_mov_b32_e32 v4, 0
	s_and_saveexec_b64 s[40:41], vcc
	s_cbranch_execz .LBB6_8283
; %bb.8278:                             ;   in Loop: Header=BB6_7619 Depth=4
	v_lshrrev_b32_e32 v8, 24, v50
	v_cmp_ne_u32_sdwa vcc, v50, s96 src0_sel:BYTE_3 src1_sel:DWORD
	v_bfrev_b32_e32 v4, 1
	s_and_saveexec_b64 s[36:37], vcc
	s_cbranch_execz .LBB6_8282
; %bb.8279:                             ;   in Loop: Header=BB6_7619 Depth=4
	v_bfe_u32 v5, v50, 24, 7
	v_cmp_ne_u32_e32 vcc, s86, v5
	v_mov_b32_e32 v4, 0x7f800001
	s_and_saveexec_b64 s[38:39], vcc
	s_cbranch_execz .LBB6_8281
; %bb.8280:                             ;   in Loop: Header=BB6_7619 Depth=4
	v_and_b32_e32 v9, 7, v8
	v_ffbh_u32_e32 v4, v9
	v_min_u32_e32 v19, 32, v4
	v_subrev_u32_e32 v4, 28, v19
	v_lshrrev_b32_e32 v18, 3, v5
	v_cmp_gt_u32_e32 vcc, 8, v5
	v_lshlrev_b64 v[4:5], v4, v[8:9]
	v_sub_u32_e32 v5, 29, v19
	v_and_b32_e32 v4, 7, v4
	v_mov_b32_e32 v8, 24
	v_cndmask_b32_e32 v5, v18, v5, vcc
	v_cndmask_b32_e32 v4, v9, v4, vcc
	v_lshlrev_b32_sdwa v8, v8, v50 dst_sel:DWORD dst_unused:UNUSED_PAD src0_sel:DWORD src1_sel:BYTE_3
	v_bfrev_b32_e32 v9, 60
	v_lshlrev_b32_e32 v4, 20, v4
	v_and_b32_e32 v8, 0x80000000, v8
	v_lshl_add_u32 v5, v5, 23, v9
	v_or3_b32 v4, v8, v5, v4
.LBB6_8281:                             ;   in Loop: Header=BB6_7619 Depth=4
	s_or_b64 exec, exec, s[38:39]
.LBB6_8282:                             ;   in Loop: Header=BB6_7619 Depth=4
	s_or_b64 exec, exec, s[36:37]
.LBB6_8283:                             ;   in Loop: Header=BB6_7619 Depth=4
	s_or_b64 exec, exec, s[40:41]
	v_bfe_u32 v18, v10, 24, 3
	v_ffbh_u32_e32 v8, v18
	v_min_u32_e32 v37, 32, v8
	v_lshrrev_b32_e32 v5, 24, v10
	v_subrev_u32_e32 v8, 28, v37
	v_lshlrev_b64 v[8:9], v8, v[5:6]
	v_bfe_u32 v19, v10, 24, 7
	v_bfe_u32 v34, v5, 3, 4
	v_sub_u32_e32 v9, 29, v37
	v_and_b32_e32 v8, 7, v8
	v_cmp_gt_u32_e32 vcc, 8, v19
	v_cndmask_b32_e32 v9, v34, v9, vcc
	v_cndmask_b32_e32 v8, v18, v8, vcc
	v_bfrev_b32_e32 v34, 60
	v_lshlrev_b32_e32 v8, 20, v8
	v_and_b32_e32 v18, 0x80000000, v10
	v_lshl_add_u32 v9, v9, 23, v34
	v_or3_b32 v8, v18, v9, v8
	v_cmp_ne_u32_e32 vcc, s86, v19
	v_mov_b32_e32 v9, 0x7f800001
	v_cndmask_b32_e32 v8, v9, v8, vcc
	v_cmp_ne_u32_e32 vcc, s96, v5
	v_bfrev_b32_e32 v5, 1
	v_cndmask_b32_e32 v5, v5, v8, vcc
	v_cmp_lt_u32_e32 vcc, s57, v10
	v_cndmask_b32_e32 v5, 0, v5, vcc
	v_add_f32_e32 v4, v5, v4
	v_and_b32_e32 v50, 0x7f800000, v4
	v_cmp_ne_u64_e32 vcc, s[76:77], v[50:51]
                                        ; implicit-def: $vgpr34
	s_and_saveexec_b64 s[40:41], vcc
	s_xor_b64 s[36:37], exec, s[40:41]
	s_cbranch_execz .LBB6_8297
; %bb.8284:                             ;   in Loop: Header=BB6_7619 Depth=4
	v_and_b32_e32 v50, 0x7fffffff, v4
	v_cmp_gt_u64_e32 vcc, s[78:79], v[50:51]
	v_and_b32_sdwa v18, v4, s96 dst_sel:DWORD dst_unused:UNUSED_PAD src0_sel:BYTE_3 src1_sel:DWORD
                                        ; implicit-def: $vgpr34
	s_and_saveexec_b64 s[40:41], vcc
	s_xor_b64 s[38:39], exec, s[40:41]
	s_cbranch_execz .LBB6_8294
; %bb.8285:                             ;   in Loop: Header=BB6_7619 Depth=4
	v_mov_b32_e32 v34, 0
	v_cmp_ne_u32_e32 vcc, 0, v4
	s_and_saveexec_b64 s[48:49], vcc
	s_cbranch_execz .LBB6_8293
; %bb.8286:                             ;   in Loop: Header=BB6_7619 Depth=4
	v_bfe_u32 v19, v4, 23, 8
	v_and_b32_e32 v5, 0x7fffff, v4
	v_cmp_gt_u32_e64 s[40:41], s97, v19
	v_sub_u32_e32 v4, 0x79, v19
	v_cmp_eq_u32_e32 vcc, 0, v19
	v_cndmask_b32_e64 v4, 0, v4, s[40:41]
	v_mov_b32_e32 v9, 0x78
	v_cndmask_b32_e32 v34, v4, v9, vcc
	v_or_b32_e32 v8, 0x800000, v5
	v_add_u32_e32 v4, 20, v34
	v_cndmask_b32_e32 v50, v8, v5, vcc
	v_lshlrev_b64 v[4:5], v4, -1
	v_add_u32_e32 v8, 19, v34
	v_lshlrev_b64 v[8:9], v8, 1
	v_bfi_b32 v5, v5, 0, 0
	v_bfi_b32 v4, v4, 0, v50
	v_cmp_eq_u64_e64 s[40:41], v[4:5], v[8:9]
	v_lshrrev_b64 v[8:9], v34, v[50:51]
	v_mov_b32_e32 v4, v8
	v_mov_b32_e32 v5, v9
	s_and_saveexec_b64 s[50:51], s[40:41]
; %bb.8287:                             ;   in Loop: Header=BB6_7619 Depth=4
	v_bfe_u32 v4, v8, 20, 1
	v_add_co_u32_e64 v4, s[40:41], v8, v4
	v_add_co_u32_e64 v4, s[40:41], -1, v4
; %bb.8288:                             ;   in Loop: Header=BB6_7619 Depth=4
	s_or_b64 exec, exec, s[50:51]
	v_add_u32_e32 v5, 0xffffff81, v19
	v_mov_b32_e32 v9, 0xffffff82
	v_cndmask_b32_e32 v5, v5, v9, vcc
	v_lshrrev_b32_e32 v9, 23, v8
	v_add3_u32 v19, v34, v5, v9
	v_add_u32_e32 v5, 6, v19
	v_and_b32_e32 v4, 0xfffff, v4
	v_add_u32_e32 v50, v4, v8
	v_cmp_ne_u32_e32 vcc, 0, v5
                                        ; implicit-def: $vgpr8_vgpr9
                                        ; implicit-def: $vgpr4
	s_and_saveexec_b64 s[40:41], vcc
	s_xor_b64 s[40:41], exec, s[40:41]
; %bb.8289:                             ;   in Loop: Header=BB6_7619 Depth=4
	v_cmp_lt_u64_e32 vcc, s[88:89], v[50:51]
	v_add_u32_e32 v4, 7, v19
	v_cndmask_b32_e32 v4, v5, v4, vcc
	v_cndmask_b32_e64 v5, 0, 1, vcc
	v_lshrrev_b64 v[8:9], v5, v[50:51]
; %bb.8290:                             ;   in Loop: Header=BB6_7619 Depth=4
	s_andn2_saveexec_b64 s[40:41], s[40:41]
; %bb.8291:                             ;   in Loop: Header=BB6_7619 Depth=4
	v_mov_b32_e32 v8, v50
	v_bfe_u32 v4, v50, 23, 1
	v_mov_b32_e32 v9, v51
; %bb.8292:                             ;   in Loop: Header=BB6_7619 Depth=4
	s_or_b64 exec, exec, s[40:41]
	v_lshrrev_b64 v[8:9], 20, v[8:9]
	v_cmp_gt_i32_e32 vcc, 16, v4
	v_cndmask_b32_e32 v9, 0, v9, vcc
	v_cndmask_b32_e32 v8, 7, v8, vcc
	v_cmp_eq_u32_e32 vcc, 0, v4
	v_min_i32_e32 v4, 15, v4
	v_cmp_eq_u64_e64 s[40:41], 0, v[8:9]
	v_lshlrev_b32_e32 v4, 3, v4
	v_and_b32_e32 v4, 0xf8, v4
	v_and_or_b32 v4, v8, 7, v4
	s_and_b64 s[40:41], vcc, s[40:41]
	v_cndmask_b32_e64 v4, v4, 0, s[40:41]
	v_or_b32_e32 v34, v4, v18
.LBB6_8293:                             ;   in Loop: Header=BB6_7619 Depth=4
	s_or_b64 exec, exec, s[48:49]
                                        ; implicit-def: $vgpr18
.LBB6_8294:                             ;   in Loop: Header=BB6_7619 Depth=4
	s_andn2_saveexec_b64 s[40:41], s[38:39]
; %bb.8295:                             ;   in Loop: Header=BB6_7619 Depth=4
	v_or_b32_e32 v34, 0x7e, v18
; %bb.8296:                             ;   in Loop: Header=BB6_7619 Depth=4
	s_or_b64 exec, exec, s[40:41]
                                        ; implicit-def: $vgpr4
.LBB6_8297:                             ;   in Loop: Header=BB6_7619 Depth=4
	s_andn2_saveexec_b64 s[40:41], s[36:37]
; %bb.8298:                             ;   in Loop: Header=BB6_7619 Depth=4
	v_or_b32_sdwa v34, v4, s86 dst_sel:DWORD dst_unused:UNUSED_PAD src0_sel:BYTE_3 src1_sel:DWORD
; %bb.8299:                             ;   in Loop: Header=BB6_7619 Depth=4
	s_or_b64 exec, exec, s[40:41]
	v_lshlrev_b32_e32 v4, 24, v30
	v_lshlrev_b32_e32 v5, 16, v28
	v_lshl_or_b32 v26, v26, 8, v23
	v_or3_b32 v50, v5, v4, v26
	v_cmp_ne_u32_e32 vcc, 0, v23
	v_mov_b32_e32 v4, 0
	s_and_saveexec_b64 s[40:41], vcc
	s_cbranch_execz .LBB6_8305
; %bb.8300:                             ;   in Loop: Header=BB6_7619 Depth=4
	v_cmp_ne_u32_e32 vcc, s96, v23
	v_bfrev_b32_e32 v4, 1
	s_and_saveexec_b64 s[36:37], vcc
	s_cbranch_execz .LBB6_8304
; %bb.8301:                             ;   in Loop: Header=BB6_7619 Depth=4
	v_and_b32_e32 v5, 0x7f, v23
	v_cmp_ne_u32_e32 vcc, s86, v5
	v_mov_b32_e32 v4, 0x7f800001
	s_and_saveexec_b64 s[38:39], vcc
	s_cbranch_execz .LBB6_8303
; %bb.8302:                             ;   in Loop: Header=BB6_7619 Depth=4
	v_and_b32_e32 v4, 7, v23
	v_ffbh_u32_e32 v4, v4
	v_min_u32_e32 v4, 32, v4
	v_lshrrev_b32_e32 v8, 3, v5
	v_cmp_gt_u32_e32 vcc, 8, v5
	v_subrev_u32_e32 v5, 28, v4
	v_sub_u32_e32 v4, 29, v4
	v_cndmask_b32_e32 v8, v8, v4, vcc
	v_cndmask_b32_e32 v4, 0, v5, vcc
	v_lshlrev_b64 v[4:5], v4, v[50:51]
	v_lshlrev_b32_e32 v5, 24, v50
	v_lshlrev_b32_e32 v4, 20, v4
	v_bfrev_b32_e32 v9, 60
	v_and_b32_e32 v4, 0x700000, v4
	v_and_b32_e32 v5, 0x80000000, v5
	v_lshl_add_u32 v8, v8, 23, v9
	v_or3_b32 v4, v5, v8, v4
.LBB6_8303:                             ;   in Loop: Header=BB6_7619 Depth=4
	s_or_b64 exec, exec, s[38:39]
.LBB6_8304:                             ;   in Loop: Header=BB6_7619 Depth=4
	s_or_b64 exec, exec, s[36:37]
.LBB6_8305:                             ;   in Loop: Header=BB6_7619 Depth=4
	s_or_b64 exec, exec, s[40:41]
	v_cmp_gt_i16_sdwa vcc, v11, s86 src0_sel:BYTE_0 src1_sel:DWORD
	s_mov_b64 s[40:41], 0
	s_and_saveexec_b64 s[36:37], vcc
	s_xor_b64 vcc, exec, s[36:37]
	s_cbranch_execz .LBB6_8309
; %bb.8306:                             ;   in Loop: Header=BB6_7619 Depth=4
	v_cmp_eq_u16_sdwa s[38:39], v11, s96 src0_sel:BYTE_0 src1_sel:DWORD
	s_mov_b64 s[40:41], -1
	s_and_saveexec_b64 s[36:37], s[38:39]
; %bb.8307:                             ;   in Loop: Header=BB6_7619 Depth=4
	s_xor_b64 s[40:41], exec, -1
; %bb.8308:                             ;   in Loop: Header=BB6_7619 Depth=4
	s_or_b64 exec, exec, s[36:37]
	s_and_b64 s[40:41], s[40:41], exec
.LBB6_8309:                             ;   in Loop: Header=BB6_7619 Depth=4
	s_or_saveexec_b64 vcc, vcc
	v_bfrev_b32_e32 v5, 1
	s_xor_b64 exec, exec, vcc
; %bb.8310:                             ;   in Loop: Header=BB6_7619 Depth=4
	v_cmp_ne_u16_sdwa s[36:37], v11, v51 src0_sel:BYTE_0 src1_sel:DWORD
	s_andn2_b64 s[40:41], s[40:41], exec
	s_and_b64 s[36:37], s[36:37], exec
	v_mov_b32_e32 v5, 0
	s_or_b64 s[40:41], s[40:41], s[36:37]
; %bb.8311:                             ;   in Loop: Header=BB6_7619 Depth=4
	s_or_b64 exec, exec, vcc
	v_mov_b32_e32 v8, v11
	v_mov_b32_e32 v9, v51
	s_and_saveexec_b64 s[36:37], s[40:41]
	s_cbranch_execz .LBB6_8313
; %bb.8312:                             ;   in Loop: Header=BB6_7619 Depth=4
	v_and_b32_e32 v5, 7, v11
	v_ffbh_u32_e32 v5, v5
	v_and_b32_e32 v23, 0x7f, v11
	v_min_u32_e32 v5, 32, v5
	v_bfe_u32 v18, v11, 3, 4
	v_subrev_u32_e32 v19, 28, v5
	v_sub_u32_e32 v5, 29, v5
	v_cmp_gt_u32_e32 vcc, 8, v23
	v_cndmask_b32_e32 v5, v18, v5, vcc
	v_cndmask_b32_e32 v18, 0, v19, vcc
	v_lshlrev_b64 v[18:19], v18, v[8:9]
	v_bfrev_b32_e32 v19, 60
	v_lshlrev_b32_e32 v9, 20, v18
	v_lshlrev_b32_e32 v18, 24, v8
	v_and_b32_e32 v9, 0x700000, v9
	v_and_b32_e32 v18, 0x80000000, v18
	v_lshl_add_u32 v5, v5, 23, v19
	v_or3_b32 v5, v18, v5, v9
	v_cmp_ne_u32_e32 vcc, s86, v23
	v_mov_b32_e32 v9, 0x7f800001
	v_cndmask_b32_e32 v5, v9, v5, vcc
.LBB6_8313:                             ;   in Loop: Header=BB6_7619 Depth=4
	s_or_b64 exec, exec, s[36:37]
	v_add_f32_e32 v4, v4, v5
	v_and_b32_e32 v18, 0x7f800000, v4
	v_mov_b32_e32 v19, v51
	v_cmp_ne_u64_e32 vcc, s[76:77], v[18:19]
                                        ; implicit-def: $vgpr18
	s_and_saveexec_b64 s[40:41], vcc
	s_xor_b64 s[36:37], exec, s[40:41]
	s_cbranch_execz .LBB6_8327
; %bb.8314:                             ;   in Loop: Header=BB6_7619 Depth=4
	v_and_b32_e32 v18, 0x7fffffff, v4
	v_mov_b32_e32 v19, v51
	v_cmp_gt_u64_e32 vcc, s[78:79], v[18:19]
	v_and_b32_sdwa v9, v4, s96 dst_sel:DWORD dst_unused:UNUSED_PAD src0_sel:BYTE_3 src1_sel:DWORD
                                        ; implicit-def: $vgpr18
	s_and_saveexec_b64 s[40:41], vcc
	s_xor_b64 s[38:39], exec, s[40:41]
	s_cbranch_execz .LBB6_8324
; %bb.8315:                             ;   in Loop: Header=BB6_7619 Depth=4
	v_mov_b32_e32 v18, 0
	v_cmp_ne_u32_e32 vcc, 0, v4
	s_and_saveexec_b64 s[48:49], vcc
	s_cbranch_execz .LBB6_8323
; %bb.8316:                             ;   in Loop: Header=BB6_7619 Depth=4
	v_bfe_u32 v23, v4, 23, 8
	v_and_b32_e32 v5, 0x7fffff, v4
	v_cmp_gt_u32_e64 s[40:41], s97, v23
	v_sub_u32_e32 v4, 0x79, v23
	v_cmp_eq_u32_e32 vcc, 0, v23
	v_cndmask_b32_e64 v4, 0, v4, s[40:41]
	v_mov_b32_e32 v19, 0x78
	v_or_b32_e32 v18, 0x800000, v5
	v_cndmask_b32_e32 v28, v4, v19, vcc
	v_cndmask_b32_e32 v4, v18, v5, vcc
	v_add_u32_e32 v18, 20, v28
	v_lshlrev_b64 v[18:19], v18, -1
	v_add_u32_e32 v30, 19, v28
	v_lshlrev_b64 v[37:38], v30, 1
	v_mov_b32_e32 v5, v51
	v_bfi_b32 v19, v19, 0, 0
	v_bfi_b32 v18, v18, 0, v4
	v_cmp_eq_u64_e64 s[40:41], v[18:19], v[37:38]
	v_lshrrev_b64 v[18:19], v28, v[4:5]
	v_mov_b32_e32 v4, v18
	v_mov_b32_e32 v5, v19
	s_and_saveexec_b64 s[50:51], s[40:41]
; %bb.8317:                             ;   in Loop: Header=BB6_7619 Depth=4
	v_bfe_u32 v4, v18, 20, 1
	v_add_co_u32_e64 v4, s[40:41], v18, v4
	v_add_co_u32_e64 v4, s[40:41], -1, v4
; %bb.8318:                             ;   in Loop: Header=BB6_7619 Depth=4
	s_or_b64 exec, exec, s[50:51]
	v_add_u32_e32 v5, 0xffffff81, v23
	v_mov_b32_e32 v19, 0xffffff82
	v_cndmask_b32_e32 v5, v5, v19, vcc
	v_lshrrev_b32_e32 v19, 23, v18
	v_add3_u32 v23, v28, v5, v19
	v_add_u32_e32 v5, 6, v23
	v_and_b32_e32 v4, 0xfffff, v4
	v_add_u32_e32 v18, v4, v18
	v_mov_b32_e32 v19, v51
	v_cmp_ne_u32_e32 vcc, 0, v5
                                        ; implicit-def: $vgpr4
	s_and_saveexec_b64 s[40:41], vcc
	s_xor_b64 s[40:41], exec, s[40:41]
; %bb.8319:                             ;   in Loop: Header=BB6_7619 Depth=4
	v_cmp_lt_u64_e32 vcc, s[88:89], v[18:19]
	v_add_u32_e32 v4, 7, v23
	v_cndmask_b32_e32 v4, v5, v4, vcc
	v_cndmask_b32_e64 v5, 0, 1, vcc
	v_lshrrev_b64 v[18:19], v5, v[18:19]
; %bb.8320:                             ;   in Loop: Header=BB6_7619 Depth=4
	s_andn2_saveexec_b64 s[40:41], s[40:41]
; %bb.8321:                             ;   in Loop: Header=BB6_7619 Depth=4
	v_bfe_u32 v4, v18, 23, 1
; %bb.8322:                             ;   in Loop: Header=BB6_7619 Depth=4
	s_or_b64 exec, exec, s[40:41]
	v_lshrrev_b64 v[18:19], 20, v[18:19]
	v_cmp_gt_i32_e32 vcc, 16, v4
	v_cndmask_b32_e32 v19, 0, v19, vcc
	v_cndmask_b32_e32 v18, 7, v18, vcc
	v_cmp_eq_u32_e32 vcc, 0, v4
	v_min_i32_e32 v4, 15, v4
	v_cmp_eq_u64_e64 s[40:41], 0, v[18:19]
	v_lshlrev_b32_e32 v4, 3, v4
	v_and_b32_e32 v4, 0xf8, v4
	v_and_or_b32 v4, v18, 7, v4
	s_and_b64 s[40:41], vcc, s[40:41]
	v_cndmask_b32_e64 v4, v4, 0, s[40:41]
	v_or_b32_e32 v18, v4, v9
.LBB6_8323:                             ;   in Loop: Header=BB6_7619 Depth=4
	s_or_b64 exec, exec, s[48:49]
                                        ; implicit-def: $vgpr9
.LBB6_8324:                             ;   in Loop: Header=BB6_7619 Depth=4
	s_andn2_saveexec_b64 s[40:41], s[38:39]
; %bb.8325:                             ;   in Loop: Header=BB6_7619 Depth=4
	v_or_b32_e32 v18, 0x7e, v9
; %bb.8326:                             ;   in Loop: Header=BB6_7619 Depth=4
	s_or_b64 exec, exec, s[40:41]
                                        ; implicit-def: $vgpr4
.LBB6_8327:                             ;   in Loop: Header=BB6_7619 Depth=4
	s_andn2_saveexec_b64 s[40:41], s[36:37]
; %bb.8328:                             ;   in Loop: Header=BB6_7619 Depth=4
	v_or_b32_sdwa v18, v4, s86 dst_sel:DWORD dst_unused:UNUSED_PAD src0_sel:BYTE_3 src1_sel:DWORD
; %bb.8329:                             ;   in Loop: Header=BB6_7619 Depth=4
	s_or_b64 exec, exec, s[40:41]
	v_lshrrev_b16_e32 v9, 8, v26
	v_cmp_ne_u16_e32 vcc, 0, v9
	v_mov_b32_e32 v4, 0
	s_and_saveexec_b64 s[40:41], vcc
	s_cbranch_execz .LBB6_8335
; %bb.8330:                             ;   in Loop: Header=BB6_7619 Depth=4
	v_cmp_ne_u16_e32 vcc, s96, v9
	v_bfrev_b32_e32 v4, 1
	s_and_saveexec_b64 s[36:37], vcc
	s_cbranch_execz .LBB6_8334
; %bb.8331:                             ;   in Loop: Header=BB6_7619 Depth=4
	v_and_b32_e32 v5, 0x7f, v9
	v_cmp_ne_u32_e32 vcc, s86, v5
	v_mov_b32_e32 v4, 0x7f800001
	s_and_saveexec_b64 s[38:39], vcc
	s_cbranch_execz .LBB6_8333
; %bb.8332:                             ;   in Loop: Header=BB6_7619 Depth=4
	v_and_b32_e32 v19, 7, v9
	v_ffbh_u32_e32 v4, v19
	v_min_u32_e32 v28, 32, v4
	v_subrev_u32_e32 v4, 28, v28
	v_lshrrev_b32_e32 v23, 3, v5
	v_cmp_gt_u32_e32 vcc, 8, v5
	v_lshlrev_b64 v[4:5], v4, v[9:10]
	v_sub_u32_e32 v5, 29, v28
	v_and_b32_e32 v4, 7, v4
	v_cndmask_b32_e32 v5, v23, v5, vcc
	v_cndmask_b32_e32 v4, v19, v4, vcc
	v_lshlrev_b32_e32 v9, 16, v26
	v_bfrev_b32_e32 v19, 60
	v_lshlrev_b32_e32 v4, 20, v4
	v_and_b32_e32 v9, 0x80000000, v9
	v_lshl_add_u32 v5, v5, 23, v19
	v_or3_b32 v4, v9, v5, v4
.LBB6_8333:                             ;   in Loop: Header=BB6_7619 Depth=4
	s_or_b64 exec, exec, s[38:39]
.LBB6_8334:                             ;   in Loop: Header=BB6_7619 Depth=4
	s_or_b64 exec, exec, s[36:37]
.LBB6_8335:                             ;   in Loop: Header=BB6_7619 Depth=4
	s_or_b64 exec, exec, s[40:41]
	v_lshrrev_b16_e32 v8, 8, v8
	v_cmp_lt_i16_e32 vcc, s86, v8
	s_mov_b64 s[40:41], 0
	s_and_saveexec_b64 s[36:37], vcc
	s_xor_b64 s[36:37], exec, s[36:37]
	s_cbranch_execz .LBB6_8423
; %bb.8336:                             ;   in Loop: Header=BB6_7619 Depth=4
	v_cmp_eq_u16_e32 vcc, s96, v8
	s_mov_b64 s[40:41], -1
	s_and_saveexec_b64 s[38:39], vcc
; %bb.8337:                             ;   in Loop: Header=BB6_7619 Depth=4
	s_xor_b64 s[40:41], exec, -1
; %bb.8338:                             ;   in Loop: Header=BB6_7619 Depth=4
	s_or_b64 exec, exec, s[38:39]
	s_and_b64 s[40:41], s[40:41], exec
	s_or_saveexec_b64 s[36:37], s[36:37]
	v_bfrev_b32_e32 v5, 1
	s_xor_b64 exec, exec, s[36:37]
	s_cbranch_execnz .LBB6_8424
.LBB6_8339:                             ;   in Loop: Header=BB6_7619 Depth=4
	s_or_b64 exec, exec, s[36:37]
	s_and_saveexec_b64 s[36:37], s[40:41]
	s_cbranch_execz .LBB6_8341
.LBB6_8340:                             ;   in Loop: Header=BB6_7619 Depth=4
	v_and_b32_e32 v5, 7, v8
	v_ffbh_u32_e32 v26, v5
	v_min_u32_e32 v26, 32, v26
	v_mov_b32_e32 v9, v51
	v_subrev_u32_e32 v28, 28, v26
	v_lshlrev_b64 v[37:38], v28, v[8:9]
	v_and_b32_e32 v19, 0x7f, v8
	v_bfe_u32 v23, v8, 3, 4
	v_sub_u32_e32 v9, 29, v26
	v_and_b32_e32 v26, 7, v37
	v_cmp_gt_u32_e32 vcc, 8, v19
	v_cndmask_b32_e32 v9, v23, v9, vcc
	v_cndmask_b32_e32 v5, v5, v26, vcc
	v_lshlrev_b32_e32 v8, 24, v8
	v_bfrev_b32_e32 v23, 60
	v_lshlrev_b32_e32 v5, 20, v5
	v_and_b32_e32 v8, 0x80000000, v8
	v_lshl_add_u32 v9, v9, 23, v23
	v_or3_b32 v5, v8, v9, v5
	v_cmp_ne_u32_e32 vcc, s86, v19
	v_mov_b32_e32 v8, 0x7f800001
	v_cndmask_b32_e32 v5, v8, v5, vcc
.LBB6_8341:                             ;   in Loop: Header=BB6_7619 Depth=4
	s_or_b64 exec, exec, s[36:37]
	v_add_f32_e32 v4, v4, v5
	v_and_b32_e32 v8, 0x7f800000, v4
	v_mov_b32_e32 v9, v51
	v_cmp_ne_u64_e32 vcc, s[76:77], v[8:9]
                                        ; implicit-def: $vgpr19
	s_and_saveexec_b64 s[40:41], vcc
	s_xor_b64 s[36:37], exec, s[40:41]
	s_cbranch_execz .LBB6_8355
; %bb.8342:                             ;   in Loop: Header=BB6_7619 Depth=4
	v_and_b32_e32 v8, 0x7fffffff, v4
	v_mov_b32_e32 v9, v51
	v_cmp_gt_u64_e32 vcc, s[78:79], v[8:9]
	v_and_b32_sdwa v23, v4, s96 dst_sel:DWORD dst_unused:UNUSED_PAD src0_sel:BYTE_3 src1_sel:DWORD
                                        ; implicit-def: $vgpr19
	s_and_saveexec_b64 s[40:41], vcc
	s_xor_b64 s[38:39], exec, s[40:41]
	s_cbranch_execz .LBB6_8352
; %bb.8343:                             ;   in Loop: Header=BB6_7619 Depth=4
	v_mov_b32_e32 v19, 0
	v_cmp_ne_u32_e32 vcc, 0, v4
	s_and_saveexec_b64 s[48:49], vcc
	s_cbranch_execz .LBB6_8351
; %bb.8344:                             ;   in Loop: Header=BB6_7619 Depth=4
	v_bfe_u32 v19, v4, 23, 8
	v_and_b32_e32 v5, 0x7fffff, v4
	v_cmp_gt_u32_e64 s[40:41], s97, v19
	v_sub_u32_e32 v4, 0x79, v19
	v_cmp_eq_u32_e32 vcc, 0, v19
	v_cndmask_b32_e64 v4, 0, v4, s[40:41]
	v_mov_b32_e32 v9, 0x78
	v_or_b32_e32 v8, 0x800000, v5
	v_cndmask_b32_e32 v26, v4, v9, vcc
	v_cndmask_b32_e32 v4, v8, v5, vcc
	v_add_u32_e32 v8, 20, v26
	v_lshlrev_b64 v[8:9], v8, -1
	v_add_u32_e32 v28, 19, v26
	v_lshlrev_b64 v[37:38], v28, 1
	v_mov_b32_e32 v5, v51
	v_bfi_b32 v9, v9, 0, 0
	v_bfi_b32 v8, v8, 0, v4
	v_cmp_eq_u64_e64 s[40:41], v[8:9], v[37:38]
	v_lshrrev_b64 v[8:9], v26, v[4:5]
	v_mov_b32_e32 v4, v8
	v_mov_b32_e32 v5, v9
	s_and_saveexec_b64 s[50:51], s[40:41]
; %bb.8345:                             ;   in Loop: Header=BB6_7619 Depth=4
	v_bfe_u32 v4, v8, 20, 1
	v_add_co_u32_e64 v4, s[40:41], v8, v4
	v_add_co_u32_e64 v4, s[40:41], -1, v4
; %bb.8346:                             ;   in Loop: Header=BB6_7619 Depth=4
	s_or_b64 exec, exec, s[50:51]
	v_add_u32_e32 v5, 0xffffff81, v19
	v_mov_b32_e32 v9, 0xffffff82
	v_cndmask_b32_e32 v5, v5, v9, vcc
	v_lshrrev_b32_e32 v9, 23, v8
	v_add3_u32 v19, v26, v5, v9
	v_add_u32_e32 v5, 6, v19
	v_and_b32_e32 v4, 0xfffff, v4
	v_add_u32_e32 v8, v4, v8
	v_mov_b32_e32 v9, v51
	v_cmp_ne_u32_e32 vcc, 0, v5
                                        ; implicit-def: $vgpr4
	s_and_saveexec_b64 s[40:41], vcc
	s_xor_b64 s[40:41], exec, s[40:41]
; %bb.8347:                             ;   in Loop: Header=BB6_7619 Depth=4
	v_cmp_lt_u64_e32 vcc, s[88:89], v[8:9]
	v_add_u32_e32 v4, 7, v19
	v_cndmask_b32_e32 v4, v5, v4, vcc
	v_cndmask_b32_e64 v5, 0, 1, vcc
	v_lshrrev_b64 v[8:9], v5, v[8:9]
; %bb.8348:                             ;   in Loop: Header=BB6_7619 Depth=4
	s_andn2_saveexec_b64 s[40:41], s[40:41]
; %bb.8349:                             ;   in Loop: Header=BB6_7619 Depth=4
	v_bfe_u32 v4, v8, 23, 1
; %bb.8350:                             ;   in Loop: Header=BB6_7619 Depth=4
	s_or_b64 exec, exec, s[40:41]
	v_lshrrev_b64 v[8:9], 20, v[8:9]
	v_cmp_gt_i32_e32 vcc, 16, v4
	v_cndmask_b32_e32 v9, 0, v9, vcc
	v_cndmask_b32_e32 v8, 7, v8, vcc
	v_cmp_eq_u32_e32 vcc, 0, v4
	v_min_i32_e32 v4, 15, v4
	v_cmp_eq_u64_e64 s[40:41], 0, v[8:9]
	v_lshlrev_b32_e32 v4, 3, v4
	v_and_b32_e32 v4, 0xf8, v4
	v_and_or_b32 v4, v8, 7, v4
	s_and_b64 s[40:41], vcc, s[40:41]
	v_cndmask_b32_e64 v4, v4, 0, s[40:41]
	v_or_b32_e32 v19, v4, v23
.LBB6_8351:                             ;   in Loop: Header=BB6_7619 Depth=4
	s_or_b64 exec, exec, s[48:49]
                                        ; implicit-def: $vgpr23
.LBB6_8352:                             ;   in Loop: Header=BB6_7619 Depth=4
	s_andn2_saveexec_b64 s[40:41], s[38:39]
; %bb.8353:                             ;   in Loop: Header=BB6_7619 Depth=4
	v_or_b32_e32 v19, 0x7e, v23
; %bb.8354:                             ;   in Loop: Header=BB6_7619 Depth=4
	s_or_b64 exec, exec, s[40:41]
                                        ; implicit-def: $vgpr4
.LBB6_8355:                             ;   in Loop: Header=BB6_7619 Depth=4
	s_andn2_saveexec_b64 s[40:41], s[36:37]
; %bb.8356:                             ;   in Loop: Header=BB6_7619 Depth=4
	v_or_b32_sdwa v19, v4, s86 dst_sel:DWORD dst_unused:UNUSED_PAD src0_sel:BYTE_3 src1_sel:DWORD
; %bb.8357:                             ;   in Loop: Header=BB6_7619 Depth=4
	s_or_b64 exec, exec, s[40:41]
	v_lshrrev_b32_e32 v8, 16, v50
	v_cmp_ne_u16_sdwa vcc, v8, v51 src0_sel:BYTE_0 src1_sel:DWORD
	v_mov_b32_e32 v4, 0
	s_and_saveexec_b64 s[40:41], vcc
	s_cbranch_execz .LBB6_8363
; %bb.8358:                             ;   in Loop: Header=BB6_7619 Depth=4
	v_cmp_ne_u16_sdwa vcc, v8, s96 src0_sel:BYTE_0 src1_sel:DWORD
	v_bfrev_b32_e32 v4, 1
	s_and_saveexec_b64 s[36:37], vcc
	s_cbranch_execz .LBB6_8362
; %bb.8359:                             ;   in Loop: Header=BB6_7619 Depth=4
	v_bfe_u32 v5, v50, 16, 7
	v_cmp_ne_u32_e32 vcc, s86, v5
	v_mov_b32_e32 v4, 0x7f800001
	s_and_saveexec_b64 s[38:39], vcc
	s_cbranch_execz .LBB6_8361
; %bb.8360:                             ;   in Loop: Header=BB6_7619 Depth=4
	v_and_b32_e32 v9, 7, v8
	v_ffbh_u32_e32 v4, v9
	v_min_u32_e32 v26, 32, v4
	v_subrev_u32_e32 v4, 28, v26
	v_lshrrev_b32_e32 v23, 3, v5
	v_cmp_gt_u32_e32 vcc, 8, v5
	v_lshlrev_b64 v[4:5], v4, v[8:9]
	v_sub_u32_e32 v5, 29, v26
	v_and_b32_e32 v4, 7, v4
	v_cndmask_b32_e32 v5, v23, v5, vcc
	v_cndmask_b32_e32 v4, v9, v4, vcc
	v_lshlrev_b32_e32 v8, 24, v8
	v_bfrev_b32_e32 v9, 60
	v_lshlrev_b32_e32 v4, 20, v4
	v_and_b32_e32 v8, 0x80000000, v8
	v_lshl_add_u32 v5, v5, 23, v9
	v_or3_b32 v4, v8, v5, v4
.LBB6_8361:                             ;   in Loop: Header=BB6_7619 Depth=4
	s_or_b64 exec, exec, s[38:39]
.LBB6_8362:                             ;   in Loop: Header=BB6_7619 Depth=4
	s_or_b64 exec, exec, s[36:37]
.LBB6_8363:                             ;   in Loop: Header=BB6_7619 Depth=4
	s_or_b64 exec, exec, s[40:41]
	v_lshrrev_b32_e32 v8, 16, v11
	v_cmp_gt_i16_sdwa vcc, v8, s86 src0_sel:BYTE_0 src1_sel:DWORD
	s_mov_b64 s[40:41], 0
	s_and_saveexec_b64 s[36:37], vcc
	s_xor_b64 vcc, exec, s[36:37]
	s_cbranch_execz .LBB6_8425
; %bb.8364:                             ;   in Loop: Header=BB6_7619 Depth=4
	v_cmp_eq_u16_sdwa s[38:39], v8, s96 src0_sel:BYTE_0 src1_sel:DWORD
	s_mov_b64 s[40:41], -1
	s_and_saveexec_b64 s[36:37], s[38:39]
; %bb.8365:                             ;   in Loop: Header=BB6_7619 Depth=4
	s_xor_b64 s[40:41], exec, -1
; %bb.8366:                             ;   in Loop: Header=BB6_7619 Depth=4
	s_or_b64 exec, exec, s[36:37]
	s_and_b64 s[40:41], s[40:41], exec
	s_or_saveexec_b64 vcc, vcc
	v_bfrev_b32_e32 v5, 1
	s_xor_b64 exec, exec, vcc
	s_cbranch_execnz .LBB6_8426
.LBB6_8367:                             ;   in Loop: Header=BB6_7619 Depth=4
	s_or_b64 exec, exec, vcc
	s_and_saveexec_b64 s[36:37], s[40:41]
	s_cbranch_execz .LBB6_8369
.LBB6_8368:                             ;   in Loop: Header=BB6_7619 Depth=4
	v_and_b32_e32 v5, 7, v8
	v_ffbh_u32_e32 v26, v5
	v_min_u32_e32 v26, 32, v26
	v_and_b32_e32 v9, 0x7f, v8
	v_subrev_u32_e32 v28, 28, v26
	v_lshlrev_b64 v[37:38], v28, v[8:9]
	v_bfe_u32 v23, v8, 3, 4
	v_sub_u32_e32 v26, 29, v26
	v_and_b32_e32 v28, 7, v37
	v_cmp_gt_u32_e32 vcc, 8, v9
	v_cndmask_b32_e32 v23, v23, v26, vcc
	v_cndmask_b32_e32 v5, v5, v28, vcc
	v_lshlrev_b32_e32 v8, 24, v8
	v_bfrev_b32_e32 v26, 60
	v_lshlrev_b32_e32 v5, 20, v5
	v_and_b32_e32 v8, 0x80000000, v8
	v_lshl_add_u32 v23, v23, 23, v26
	v_or3_b32 v5, v8, v23, v5
	v_cmp_ne_u32_e32 vcc, s86, v9
	v_mov_b32_e32 v8, 0x7f800001
	v_cndmask_b32_e32 v5, v8, v5, vcc
.LBB6_8369:                             ;   in Loop: Header=BB6_7619 Depth=4
	s_or_b64 exec, exec, s[36:37]
	v_add_f32_e32 v4, v4, v5
	v_and_b32_e32 v8, 0x7f800000, v4
	v_mov_b32_e32 v9, v51
	v_cmp_ne_u64_e32 vcc, s[76:77], v[8:9]
                                        ; implicit-def: $vgpr23
	s_and_saveexec_b64 s[40:41], vcc
	s_xor_b64 s[36:37], exec, s[40:41]
	s_cbranch_execz .LBB6_8383
; %bb.8370:                             ;   in Loop: Header=BB6_7619 Depth=4
	v_and_b32_e32 v8, 0x7fffffff, v4
	v_mov_b32_e32 v9, v51
	v_cmp_gt_u64_e32 vcc, s[78:79], v[8:9]
	v_and_b32_sdwa v26, v4, s96 dst_sel:DWORD dst_unused:UNUSED_PAD src0_sel:BYTE_3 src1_sel:DWORD
                                        ; implicit-def: $vgpr23
	s_and_saveexec_b64 s[40:41], vcc
	s_xor_b64 s[38:39], exec, s[40:41]
	s_cbranch_execz .LBB6_8380
; %bb.8371:                             ;   in Loop: Header=BB6_7619 Depth=4
	v_mov_b32_e32 v23, 0
	v_cmp_ne_u32_e32 vcc, 0, v4
	s_and_saveexec_b64 s[48:49], vcc
	s_cbranch_execz .LBB6_8379
; %bb.8372:                             ;   in Loop: Header=BB6_7619 Depth=4
	v_bfe_u32 v23, v4, 23, 8
	v_and_b32_e32 v5, 0x7fffff, v4
	v_cmp_gt_u32_e64 s[40:41], s97, v23
	v_sub_u32_e32 v4, 0x79, v23
	v_cmp_eq_u32_e32 vcc, 0, v23
	v_cndmask_b32_e64 v4, 0, v4, s[40:41]
	v_mov_b32_e32 v9, 0x78
	v_or_b32_e32 v8, 0x800000, v5
	v_cndmask_b32_e32 v28, v4, v9, vcc
	v_cndmask_b32_e32 v4, v8, v5, vcc
	v_add_u32_e32 v8, 20, v28
	v_lshlrev_b64 v[8:9], v8, -1
	v_add_u32_e32 v30, 19, v28
	v_lshlrev_b64 v[37:38], v30, 1
	v_mov_b32_e32 v5, v51
	v_bfi_b32 v9, v9, 0, 0
	v_bfi_b32 v8, v8, 0, v4
	v_cmp_eq_u64_e64 s[40:41], v[8:9], v[37:38]
	v_lshrrev_b64 v[8:9], v28, v[4:5]
	v_mov_b32_e32 v4, v8
	v_mov_b32_e32 v5, v9
	s_and_saveexec_b64 s[50:51], s[40:41]
; %bb.8373:                             ;   in Loop: Header=BB6_7619 Depth=4
	v_bfe_u32 v4, v8, 20, 1
	v_add_co_u32_e64 v4, s[40:41], v8, v4
	v_add_co_u32_e64 v4, s[40:41], -1, v4
; %bb.8374:                             ;   in Loop: Header=BB6_7619 Depth=4
	s_or_b64 exec, exec, s[50:51]
	v_add_u32_e32 v5, 0xffffff81, v23
	v_mov_b32_e32 v9, 0xffffff82
	v_cndmask_b32_e32 v5, v5, v9, vcc
	v_lshrrev_b32_e32 v9, 23, v8
	v_add3_u32 v23, v28, v5, v9
	v_add_u32_e32 v5, 6, v23
	v_and_b32_e32 v4, 0xfffff, v4
	v_add_u32_e32 v8, v4, v8
	v_mov_b32_e32 v9, v51
	v_cmp_ne_u32_e32 vcc, 0, v5
                                        ; implicit-def: $vgpr4
	s_and_saveexec_b64 s[40:41], vcc
	s_xor_b64 s[40:41], exec, s[40:41]
; %bb.8375:                             ;   in Loop: Header=BB6_7619 Depth=4
	v_cmp_lt_u64_e32 vcc, s[88:89], v[8:9]
	v_add_u32_e32 v4, 7, v23
	v_cndmask_b32_e32 v4, v5, v4, vcc
	v_cndmask_b32_e64 v5, 0, 1, vcc
	v_lshrrev_b64 v[8:9], v5, v[8:9]
; %bb.8376:                             ;   in Loop: Header=BB6_7619 Depth=4
	s_andn2_saveexec_b64 s[40:41], s[40:41]
; %bb.8377:                             ;   in Loop: Header=BB6_7619 Depth=4
	v_bfe_u32 v4, v8, 23, 1
; %bb.8378:                             ;   in Loop: Header=BB6_7619 Depth=4
	s_or_b64 exec, exec, s[40:41]
	v_lshrrev_b64 v[8:9], 20, v[8:9]
	v_cmp_gt_i32_e32 vcc, 16, v4
	v_cndmask_b32_e32 v9, 0, v9, vcc
	v_cndmask_b32_e32 v8, 7, v8, vcc
	v_cmp_eq_u32_e32 vcc, 0, v4
	v_min_i32_e32 v4, 15, v4
	v_cmp_eq_u64_e64 s[40:41], 0, v[8:9]
	v_lshlrev_b32_e32 v4, 3, v4
	v_and_b32_e32 v4, 0xf8, v4
	v_and_or_b32 v4, v8, 7, v4
	s_and_b64 s[40:41], vcc, s[40:41]
	v_cndmask_b32_e64 v4, v4, 0, s[40:41]
	v_or_b32_e32 v23, v4, v26
.LBB6_8379:                             ;   in Loop: Header=BB6_7619 Depth=4
	s_or_b64 exec, exec, s[48:49]
                                        ; implicit-def: $vgpr26
.LBB6_8380:                             ;   in Loop: Header=BB6_7619 Depth=4
	s_andn2_saveexec_b64 s[40:41], s[38:39]
; %bb.8381:                             ;   in Loop: Header=BB6_7619 Depth=4
	v_or_b32_e32 v23, 0x7e, v26
; %bb.8382:                             ;   in Loop: Header=BB6_7619 Depth=4
	s_or_b64 exec, exec, s[40:41]
                                        ; implicit-def: $vgpr4
.LBB6_8383:                             ;   in Loop: Header=BB6_7619 Depth=4
	s_andn2_saveexec_b64 s[40:41], s[36:37]
; %bb.8384:                             ;   in Loop: Header=BB6_7619 Depth=4
	v_or_b32_sdwa v23, v4, s86 dst_sel:DWORD dst_unused:UNUSED_PAD src0_sel:BYTE_3 src1_sel:DWORD
; %bb.8385:                             ;   in Loop: Header=BB6_7619 Depth=4
	s_or_b64 exec, exec, s[40:41]
	v_cmp_lt_u32_e32 vcc, s57, v50
	v_mov_b32_e32 v4, 0
	s_and_saveexec_b64 s[40:41], vcc
	s_cbranch_execz .LBB6_8391
; %bb.8386:                             ;   in Loop: Header=BB6_7619 Depth=4
	v_lshrrev_b32_e32 v8, 24, v50
	v_cmp_ne_u32_sdwa vcc, v50, s96 src0_sel:BYTE_3 src1_sel:DWORD
	v_bfrev_b32_e32 v4, 1
	s_and_saveexec_b64 s[36:37], vcc
	s_cbranch_execz .LBB6_8390
; %bb.8387:                             ;   in Loop: Header=BB6_7619 Depth=4
	v_bfe_u32 v5, v50, 24, 7
	v_cmp_ne_u32_e32 vcc, s86, v5
	v_mov_b32_e32 v4, 0x7f800001
	s_and_saveexec_b64 s[38:39], vcc
	s_cbranch_execz .LBB6_8389
; %bb.8388:                             ;   in Loop: Header=BB6_7619 Depth=4
	v_and_b32_e32 v9, 7, v8
	v_ffbh_u32_e32 v4, v9
	v_min_u32_e32 v28, 32, v4
	v_subrev_u32_e32 v4, 28, v28
	v_lshrrev_b32_e32 v26, 3, v5
	v_cmp_gt_u32_e32 vcc, 8, v5
	v_lshlrev_b64 v[4:5], v4, v[8:9]
	v_sub_u32_e32 v5, 29, v28
	v_and_b32_e32 v4, 7, v4
	v_mov_b32_e32 v8, 24
	v_cndmask_b32_e32 v5, v26, v5, vcc
	v_cndmask_b32_e32 v4, v9, v4, vcc
	v_lshlrev_b32_sdwa v8, v8, v50 dst_sel:DWORD dst_unused:UNUSED_PAD src0_sel:DWORD src1_sel:BYTE_3
	v_bfrev_b32_e32 v9, 60
	v_lshlrev_b32_e32 v4, 20, v4
	v_and_b32_e32 v8, 0x80000000, v8
	v_lshl_add_u32 v5, v5, 23, v9
	v_or3_b32 v4, v8, v5, v4
.LBB6_8389:                             ;   in Loop: Header=BB6_7619 Depth=4
	s_or_b64 exec, exec, s[38:39]
.LBB6_8390:                             ;   in Loop: Header=BB6_7619 Depth=4
	s_or_b64 exec, exec, s[36:37]
.LBB6_8391:                             ;   in Loop: Header=BB6_7619 Depth=4
	s_or_b64 exec, exec, s[40:41]
	v_bfe_u32 v26, v11, 24, 3
	v_ffbh_u32_e32 v8, v26
	v_min_u32_e32 v37, 32, v8
	v_lshrrev_b32_e32 v5, 24, v11
	v_subrev_u32_e32 v8, 28, v37
	v_lshlrev_b64 v[8:9], v8, v[5:6]
	v_bfe_u32 v28, v11, 24, 7
	v_bfe_u32 v30, v5, 3, 4
	v_sub_u32_e32 v9, 29, v37
	v_and_b32_e32 v8, 7, v8
	v_cmp_gt_u32_e32 vcc, 8, v28
	v_cndmask_b32_e32 v9, v30, v9, vcc
	v_cndmask_b32_e32 v8, v26, v8, vcc
	v_bfrev_b32_e32 v30, 60
	v_lshlrev_b32_e32 v8, 20, v8
	v_and_b32_e32 v26, 0x80000000, v11
	v_lshl_add_u32 v9, v9, 23, v30
	v_or3_b32 v8, v26, v9, v8
	v_cmp_ne_u32_e32 vcc, s86, v28
	v_mov_b32_e32 v9, 0x7f800001
	v_cndmask_b32_e32 v8, v9, v8, vcc
	v_cmp_ne_u32_e32 vcc, s96, v5
	v_bfrev_b32_e32 v5, 1
	v_cndmask_b32_e32 v5, v5, v8, vcc
	v_cmp_lt_u64_e32 vcc, s[56:57], v[10:11]
	v_cndmask_b32_e32 v5, 0, v5, vcc
	v_add_f32_e32 v5, v5, v4
	v_and_b32_e32 v50, 0x7f800000, v5
	v_cmp_ne_u64_e32 vcc, s[76:77], v[50:51]
                                        ; implicit-def: $vgpr4
	s_and_saveexec_b64 s[40:41], vcc
	s_xor_b64 s[36:37], exec, s[40:41]
	s_cbranch_execz .LBB6_8405
; %bb.8392:                             ;   in Loop: Header=BB6_7619 Depth=4
	v_and_b32_e32 v50, 0x7fffffff, v5
	v_cmp_gt_u64_e32 vcc, s[78:79], v[50:51]
	v_and_b32_sdwa v10, v5, s96 dst_sel:DWORD dst_unused:UNUSED_PAD src0_sel:BYTE_3 src1_sel:DWORD
                                        ; implicit-def: $vgpr4
	s_and_saveexec_b64 s[40:41], vcc
	s_xor_b64 s[38:39], exec, s[40:41]
	s_cbranch_execz .LBB6_8402
; %bb.8393:                             ;   in Loop: Header=BB6_7619 Depth=4
	v_mov_b32_e32 v4, 0
	v_cmp_ne_u32_e32 vcc, 0, v5
	s_and_saveexec_b64 s[48:49], vcc
	s_cbranch_execz .LBB6_8401
; %bb.8394:                             ;   in Loop: Header=BB6_7619 Depth=4
	v_bfe_u32 v11, v5, 23, 8
	v_and_b32_e32 v4, 0x7fffff, v5
	v_cmp_gt_u32_e64 s[40:41], s97, v11
	v_sub_u32_e32 v5, 0x79, v11
	v_cmp_eq_u32_e32 vcc, 0, v11
	v_cndmask_b32_e64 v5, 0, v5, s[40:41]
	v_mov_b32_e32 v9, 0x78
	v_or_b32_e32 v8, 0x800000, v4
	v_cndmask_b32_e32 v26, v5, v9, vcc
	v_cndmask_b32_e32 v50, v8, v4, vcc
	v_add_u32_e32 v4, 20, v26
	v_lshlrev_b64 v[4:5], v4, -1
	v_add_u32_e32 v8, 19, v26
	v_lshlrev_b64 v[8:9], v8, 1
	v_bfi_b32 v5, v5, 0, 0
	v_bfi_b32 v4, v4, 0, v50
	v_cmp_eq_u64_e64 s[40:41], v[4:5], v[8:9]
	v_lshrrev_b64 v[8:9], v26, v[50:51]
	v_mov_b32_e32 v4, v8
	v_mov_b32_e32 v5, v9
	s_and_saveexec_b64 s[50:51], s[40:41]
; %bb.8395:                             ;   in Loop: Header=BB6_7619 Depth=4
	v_bfe_u32 v4, v8, 20, 1
	v_add_co_u32_e64 v4, s[40:41], v8, v4
	v_add_co_u32_e64 v4, s[40:41], -1, v4
; %bb.8396:                             ;   in Loop: Header=BB6_7619 Depth=4
	s_or_b64 exec, exec, s[50:51]
	v_add_u32_e32 v5, 0xffffff81, v11
	v_mov_b32_e32 v9, 0xffffff82
	v_cndmask_b32_e32 v5, v5, v9, vcc
	v_lshrrev_b32_e32 v9, 23, v8
	v_add3_u32 v11, v26, v5, v9
	v_add_u32_e32 v5, 6, v11
	v_and_b32_e32 v4, 0xfffff, v4
	v_add_u32_e32 v50, v4, v8
	v_cmp_ne_u32_e32 vcc, 0, v5
                                        ; implicit-def: $vgpr8_vgpr9
                                        ; implicit-def: $vgpr4
	s_and_saveexec_b64 s[40:41], vcc
	s_xor_b64 s[40:41], exec, s[40:41]
; %bb.8397:                             ;   in Loop: Header=BB6_7619 Depth=4
	v_cmp_lt_u64_e32 vcc, s[88:89], v[50:51]
	v_add_u32_e32 v4, 7, v11
	v_cndmask_b32_e32 v4, v5, v4, vcc
	v_cndmask_b32_e64 v5, 0, 1, vcc
	v_lshrrev_b64 v[8:9], v5, v[50:51]
; %bb.8398:                             ;   in Loop: Header=BB6_7619 Depth=4
	s_andn2_saveexec_b64 s[40:41], s[40:41]
; %bb.8399:                             ;   in Loop: Header=BB6_7619 Depth=4
	v_mov_b32_e32 v8, v50
	v_bfe_u32 v4, v50, 23, 1
	v_mov_b32_e32 v9, v51
; %bb.8400:                             ;   in Loop: Header=BB6_7619 Depth=4
	s_or_b64 exec, exec, s[40:41]
	v_lshrrev_b64 v[8:9], 20, v[8:9]
	v_cmp_gt_i32_e32 vcc, 16, v4
	v_cndmask_b32_e32 v9, 0, v9, vcc
	v_cndmask_b32_e32 v8, 7, v8, vcc
	v_cmp_eq_u32_e32 vcc, 0, v4
	v_min_i32_e32 v4, 15, v4
	v_cmp_eq_u64_e64 s[40:41], 0, v[8:9]
	v_lshlrev_b32_e32 v4, 3, v4
	v_and_b32_e32 v4, 0xf8, v4
	v_and_or_b32 v4, v8, 7, v4
	s_and_b64 s[40:41], vcc, s[40:41]
	v_cndmask_b32_e64 v4, v4, 0, s[40:41]
	v_or_b32_e32 v4, v4, v10
.LBB6_8401:                             ;   in Loop: Header=BB6_7619 Depth=4
	s_or_b64 exec, exec, s[48:49]
                                        ; implicit-def: $vgpr10
.LBB6_8402:                             ;   in Loop: Header=BB6_7619 Depth=4
	s_andn2_saveexec_b64 s[40:41], s[38:39]
; %bb.8403:                             ;   in Loop: Header=BB6_7619 Depth=4
	v_or_b32_e32 v4, 0x7e, v10
; %bb.8404:                             ;   in Loop: Header=BB6_7619 Depth=4
	s_or_b64 exec, exec, s[40:41]
                                        ; implicit-def: $vgpr5
.LBB6_8405:                             ;   in Loop: Header=BB6_7619 Depth=4
	s_andn2_saveexec_b64 s[40:41], s[36:37]
	s_cbranch_execz .LBB6_7618
; %bb.8406:                             ;   in Loop: Header=BB6_7619 Depth=4
	v_or_b32_sdwa v4, v5, s86 dst_sel:DWORD dst_unused:UNUSED_PAD src0_sel:BYTE_3 src1_sel:DWORD
	s_branch .LBB6_7618
.LBB6_8407:                             ;   in Loop: Header=BB6_7619 Depth=4
	s_or_saveexec_b64 vcc, vcc
	v_bfrev_b32_e32 v5, 1
	s_xor_b64 exec, exec, vcc
	s_cbranch_execz .LBB6_7989
.LBB6_8408:                             ;   in Loop: Header=BB6_7619 Depth=4
	v_cmp_ne_u16_sdwa s[36:37], v8, v51 src0_sel:BYTE_0 src1_sel:DWORD
	s_andn2_b64 s[40:41], s[40:41], exec
	s_and_b64 s[36:37], s[36:37], exec
	v_mov_b32_e32 v5, 0
	s_or_b64 s[40:41], s[40:41], s[36:37]
	s_or_b64 exec, exec, vcc
	s_and_saveexec_b64 s[36:37], s[40:41]
	s_cbranch_execnz .LBB6_7990
	s_branch .LBB6_7991
.LBB6_8409:                             ;   in Loop: Header=BB6_7619 Depth=4
	s_or_saveexec_b64 s[36:37], s[36:37]
	v_bfrev_b32_e32 v5, 1
	s_xor_b64 exec, exec, s[36:37]
	s_cbranch_execz .LBB6_8017
.LBB6_8410:                             ;   in Loop: Header=BB6_7619 Depth=4
	v_cmp_ne_u16_e32 vcc, 0, v18
	s_andn2_b64 s[40:41], s[40:41], exec
	s_and_b64 vcc, vcc, exec
	v_mov_b32_e32 v5, 0
	s_or_b64 s[40:41], s[40:41], vcc
	s_or_b64 exec, exec, s[36:37]
	s_and_saveexec_b64 s[36:37], s[40:41]
	s_cbranch_execnz .LBB6_8018
	s_branch .LBB6_8019
.LBB6_8411:                             ;   in Loop: Header=BB6_7619 Depth=4
	s_or_saveexec_b64 vcc, vcc
	v_bfrev_b32_e32 v5, 1
	s_xor_b64 exec, exec, vcc
	s_cbranch_execz .LBB6_8045
.LBB6_8412:                             ;   in Loop: Header=BB6_7619 Depth=4
	v_cmp_ne_u16_sdwa s[36:37], v18, v51 src0_sel:BYTE_0 src1_sel:DWORD
	s_andn2_b64 s[40:41], s[40:41], exec
	s_and_b64 s[36:37], s[36:37], exec
	v_mov_b32_e32 v5, 0
	s_or_b64 s[40:41], s[40:41], s[36:37]
	s_or_b64 exec, exec, vcc
	s_and_saveexec_b64 s[36:37], s[40:41]
	s_cbranch_execnz .LBB6_8046
	s_branch .LBB6_8047
.LBB6_8413:                             ;   in Loop: Header=BB6_7619 Depth=4
	s_or_saveexec_b64 s[36:37], s[36:37]
	v_bfrev_b32_e32 v5, 1
	s_xor_b64 exec, exec, s[36:37]
	s_cbranch_execz .LBB6_8125
.LBB6_8414:                             ;   in Loop: Header=BB6_7619 Depth=4
	v_cmp_ne_u16_e32 vcc, 0, v18
	s_andn2_b64 s[40:41], s[40:41], exec
	s_and_b64 vcc, vcc, exec
	v_mov_b32_e32 v5, 0
	s_or_b64 s[40:41], s[40:41], vcc
	s_or_b64 exec, exec, s[36:37]
	s_and_saveexec_b64 s[36:37], s[40:41]
	s_cbranch_execnz .LBB6_8126
	s_branch .LBB6_8127
.LBB6_8415:                             ;   in Loop: Header=BB6_7619 Depth=4
	s_or_saveexec_b64 vcc, vcc
	v_bfrev_b32_e32 v5, 1
	s_xor_b64 exec, exec, vcc
	s_cbranch_execz .LBB6_8153
.LBB6_8416:                             ;   in Loop: Header=BB6_7619 Depth=4
	v_cmp_ne_u16_sdwa s[36:37], v18, v51 src0_sel:BYTE_0 src1_sel:DWORD
	s_andn2_b64 s[40:41], s[40:41], exec
	s_and_b64 s[36:37], s[36:37], exec
	v_mov_b32_e32 v5, 0
	s_or_b64 s[40:41], s[40:41], s[36:37]
	s_or_b64 exec, exec, vcc
	s_and_saveexec_b64 s[36:37], s[40:41]
	s_cbranch_execnz .LBB6_8154
	s_branch .LBB6_8155
.LBB6_8417:                             ;   in Loop: Header=BB6_7619 Depth=4
	s_or_saveexec_b64 vcc, vcc
	v_bfrev_b32_e32 v5, 1
	s_xor_b64 exec, exec, vcc
	s_cbranch_execz .LBB6_8203
.LBB6_8418:                             ;   in Loop: Header=BB6_7619 Depth=4
	v_cmp_ne_u16_sdwa s[36:37], v10, v51 src0_sel:BYTE_0 src1_sel:DWORD
	s_andn2_b64 s[40:41], s[40:41], exec
	s_and_b64 s[36:37], s[36:37], exec
	v_mov_b32_e32 v5, 0
	s_or_b64 s[40:41], s[40:41], s[36:37]
	s_or_b64 exec, exec, vcc
	s_and_saveexec_b64 s[36:37], s[40:41]
	s_cbranch_execnz .LBB6_8204
	s_branch .LBB6_8205
.LBB6_8419:                             ;   in Loop: Header=BB6_7619 Depth=4
	s_or_saveexec_b64 s[36:37], s[36:37]
	v_bfrev_b32_e32 v5, 1
	s_xor_b64 exec, exec, s[36:37]
	s_cbranch_execz .LBB6_8231
.LBB6_8420:                             ;   in Loop: Header=BB6_7619 Depth=4
	v_cmp_ne_u16_e32 vcc, 0, v8
	s_andn2_b64 s[40:41], s[40:41], exec
	s_and_b64 vcc, vcc, exec
	v_mov_b32_e32 v5, 0
	s_or_b64 s[40:41], s[40:41], vcc
	s_or_b64 exec, exec, s[36:37]
	s_and_saveexec_b64 s[36:37], s[40:41]
	s_cbranch_execnz .LBB6_8232
	s_branch .LBB6_8233
.LBB6_8421:                             ;   in Loop: Header=BB6_7619 Depth=4
	s_or_saveexec_b64 vcc, vcc
	v_bfrev_b32_e32 v5, 1
	s_xor_b64 exec, exec, vcc
	s_cbranch_execz .LBB6_8259
.LBB6_8422:                             ;   in Loop: Header=BB6_7619 Depth=4
	v_cmp_ne_u16_sdwa s[36:37], v8, v51 src0_sel:BYTE_0 src1_sel:DWORD
	s_andn2_b64 s[40:41], s[40:41], exec
	s_and_b64 s[36:37], s[36:37], exec
	v_mov_b32_e32 v5, 0
	s_or_b64 s[40:41], s[40:41], s[36:37]
	s_or_b64 exec, exec, vcc
	s_and_saveexec_b64 s[36:37], s[40:41]
	s_cbranch_execnz .LBB6_8260
	s_branch .LBB6_8261
.LBB6_8423:                             ;   in Loop: Header=BB6_7619 Depth=4
	s_or_saveexec_b64 s[36:37], s[36:37]
	v_bfrev_b32_e32 v5, 1
	s_xor_b64 exec, exec, s[36:37]
	s_cbranch_execz .LBB6_8339
.LBB6_8424:                             ;   in Loop: Header=BB6_7619 Depth=4
	v_cmp_ne_u16_e32 vcc, 0, v8
	s_andn2_b64 s[40:41], s[40:41], exec
	s_and_b64 vcc, vcc, exec
	v_mov_b32_e32 v5, 0
	s_or_b64 s[40:41], s[40:41], vcc
	s_or_b64 exec, exec, s[36:37]
	s_and_saveexec_b64 s[36:37], s[40:41]
	s_cbranch_execnz .LBB6_8340
	s_branch .LBB6_8341
.LBB6_8425:                             ;   in Loop: Header=BB6_7619 Depth=4
	s_or_saveexec_b64 vcc, vcc
	v_bfrev_b32_e32 v5, 1
	s_xor_b64 exec, exec, vcc
	s_cbranch_execz .LBB6_8367
.LBB6_8426:                             ;   in Loop: Header=BB6_7619 Depth=4
	v_cmp_ne_u16_sdwa s[36:37], v8, v51 src0_sel:BYTE_0 src1_sel:DWORD
	s_andn2_b64 s[40:41], s[40:41], exec
	s_and_b64 s[36:37], s[36:37], exec
	v_mov_b32_e32 v5, 0
	s_or_b64 s[40:41], s[40:41], s[36:37]
	s_or_b64 exec, exec, vcc
	s_and_saveexec_b64 s[36:37], s[40:41]
	s_cbranch_execnz .LBB6_8368
	s_branch .LBB6_8369
.LBB6_8427:                             ;   in Loop: Header=BB6_4324 Depth=3
	s_or_b64 exec, exec, s[34:35]
.LBB6_8428:                             ;   in Loop: Header=BB6_4324 Depth=3
	s_or_b64 exec, exec, s[30:31]
	buffer_load_dword v4, off, s[0:3], s33 offset:364 ; 4-byte Folded Reload
	v_cmp_lt_i32_e32 vcc, 0, v7
	s_waitcnt vmcnt(0)
	v_and_b32_e32 v4, 15, v4
	v_sub_u32_e32 v5, v3, v4
	v_cndmask_b32_e64 v5, 0, v5, s[28:29]
	v_add3_u32 v5, v0, v1, v5
	buffer_load_dword v0, off, s[0:3], s33 offset:92 ; 4-byte Folded Reload
	v_cndmask_b32_e64 v3, v3, v4, s[28:29]
	s_waitcnt vmcnt(0)
	v_cndmask_b32_e32 v0, 0, v0, vcc
	v_sub_u32_e32 v0, v0, v7
	v_cmp_ne_u32_e32 vcc, 0, v3
	v_lshl_add_u32 v2, v0, 6, v2
	s_and_b64 s[28:29], vcc, exec
.LBB6_8429:                             ;   in Loop: Header=BB6_4324 Depth=3
	s_or_b64 exec, exec, s[94:95]
	s_and_saveexec_b64 s[40:41], s[28:29]
	s_cbranch_execz .LBB6_10362
.LBB6_8430:                             ;   in Loop: Header=BB6_4324 Depth=3
	s_waitcnt vmcnt(1)
	v_ashrrev_i32_e32 v0, 31, v2
	v_ashrrev_i32_e32 v1, 31, v3
	v_lshrrev_b32_e32 v0, 26, v0
	v_lshrrev_b32_e32 v1, 21, v1
	v_add_u32_e32 v0, v2, v0
	v_add_u32_e32 v1, v3, v1
	v_ashrrev_i32_e32 v4, 6, v0
	v_ashrrev_i32_e32 v1, 11, v1
	v_sub_u32_e32 v17, v1, v4
	v_cmp_lt_i32_e32 vcc, 0, v17
	s_and_saveexec_b64 s[94:95], vcc
	s_cbranch_execz .LBB6_10295
; %bb.8431:                             ;   in Loop: Header=BB6_4324 Depth=3
	v_and_b32_e32 v0, 0xffffffc0, v0
	buffer_store_dword v1, off, s[0:3], s33 offset:176 ; 4-byte Folded Spill
	buffer_store_dword v3, off, s[0:3], s33 offset:164 ; 4-byte Folded Spill
	v_sub_u32_e32 v0, v2, v0
	v_lshlrev_b32_e32 v1, 11, v4
	buffer_store_dword v2, off, s[0:3], s33 offset:168 ; 4-byte Folded Spill
	buffer_store_dword v4, off, s[0:3], s33 offset:172 ; 4-byte Folded Spill
	;; [unrolled: 1-line block ×3, first 2 shown]
	v_add3_u32 v2, v5, v0, v1
	s_trap 2
	ds_read_b64 v[0:1], v0
	v_ashrrev_i32_e32 v3, 31, v2
	v_add_co_u32_e32 v8, vcc, v2, v52
	v_addc_co_u32_e32 v9, vcc, v3, v53, vcc
	s_waitcnt lgkmcnt(0)
	v_add_co_u32_e32 v10, vcc, v0, v2
	v_addc_co_u32_e32 v11, vcc, v1, v3, vcc
	v_add_co_u32_e32 v0, vcc, 0x7c0, v48
	v_addc_co_u32_e32 v1, vcc, 0, v49, vcc
	;; [unrolled: 2-line block ×3, first 2 shown]
	s_mov_b64 s[30:31], 0
	s_branch .LBB6_8433
.LBB6_8432:                             ;   in Loop: Header=BB6_8433 Depth=4
	s_or_b64 exec, exec, s[28:29]
	v_add_co_u32_e32 v14, vcc, 0xfffff840, v12
	v_addc_co_u32_e32 v15, vcc, -1, v13, vcc
	flat_store_byte v[14:15], v31 glc slc
	v_add_co_u32_e32 v14, vcc, 0xfffff880, v12
	v_addc_co_u32_e32 v15, vcc, -1, v13, vcc
	flat_store_byte v[14:15], v27 glc slc
	;; [unrolled: 3-line block ×19, first 2 shown]
	v_add_co_u32_e32 v14, vcc, 0xfffffd00, v12
	v_addc_co_u32_e32 v15, vcc, -1, v13, vcc
	v_add_co_u32_e32 v5, vcc, 0xfffffd40, v12
	flat_store_byte v[14:15], v6 glc slc
	v_addc_co_u32_e32 v6, vcc, -1, v13, vcc
	v_add_co_u32_e32 v0, vcc, 0xfffffd80, v12
	flat_store_byte v[5:6], v1 glc slc
	v_addc_co_u32_e32 v1, vcc, -1, v13, vcc
	flat_store_byte v[0:1], v3 glc slc
	v_add_co_u32_e32 v0, vcc, 0xfffffdc0, v12
	v_addc_co_u32_e32 v1, vcc, -1, v13, vcc
	flat_store_byte v[0:1], v7 glc slc
	v_add_co_u32_e32 v0, vcc, 0xfffffe00, v12
	v_addc_co_u32_e32 v1, vcc, -1, v13, vcc
	flat_store_byte v[0:1], v18 glc slc
	v_add_co_u32_e32 v0, vcc, 0xfffffe40, v12
	v_addc_co_u32_e32 v1, vcc, -1, v13, vcc
	flat_store_byte v[0:1], v20 glc slc
	v_add_co_u32_e32 v0, vcc, 0xfffffe80, v12
	v_addc_co_u32_e32 v1, vcc, -1, v13, vcc
	flat_store_byte v[0:1], v21 glc slc
	v_add_co_u32_e32 v0, vcc, 0xfffffec0, v12
	v_addc_co_u32_e32 v1, vcc, -1, v13, vcc
	flat_store_byte v[0:1], v22 glc slc
	v_add_co_u32_e32 v0, vcc, 0xffffff00, v12
	v_addc_co_u32_e32 v1, vcc, -1, v13, vcc
	flat_store_byte v[0:1], v23 glc slc
	v_add_co_u32_e32 v0, vcc, 0xffffff40, v12
	v_addc_co_u32_e32 v1, vcc, -1, v13, vcc
	flat_store_byte v[0:1], v24 glc slc
	v_add_co_u32_e32 v0, vcc, 0xffffff80, v12
	v_addc_co_u32_e32 v1, vcc, -1, v13, vcc
	flat_store_byte v[0:1], v25 glc slc
	v_add_co_u32_e32 v0, vcc, s47, v12
	v_addc_co_u32_e32 v1, vcc, -1, v13, vcc
	flat_store_byte v[0:1], v26 glc slc
	flat_store_byte v[12:13], v4 glc slc
	buffer_load_dword v1, off, s[0:3], s33 offset:304 ; 4-byte Folded Reload
	s_nop 0
	buffer_load_dword v0, off, s[0:3], s33 offset:92 ; 4-byte Folded Reload
	s_waitcnt vmcnt(0)
	v_add_co_u32_e32 v8, vcc, v8, v1
	v_addc_co_u32_e32 v9, vcc, 0, v9, vcc
	v_add_co_u32_e32 v10, vcc, v10, v1
	v_addc_co_u32_e32 v11, vcc, 0, v11, vcc
	v_sub_u32_e32 v17, v17, v0
	v_cmp_gt_i32_e32 vcc, 1, v17
	s_or_b64 s[30:31], vcc, s[30:31]
	v_add_co_u32_e32 v12, vcc, v12, v1
	v_addc_co_u32_e32 v13, vcc, 0, v13, vcc
	s_andn2_b64 exec, exec, s[30:31]
	s_cbranch_execz .LBB6_10294
.LBB6_8433:                             ;   Parent Loop BB6_47 Depth=1
                                        ;     Parent Loop BB6_4321 Depth=2
                                        ;       Parent Loop BB6_4324 Depth=3
                                        ; =>      This Inner Loop Header: Depth=4
	s_trap 2
	ds_read_b64 v[4:5], v0
	s_waitcnt lgkmcnt(0)
	v_cmp_eq_u32_sdwa vcc, v4, v51 src0_sel:BYTE_0 src1_sel:DWORD
	v_readfirstlane_b32 s28, v4
	v_readfirstlane_b32 s29, v5
	s_and_b64 vcc, exec, vcc
	s_cbranch_vccnz .LBB6_8437
; %bb.8434:                             ;   in Loop: Header=BB6_8433 Depth=4
	v_cmp_eq_u32_sdwa vcc, v4, s96 src0_sel:BYTE_0 src1_sel:DWORD
	s_brev_b32 s9, 1
	s_and_b64 vcc, exec, vcc
	s_cbranch_vccnz .LBB6_8438
; %bb.8435:                             ;   in Loop: Header=BB6_8433 Depth=4
	s_and_b32 vcc_lo, s28, 0x7f
	s_cmpk_eq_i32 vcc_lo, 0x7f
	s_mov_b32 s9, 0x7f800001
	s_cbranch_scc1 .LBB6_8438
; %bb.8436:                             ;   in Loop: Header=BB6_8433 Depth=4
	s_and_b32 s9, s28, 7
	s_flbit_i32_b32 s9, s9
	s_min_u32 s9, s9, 32
	s_lshr_b32 vcc_hi, vcc_lo, 3
	s_sub_i32 s34, s9, 28
	s_sub_i32 s9, 29, s9
	s_cmp_lt_u32 vcc_lo, 8
	s_cselect_b32 s9, s9, vcc_hi
	s_cselect_b32 vcc_lo, s34, 0
	s_lshl_b64 vcc, s[28:29], vcc_lo
	s_lshl_b32 s28, s28, 24
	s_lshl_b32 s9, s9, 23
	s_lshl_b32 s29, vcc_lo, 20
	s_and_b32 s28, s28, 0x80000000
	s_add_i32 s9, s9, 0x3c000000
	s_and_b32 s29, s29, 0x700000
	s_or_b32 s9, s28, s9
	s_or_b32 s9, s9, s29
	s_branch .LBB6_8438
.LBB6_8437:                             ;   in Loop: Header=BB6_8433 Depth=4
	s_mov_b32 s9, 0
.LBB6_8438:                             ;   in Loop: Header=BB6_8433 Depth=4
	flat_load_ubyte v0, v[8:9] glc slc
	v_mov_b32_e32 v1, 0
	s_waitcnt vmcnt(0) lgkmcnt(0)
	v_cmp_ne_u16_e32 vcc, 0, v0
	s_and_saveexec_b64 s[28:29], vcc
	s_cbranch_execz .LBB6_8444
; %bb.8439:                             ;   in Loop: Header=BB6_8433 Depth=4
	v_cmp_ne_u16_e32 vcc, s96, v0
	v_bfrev_b32_e32 v1, 1
	s_and_saveexec_b64 s[34:35], vcc
	s_cbranch_execz .LBB6_8443
; %bb.8440:                             ;   in Loop: Header=BB6_8433 Depth=4
	v_and_b32_e32 v14, 0xffff, v0
	v_and_b32_e32 v2, 0x7f, v14
	v_cmp_ne_u32_e32 vcc, s86, v2
	v_mov_b32_e32 v1, 0x7f800001
	s_and_saveexec_b64 s[36:37], vcc
	s_cbranch_execz .LBB6_8442
; %bb.8441:                             ;   in Loop: Header=BB6_8433 Depth=4
	v_and_b32_e32 v3, 7, v14
	v_ffbh_u32_e32 v1, v3
	v_min_u32_e32 v5, 32, v1
	v_subrev_u32_e32 v1, 28, v5
	v_lshrrev_b32_e32 v4, 3, v2
	v_cmp_gt_u32_e32 vcc, 8, v2
	v_lshlrev_b64 v[1:2], v1, v[14:15]
	v_sub_u32_e32 v2, 29, v5
	v_and_b32_e32 v1, 7, v1
	v_cndmask_b32_e32 v2, v4, v2, vcc
	v_cndmask_b32_e32 v1, v3, v1, vcc
	v_lshlrev_b32_e32 v0, 24, v0
	v_bfrev_b32_e32 v3, 60
	v_lshlrev_b32_e32 v1, 20, v1
	v_and_b32_e32 v0, 0x80000000, v0
	v_lshl_add_u32 v2, v2, 23, v3
	v_or3_b32 v1, v0, v2, v1
.LBB6_8442:                             ;   in Loop: Header=BB6_8433 Depth=4
	s_or_b64 exec, exec, s[36:37]
.LBB6_8443:                             ;   in Loop: Header=BB6_8433 Depth=4
	s_or_b64 exec, exec, s[34:35]
.LBB6_8444:                             ;   in Loop: Header=BB6_8433 Depth=4
	s_or_b64 exec, exec, s[28:29]
	v_mul_f32_e32 v1, s9, v1
	v_and_b32_e32 v50, 0x7f800000, v1
	v_cmp_ne_u64_e32 vcc, s[76:77], v[50:51]
                                        ; implicit-def: $vgpr19
	s_and_saveexec_b64 s[28:29], vcc
	s_xor_b64 s[34:35], exec, s[28:29]
	s_cbranch_execz .LBB6_8462
; %bb.8445:                             ;   in Loop: Header=BB6_8433 Depth=4
	v_and_b32_e32 v50, 0x7fffffff, v1
	v_cmp_gt_u64_e32 vcc, s[78:79], v[50:51]
	v_and_b32_sdwa v0, v1, s96 dst_sel:DWORD dst_unused:UNUSED_PAD src0_sel:BYTE_3 src1_sel:DWORD
                                        ; implicit-def: $vgpr19
	s_and_saveexec_b64 s[28:29], vcc
	s_xor_b64 s[36:37], exec, s[28:29]
	s_cbranch_execz .LBB6_8459
; %bb.8446:                             ;   in Loop: Header=BB6_8433 Depth=4
	v_cmp_ne_u32_e32 vcc, 0, v1
	v_mov_b32_e32 v19, 0
	s_and_saveexec_b64 s[38:39], vcc
	s_cbranch_execz .LBB6_8458
; %bb.8447:                             ;   in Loop: Header=BB6_8433 Depth=4
	v_and_b32_e32 v3, 0x7fffff, v1
	v_bfe_u32 v1, v1, 23, 8
	v_cmp_gt_u32_e64 s[28:29], s97, v1
	v_sub_u32_e32 v2, 0x79, v1
	v_cmp_eq_u32_e32 vcc, 0, v1
	v_cndmask_b32_e64 v2, 0, v2, s[28:29]
	v_mov_b32_e32 v5, 0x78
	v_or_b32_e32 v4, 0x800000, v3
	v_cndmask_b32_e32 v2, v2, v5, vcc
	v_cndmask_b32_e32 v50, v4, v3, vcc
	v_add_u32_e32 v3, 20, v2
	v_lshlrev_b64 v[3:4], v3, -1
	v_add_u32_e32 v5, 19, v2
	v_lshlrev_b64 v[5:6], v5, 1
	v_bfi_b32 v4, v4, 0, 0
	v_bfi_b32 v3, v3, 0, v50
	v_lshrrev_b64 v[14:15], v2, v[50:51]
	v_cmp_eq_u64_e64 s[28:29], v[3:4], v[5:6]
	v_mov_b32_e32 v4, v14
	v_mov_b32_e32 v5, v15
	s_and_saveexec_b64 s[48:49], s[28:29]
; %bb.8448:                             ;   in Loop: Header=BB6_8433 Depth=4
	v_bfe_u32 v3, v14, 20, 1
	v_add_co_u32_e64 v3, s[28:29], v14, v3
	v_add_co_u32_e64 v4, s[28:29], -1, v3
; %bb.8449:                             ;   in Loop: Header=BB6_8433 Depth=4
	s_or_b64 exec, exec, s[48:49]
	v_add_u32_e32 v1, 0xffffff81, v1
	v_mov_b32_e32 v3, 0xffffff82
	v_cndmask_b32_e32 v1, v1, v3, vcc
	v_lshrrev_b32_e32 v3, 23, v14
	v_add3_u32 v3, v2, v1, v3
	v_add_u32_e32 v2, 6, v3
	v_and_b32_e32 v1, 0xfffff, v4
	v_add_u32_e32 v50, v1, v14
	v_cmp_ne_u32_e32 vcc, 0, v2
                                        ; implicit-def: $vgpr14_vgpr15
                                        ; implicit-def: $vgpr1
	s_and_saveexec_b64 s[28:29], vcc
	s_xor_b64 s[28:29], exec, s[28:29]
; %bb.8450:                             ;   in Loop: Header=BB6_8433 Depth=4
	v_cmp_lt_u64_e32 vcc, s[88:89], v[50:51]
	v_add_u32_e32 v1, 7, v3
	v_cndmask_b32_e32 v1, v2, v1, vcc
	v_cndmask_b32_e64 v2, 0, 1, vcc
	v_lshrrev_b64 v[14:15], v2, v[50:51]
; %bb.8451:                             ;   in Loop: Header=BB6_8433 Depth=4
	s_andn2_saveexec_b64 s[28:29], s[28:29]
; %bb.8452:                             ;   in Loop: Header=BB6_8433 Depth=4
	v_mov_b32_e32 v14, v50
	v_bfe_u32 v1, v50, 23, 1
	v_mov_b32_e32 v15, v51
; %bb.8453:                             ;   in Loop: Header=BB6_8433 Depth=4
	s_or_b64 exec, exec, s[28:29]
	v_lshrrev_b64 v[2:3], 20, v[14:15]
	v_cmp_gt_i32_e32 vcc, 16, v1
	v_cndmask_b32_e32 v15, 0, v3, vcc
	v_cndmask_b32_e32 v14, 7, v2, vcc
	v_cmp_ne_u64_e32 vcc, 0, v[14:15]
	v_cmp_ne_u32_e64 s[28:29], 0, v1
	s_or_b64 s[28:29], s[28:29], vcc
                                        ; implicit-def: $vgpr19
	s_and_saveexec_b64 vcc, s[28:29]
	s_xor_b64 s[28:29], exec, vcc
; %bb.8454:                             ;   in Loop: Header=BB6_8433 Depth=4
	v_min_i32_e32 v1, 15, v1
	v_lshl_or_b32 v0, v1, 3, v0
	v_and_or_b32 v19, v14, 7, v0
                                        ; implicit-def: $vgpr0
; %bb.8455:                             ;   in Loop: Header=BB6_8433 Depth=4
	s_andn2_saveexec_b64 s[28:29], s[28:29]
; %bb.8456:                             ;   in Loop: Header=BB6_8433 Depth=4
	v_mov_b32_e32 v19, v0
; %bb.8457:                             ;   in Loop: Header=BB6_8433 Depth=4
	s_or_b64 exec, exec, s[28:29]
.LBB6_8458:                             ;   in Loop: Header=BB6_8433 Depth=4
	s_or_b64 exec, exec, s[38:39]
                                        ; implicit-def: $vgpr0
.LBB6_8459:                             ;   in Loop: Header=BB6_8433 Depth=4
	s_andn2_saveexec_b64 s[28:29], s[36:37]
; %bb.8460:                             ;   in Loop: Header=BB6_8433 Depth=4
	v_or_b32_e32 v19, 0x7e, v0
; %bb.8461:                             ;   in Loop: Header=BB6_8433 Depth=4
	s_or_b64 exec, exec, s[28:29]
                                        ; implicit-def: $vgpr1
.LBB6_8462:                             ;   in Loop: Header=BB6_8433 Depth=4
	s_andn2_saveexec_b64 s[28:29], s[34:35]
; %bb.8463:                             ;   in Loop: Header=BB6_8433 Depth=4
	v_or_b32_sdwa v19, v1, s86 dst_sel:DWORD dst_unused:UNUSED_PAD src0_sel:BYTE_3 src1_sel:DWORD
; %bb.8464:                             ;   in Loop: Header=BB6_8433 Depth=4
	s_or_b64 exec, exec, s[28:29]
	flat_load_ubyte v0, v[8:9] offset:64 glc slc
	v_mov_b32_e32 v1, 0
	s_waitcnt vmcnt(0) lgkmcnt(0)
	v_cmp_ne_u16_e32 vcc, 0, v0
	s_and_saveexec_b64 s[28:29], vcc
	s_cbranch_execz .LBB6_8470
; %bb.8465:                             ;   in Loop: Header=BB6_8433 Depth=4
	v_cmp_ne_u16_e32 vcc, s96, v0
	v_bfrev_b32_e32 v1, 1
	s_and_saveexec_b64 s[34:35], vcc
	s_cbranch_execz .LBB6_8469
; %bb.8466:                             ;   in Loop: Header=BB6_8433 Depth=4
	v_and_b32_e32 v14, 0xffff, v0
	v_and_b32_e32 v2, 0x7f, v14
	v_cmp_ne_u32_e32 vcc, s86, v2
	v_mov_b32_e32 v1, 0x7f800001
	s_and_saveexec_b64 s[36:37], vcc
	s_cbranch_execz .LBB6_8468
; %bb.8467:                             ;   in Loop: Header=BB6_8433 Depth=4
	v_and_b32_e32 v3, 7, v14
	v_ffbh_u32_e32 v1, v3
	v_min_u32_e32 v5, 32, v1
	v_subrev_u32_e32 v1, 28, v5
	v_lshrrev_b32_e32 v4, 3, v2
	v_cmp_gt_u32_e32 vcc, 8, v2
	v_lshlrev_b64 v[1:2], v1, v[14:15]
	v_sub_u32_e32 v2, 29, v5
	v_and_b32_e32 v1, 7, v1
	v_cndmask_b32_e32 v2, v4, v2, vcc
	v_cndmask_b32_e32 v1, v3, v1, vcc
	v_lshlrev_b32_e32 v0, 24, v0
	v_bfrev_b32_e32 v3, 60
	v_lshlrev_b32_e32 v1, 20, v1
	v_and_b32_e32 v0, 0x80000000, v0
	v_lshl_add_u32 v2, v2, 23, v3
	v_or3_b32 v1, v0, v2, v1
.LBB6_8468:                             ;   in Loop: Header=BB6_8433 Depth=4
	s_or_b64 exec, exec, s[36:37]
.LBB6_8469:                             ;   in Loop: Header=BB6_8433 Depth=4
	s_or_b64 exec, exec, s[34:35]
.LBB6_8470:                             ;   in Loop: Header=BB6_8433 Depth=4
	s_or_b64 exec, exec, s[28:29]
	v_mul_f32_e32 v1, s9, v1
	v_and_b32_e32 v50, 0x7f800000, v1
	v_cmp_ne_u64_e32 vcc, s[76:77], v[50:51]
                                        ; implicit-def: $vgpr27
	s_and_saveexec_b64 s[28:29], vcc
	s_xor_b64 s[34:35], exec, s[28:29]
	s_cbranch_execz .LBB6_8488
; %bb.8471:                             ;   in Loop: Header=BB6_8433 Depth=4
	v_and_b32_e32 v50, 0x7fffffff, v1
	v_cmp_gt_u64_e32 vcc, s[78:79], v[50:51]
	v_and_b32_sdwa v0, v1, s96 dst_sel:DWORD dst_unused:UNUSED_PAD src0_sel:BYTE_3 src1_sel:DWORD
                                        ; implicit-def: $vgpr27
	s_and_saveexec_b64 s[28:29], vcc
	s_xor_b64 s[36:37], exec, s[28:29]
	s_cbranch_execz .LBB6_8485
; %bb.8472:                             ;   in Loop: Header=BB6_8433 Depth=4
	v_cmp_ne_u32_e32 vcc, 0, v1
	v_mov_b32_e32 v27, 0
	s_and_saveexec_b64 s[38:39], vcc
	s_cbranch_execz .LBB6_8484
; %bb.8473:                             ;   in Loop: Header=BB6_8433 Depth=4
	v_and_b32_e32 v3, 0x7fffff, v1
	v_bfe_u32 v1, v1, 23, 8
	v_cmp_gt_u32_e64 s[28:29], s97, v1
	v_sub_u32_e32 v2, 0x79, v1
	v_cmp_eq_u32_e32 vcc, 0, v1
	v_cndmask_b32_e64 v2, 0, v2, s[28:29]
	v_mov_b32_e32 v5, 0x78
	v_or_b32_e32 v4, 0x800000, v3
	v_cndmask_b32_e32 v2, v2, v5, vcc
	v_cndmask_b32_e32 v50, v4, v3, vcc
	v_add_u32_e32 v3, 20, v2
	v_lshlrev_b64 v[3:4], v3, -1
	v_add_u32_e32 v5, 19, v2
	v_lshlrev_b64 v[5:6], v5, 1
	v_bfi_b32 v4, v4, 0, 0
	v_bfi_b32 v3, v3, 0, v50
	v_lshrrev_b64 v[14:15], v2, v[50:51]
	v_cmp_eq_u64_e64 s[28:29], v[3:4], v[5:6]
	v_mov_b32_e32 v4, v14
	v_mov_b32_e32 v5, v15
	s_and_saveexec_b64 s[48:49], s[28:29]
; %bb.8474:                             ;   in Loop: Header=BB6_8433 Depth=4
	v_bfe_u32 v3, v14, 20, 1
	v_add_co_u32_e64 v3, s[28:29], v14, v3
	v_add_co_u32_e64 v4, s[28:29], -1, v3
; %bb.8475:                             ;   in Loop: Header=BB6_8433 Depth=4
	s_or_b64 exec, exec, s[48:49]
	v_add_u32_e32 v1, 0xffffff81, v1
	v_mov_b32_e32 v3, 0xffffff82
	v_cndmask_b32_e32 v1, v1, v3, vcc
	v_lshrrev_b32_e32 v3, 23, v14
	v_add3_u32 v3, v2, v1, v3
	v_add_u32_e32 v2, 6, v3
	v_and_b32_e32 v1, 0xfffff, v4
	v_add_u32_e32 v50, v1, v14
	v_cmp_ne_u32_e32 vcc, 0, v2
                                        ; implicit-def: $vgpr14_vgpr15
                                        ; implicit-def: $vgpr1
	s_and_saveexec_b64 s[28:29], vcc
	s_xor_b64 s[28:29], exec, s[28:29]
; %bb.8476:                             ;   in Loop: Header=BB6_8433 Depth=4
	v_cmp_lt_u64_e32 vcc, s[88:89], v[50:51]
	v_add_u32_e32 v1, 7, v3
	v_cndmask_b32_e32 v1, v2, v1, vcc
	v_cndmask_b32_e64 v2, 0, 1, vcc
	v_lshrrev_b64 v[14:15], v2, v[50:51]
; %bb.8477:                             ;   in Loop: Header=BB6_8433 Depth=4
	s_andn2_saveexec_b64 s[28:29], s[28:29]
; %bb.8478:                             ;   in Loop: Header=BB6_8433 Depth=4
	v_mov_b32_e32 v14, v50
	v_bfe_u32 v1, v50, 23, 1
	v_mov_b32_e32 v15, v51
; %bb.8479:                             ;   in Loop: Header=BB6_8433 Depth=4
	s_or_b64 exec, exec, s[28:29]
	v_lshrrev_b64 v[2:3], 20, v[14:15]
	v_cmp_gt_i32_e32 vcc, 16, v1
	v_cndmask_b32_e32 v15, 0, v3, vcc
	v_cndmask_b32_e32 v14, 7, v2, vcc
	v_cmp_ne_u64_e32 vcc, 0, v[14:15]
	v_cmp_ne_u32_e64 s[28:29], 0, v1
	s_or_b64 s[28:29], s[28:29], vcc
                                        ; implicit-def: $vgpr27
	s_and_saveexec_b64 vcc, s[28:29]
	s_xor_b64 s[28:29], exec, vcc
; %bb.8480:                             ;   in Loop: Header=BB6_8433 Depth=4
	v_min_i32_e32 v1, 15, v1
	v_lshl_or_b32 v0, v1, 3, v0
	v_and_or_b32 v27, v14, 7, v0
                                        ; implicit-def: $vgpr0
; %bb.8481:                             ;   in Loop: Header=BB6_8433 Depth=4
	s_andn2_saveexec_b64 s[28:29], s[28:29]
; %bb.8482:                             ;   in Loop: Header=BB6_8433 Depth=4
	v_mov_b32_e32 v27, v0
; %bb.8483:                             ;   in Loop: Header=BB6_8433 Depth=4
	s_or_b64 exec, exec, s[28:29]
.LBB6_8484:                             ;   in Loop: Header=BB6_8433 Depth=4
	s_or_b64 exec, exec, s[38:39]
                                        ; implicit-def: $vgpr0
.LBB6_8485:                             ;   in Loop: Header=BB6_8433 Depth=4
	s_andn2_saveexec_b64 s[28:29], s[36:37]
; %bb.8486:                             ;   in Loop: Header=BB6_8433 Depth=4
	v_or_b32_e32 v27, 0x7e, v0
; %bb.8487:                             ;   in Loop: Header=BB6_8433 Depth=4
	s_or_b64 exec, exec, s[28:29]
                                        ; implicit-def: $vgpr1
.LBB6_8488:                             ;   in Loop: Header=BB6_8433 Depth=4
	s_andn2_saveexec_b64 s[28:29], s[34:35]
; %bb.8489:                             ;   in Loop: Header=BB6_8433 Depth=4
	v_or_b32_sdwa v27, v1, s86 dst_sel:DWORD dst_unused:UNUSED_PAD src0_sel:BYTE_3 src1_sel:DWORD
; %bb.8490:                             ;   in Loop: Header=BB6_8433 Depth=4
	s_or_b64 exec, exec, s[28:29]
	flat_load_ubyte v0, v[8:9] offset:128 glc slc
	v_mov_b32_e32 v1, 0
	s_waitcnt vmcnt(0) lgkmcnt(0)
	v_cmp_ne_u16_e32 vcc, 0, v0
	s_and_saveexec_b64 s[28:29], vcc
	s_cbranch_execz .LBB6_8496
; %bb.8491:                             ;   in Loop: Header=BB6_8433 Depth=4
	v_cmp_ne_u16_e32 vcc, s96, v0
	v_bfrev_b32_e32 v1, 1
	s_and_saveexec_b64 s[34:35], vcc
	s_cbranch_execz .LBB6_8495
; %bb.8492:                             ;   in Loop: Header=BB6_8433 Depth=4
	v_and_b32_e32 v14, 0xffff, v0
	v_and_b32_e32 v2, 0x7f, v14
	v_cmp_ne_u32_e32 vcc, s86, v2
	v_mov_b32_e32 v1, 0x7f800001
	s_and_saveexec_b64 s[36:37], vcc
	s_cbranch_execz .LBB6_8494
; %bb.8493:                             ;   in Loop: Header=BB6_8433 Depth=4
	v_and_b32_e32 v3, 7, v14
	v_ffbh_u32_e32 v1, v3
	v_min_u32_e32 v5, 32, v1
	v_subrev_u32_e32 v1, 28, v5
	v_lshrrev_b32_e32 v4, 3, v2
	v_cmp_gt_u32_e32 vcc, 8, v2
	v_lshlrev_b64 v[1:2], v1, v[14:15]
	v_sub_u32_e32 v2, 29, v5
	v_and_b32_e32 v1, 7, v1
	v_cndmask_b32_e32 v2, v4, v2, vcc
	v_cndmask_b32_e32 v1, v3, v1, vcc
	v_lshlrev_b32_e32 v0, 24, v0
	v_bfrev_b32_e32 v3, 60
	v_lshlrev_b32_e32 v1, 20, v1
	v_and_b32_e32 v0, 0x80000000, v0
	v_lshl_add_u32 v2, v2, 23, v3
	v_or3_b32 v1, v0, v2, v1
.LBB6_8494:                             ;   in Loop: Header=BB6_8433 Depth=4
	s_or_b64 exec, exec, s[36:37]
.LBB6_8495:                             ;   in Loop: Header=BB6_8433 Depth=4
	s_or_b64 exec, exec, s[34:35]
.LBB6_8496:                             ;   in Loop: Header=BB6_8433 Depth=4
	s_or_b64 exec, exec, s[28:29]
	v_mul_f32_e32 v1, s9, v1
	v_and_b32_e32 v50, 0x7f800000, v1
	v_cmp_ne_u64_e32 vcc, s[76:77], v[50:51]
                                        ; implicit-def: $vgpr34
	s_and_saveexec_b64 s[28:29], vcc
	s_xor_b64 s[34:35], exec, s[28:29]
	s_cbranch_execz .LBB6_8514
; %bb.8497:                             ;   in Loop: Header=BB6_8433 Depth=4
	v_and_b32_e32 v50, 0x7fffffff, v1
	v_cmp_gt_u64_e32 vcc, s[78:79], v[50:51]
	v_and_b32_sdwa v0, v1, s96 dst_sel:DWORD dst_unused:UNUSED_PAD src0_sel:BYTE_3 src1_sel:DWORD
                                        ; implicit-def: $vgpr34
	s_and_saveexec_b64 s[28:29], vcc
	s_xor_b64 s[36:37], exec, s[28:29]
	s_cbranch_execz .LBB6_8511
; %bb.8498:                             ;   in Loop: Header=BB6_8433 Depth=4
	v_cmp_ne_u32_e32 vcc, 0, v1
	v_mov_b32_e32 v34, 0
	s_and_saveexec_b64 s[38:39], vcc
	s_cbranch_execz .LBB6_8510
; %bb.8499:                             ;   in Loop: Header=BB6_8433 Depth=4
	v_and_b32_e32 v3, 0x7fffff, v1
	v_bfe_u32 v1, v1, 23, 8
	v_cmp_gt_u32_e64 s[28:29], s97, v1
	v_sub_u32_e32 v2, 0x79, v1
	v_cmp_eq_u32_e32 vcc, 0, v1
	v_cndmask_b32_e64 v2, 0, v2, s[28:29]
	v_mov_b32_e32 v5, 0x78
	v_or_b32_e32 v4, 0x800000, v3
	v_cndmask_b32_e32 v2, v2, v5, vcc
	v_cndmask_b32_e32 v50, v4, v3, vcc
	v_add_u32_e32 v3, 20, v2
	v_lshlrev_b64 v[3:4], v3, -1
	v_add_u32_e32 v5, 19, v2
	v_lshlrev_b64 v[5:6], v5, 1
	v_bfi_b32 v4, v4, 0, 0
	v_bfi_b32 v3, v3, 0, v50
	v_lshrrev_b64 v[14:15], v2, v[50:51]
	v_cmp_eq_u64_e64 s[28:29], v[3:4], v[5:6]
	v_mov_b32_e32 v4, v14
	v_mov_b32_e32 v5, v15
	s_and_saveexec_b64 s[48:49], s[28:29]
; %bb.8500:                             ;   in Loop: Header=BB6_8433 Depth=4
	v_bfe_u32 v3, v14, 20, 1
	v_add_co_u32_e64 v3, s[28:29], v14, v3
	v_add_co_u32_e64 v4, s[28:29], -1, v3
; %bb.8501:                             ;   in Loop: Header=BB6_8433 Depth=4
	s_or_b64 exec, exec, s[48:49]
	v_add_u32_e32 v1, 0xffffff81, v1
	v_mov_b32_e32 v3, 0xffffff82
	v_cndmask_b32_e32 v1, v1, v3, vcc
	v_lshrrev_b32_e32 v3, 23, v14
	v_add3_u32 v3, v2, v1, v3
	v_add_u32_e32 v2, 6, v3
	v_and_b32_e32 v1, 0xfffff, v4
	v_add_u32_e32 v50, v1, v14
	v_cmp_ne_u32_e32 vcc, 0, v2
                                        ; implicit-def: $vgpr14_vgpr15
                                        ; implicit-def: $vgpr1
	s_and_saveexec_b64 s[28:29], vcc
	s_xor_b64 s[28:29], exec, s[28:29]
; %bb.8502:                             ;   in Loop: Header=BB6_8433 Depth=4
	v_cmp_lt_u64_e32 vcc, s[88:89], v[50:51]
	v_add_u32_e32 v1, 7, v3
	v_cndmask_b32_e32 v1, v2, v1, vcc
	v_cndmask_b32_e64 v2, 0, 1, vcc
	v_lshrrev_b64 v[14:15], v2, v[50:51]
; %bb.8503:                             ;   in Loop: Header=BB6_8433 Depth=4
	s_andn2_saveexec_b64 s[28:29], s[28:29]
; %bb.8504:                             ;   in Loop: Header=BB6_8433 Depth=4
	v_mov_b32_e32 v14, v50
	v_bfe_u32 v1, v50, 23, 1
	v_mov_b32_e32 v15, v51
; %bb.8505:                             ;   in Loop: Header=BB6_8433 Depth=4
	s_or_b64 exec, exec, s[28:29]
	v_lshrrev_b64 v[2:3], 20, v[14:15]
	v_cmp_gt_i32_e32 vcc, 16, v1
	v_cndmask_b32_e32 v15, 0, v3, vcc
	v_cndmask_b32_e32 v14, 7, v2, vcc
	v_cmp_ne_u64_e32 vcc, 0, v[14:15]
	v_cmp_ne_u32_e64 s[28:29], 0, v1
	s_or_b64 s[28:29], s[28:29], vcc
                                        ; implicit-def: $vgpr34
	s_and_saveexec_b64 vcc, s[28:29]
	s_xor_b64 s[28:29], exec, vcc
; %bb.8506:                             ;   in Loop: Header=BB6_8433 Depth=4
	v_min_i32_e32 v1, 15, v1
	v_lshl_or_b32 v0, v1, 3, v0
	v_and_or_b32 v34, v14, 7, v0
                                        ; implicit-def: $vgpr0
; %bb.8507:                             ;   in Loop: Header=BB6_8433 Depth=4
	s_andn2_saveexec_b64 s[28:29], s[28:29]
; %bb.8508:                             ;   in Loop: Header=BB6_8433 Depth=4
	v_mov_b32_e32 v34, v0
; %bb.8509:                             ;   in Loop: Header=BB6_8433 Depth=4
	s_or_b64 exec, exec, s[28:29]
.LBB6_8510:                             ;   in Loop: Header=BB6_8433 Depth=4
	s_or_b64 exec, exec, s[38:39]
                                        ; implicit-def: $vgpr0
.LBB6_8511:                             ;   in Loop: Header=BB6_8433 Depth=4
	s_andn2_saveexec_b64 s[28:29], s[36:37]
; %bb.8512:                             ;   in Loop: Header=BB6_8433 Depth=4
	v_or_b32_e32 v34, 0x7e, v0
; %bb.8513:                             ;   in Loop: Header=BB6_8433 Depth=4
	s_or_b64 exec, exec, s[28:29]
                                        ; implicit-def: $vgpr1
.LBB6_8514:                             ;   in Loop: Header=BB6_8433 Depth=4
	s_andn2_saveexec_b64 s[28:29], s[34:35]
; %bb.8515:                             ;   in Loop: Header=BB6_8433 Depth=4
	v_or_b32_sdwa v34, v1, s86 dst_sel:DWORD dst_unused:UNUSED_PAD src0_sel:BYTE_3 src1_sel:DWORD
; %bb.8516:                             ;   in Loop: Header=BB6_8433 Depth=4
	s_or_b64 exec, exec, s[28:29]
	flat_load_ubyte v0, v[8:9] offset:192 glc slc
	v_mov_b32_e32 v1, 0
	s_waitcnt vmcnt(0) lgkmcnt(0)
	v_cmp_ne_u16_e32 vcc, 0, v0
	s_and_saveexec_b64 s[28:29], vcc
	s_cbranch_execz .LBB6_8522
; %bb.8517:                             ;   in Loop: Header=BB6_8433 Depth=4
	v_cmp_ne_u16_e32 vcc, s96, v0
	v_bfrev_b32_e32 v1, 1
	s_and_saveexec_b64 s[34:35], vcc
	s_cbranch_execz .LBB6_8521
; %bb.8518:                             ;   in Loop: Header=BB6_8433 Depth=4
	v_and_b32_e32 v14, 0xffff, v0
	v_and_b32_e32 v2, 0x7f, v14
	v_cmp_ne_u32_e32 vcc, s86, v2
	v_mov_b32_e32 v1, 0x7f800001
	s_and_saveexec_b64 s[36:37], vcc
	s_cbranch_execz .LBB6_8520
; %bb.8519:                             ;   in Loop: Header=BB6_8433 Depth=4
	v_and_b32_e32 v3, 7, v14
	v_ffbh_u32_e32 v1, v3
	v_min_u32_e32 v5, 32, v1
	v_subrev_u32_e32 v1, 28, v5
	v_lshrrev_b32_e32 v4, 3, v2
	v_cmp_gt_u32_e32 vcc, 8, v2
	v_lshlrev_b64 v[1:2], v1, v[14:15]
	v_sub_u32_e32 v2, 29, v5
	v_and_b32_e32 v1, 7, v1
	v_cndmask_b32_e32 v2, v4, v2, vcc
	v_cndmask_b32_e32 v1, v3, v1, vcc
	v_lshlrev_b32_e32 v0, 24, v0
	v_bfrev_b32_e32 v3, 60
	v_lshlrev_b32_e32 v1, 20, v1
	v_and_b32_e32 v0, 0x80000000, v0
	v_lshl_add_u32 v2, v2, 23, v3
	v_or3_b32 v1, v0, v2, v1
.LBB6_8520:                             ;   in Loop: Header=BB6_8433 Depth=4
	s_or_b64 exec, exec, s[36:37]
.LBB6_8521:                             ;   in Loop: Header=BB6_8433 Depth=4
	s_or_b64 exec, exec, s[34:35]
.LBB6_8522:                             ;   in Loop: Header=BB6_8433 Depth=4
	s_or_b64 exec, exec, s[28:29]
	v_mul_f32_e32 v1, s9, v1
	v_and_b32_e32 v50, 0x7f800000, v1
	v_cmp_ne_u64_e32 vcc, s[76:77], v[50:51]
                                        ; implicit-def: $vgpr49
	s_and_saveexec_b64 s[28:29], vcc
	s_xor_b64 s[34:35], exec, s[28:29]
	s_cbranch_execz .LBB6_8540
; %bb.8523:                             ;   in Loop: Header=BB6_8433 Depth=4
	v_and_b32_e32 v50, 0x7fffffff, v1
	v_cmp_gt_u64_e32 vcc, s[78:79], v[50:51]
	v_and_b32_sdwa v0, v1, s96 dst_sel:DWORD dst_unused:UNUSED_PAD src0_sel:BYTE_3 src1_sel:DWORD
                                        ; implicit-def: $vgpr49
	s_and_saveexec_b64 s[28:29], vcc
	s_xor_b64 s[36:37], exec, s[28:29]
	s_cbranch_execz .LBB6_8537
; %bb.8524:                             ;   in Loop: Header=BB6_8433 Depth=4
	v_cmp_ne_u32_e32 vcc, 0, v1
	v_mov_b32_e32 v49, 0
	s_and_saveexec_b64 s[38:39], vcc
	s_cbranch_execz .LBB6_8536
; %bb.8525:                             ;   in Loop: Header=BB6_8433 Depth=4
	v_and_b32_e32 v3, 0x7fffff, v1
	v_bfe_u32 v1, v1, 23, 8
	v_cmp_gt_u32_e64 s[28:29], s97, v1
	v_sub_u32_e32 v2, 0x79, v1
	v_cmp_eq_u32_e32 vcc, 0, v1
	v_cndmask_b32_e64 v2, 0, v2, s[28:29]
	v_mov_b32_e32 v5, 0x78
	v_or_b32_e32 v4, 0x800000, v3
	v_cndmask_b32_e32 v2, v2, v5, vcc
	v_cndmask_b32_e32 v50, v4, v3, vcc
	v_add_u32_e32 v3, 20, v2
	v_lshlrev_b64 v[3:4], v3, -1
	v_add_u32_e32 v5, 19, v2
	v_lshlrev_b64 v[5:6], v5, 1
	v_bfi_b32 v4, v4, 0, 0
	v_bfi_b32 v3, v3, 0, v50
	v_lshrrev_b64 v[14:15], v2, v[50:51]
	v_cmp_eq_u64_e64 s[28:29], v[3:4], v[5:6]
	v_mov_b32_e32 v4, v14
	v_mov_b32_e32 v5, v15
	s_and_saveexec_b64 s[48:49], s[28:29]
; %bb.8526:                             ;   in Loop: Header=BB6_8433 Depth=4
	v_bfe_u32 v3, v14, 20, 1
	v_add_co_u32_e64 v3, s[28:29], v14, v3
	v_add_co_u32_e64 v4, s[28:29], -1, v3
; %bb.8527:                             ;   in Loop: Header=BB6_8433 Depth=4
	s_or_b64 exec, exec, s[48:49]
	v_add_u32_e32 v1, 0xffffff81, v1
	v_mov_b32_e32 v3, 0xffffff82
	v_cndmask_b32_e32 v1, v1, v3, vcc
	v_lshrrev_b32_e32 v3, 23, v14
	v_add3_u32 v3, v2, v1, v3
	v_add_u32_e32 v2, 6, v3
	v_and_b32_e32 v1, 0xfffff, v4
	v_add_u32_e32 v50, v1, v14
	v_cmp_ne_u32_e32 vcc, 0, v2
                                        ; implicit-def: $vgpr14_vgpr15
                                        ; implicit-def: $vgpr1
	s_and_saveexec_b64 s[28:29], vcc
	s_xor_b64 s[28:29], exec, s[28:29]
; %bb.8528:                             ;   in Loop: Header=BB6_8433 Depth=4
	v_cmp_lt_u64_e32 vcc, s[88:89], v[50:51]
	v_add_u32_e32 v1, 7, v3
	v_cndmask_b32_e32 v1, v2, v1, vcc
	v_cndmask_b32_e64 v2, 0, 1, vcc
	v_lshrrev_b64 v[14:15], v2, v[50:51]
; %bb.8529:                             ;   in Loop: Header=BB6_8433 Depth=4
	s_andn2_saveexec_b64 s[28:29], s[28:29]
; %bb.8530:                             ;   in Loop: Header=BB6_8433 Depth=4
	v_mov_b32_e32 v14, v50
	v_bfe_u32 v1, v50, 23, 1
	v_mov_b32_e32 v15, v51
; %bb.8531:                             ;   in Loop: Header=BB6_8433 Depth=4
	s_or_b64 exec, exec, s[28:29]
	v_lshrrev_b64 v[2:3], 20, v[14:15]
	v_cmp_gt_i32_e32 vcc, 16, v1
	v_cndmask_b32_e32 v15, 0, v3, vcc
	v_cndmask_b32_e32 v14, 7, v2, vcc
	v_cmp_ne_u64_e32 vcc, 0, v[14:15]
	v_cmp_ne_u32_e64 s[28:29], 0, v1
	s_or_b64 s[28:29], s[28:29], vcc
                                        ; implicit-def: $vgpr49
	s_and_saveexec_b64 vcc, s[28:29]
	s_xor_b64 s[28:29], exec, vcc
; %bb.8532:                             ;   in Loop: Header=BB6_8433 Depth=4
	v_min_i32_e32 v1, 15, v1
	v_lshl_or_b32 v0, v1, 3, v0
	v_and_or_b32 v49, v14, 7, v0
                                        ; implicit-def: $vgpr0
; %bb.8533:                             ;   in Loop: Header=BB6_8433 Depth=4
	s_andn2_saveexec_b64 s[28:29], s[28:29]
; %bb.8534:                             ;   in Loop: Header=BB6_8433 Depth=4
	v_mov_b32_e32 v49, v0
; %bb.8535:                             ;   in Loop: Header=BB6_8433 Depth=4
	s_or_b64 exec, exec, s[28:29]
.LBB6_8536:                             ;   in Loop: Header=BB6_8433 Depth=4
	s_or_b64 exec, exec, s[38:39]
                                        ; implicit-def: $vgpr0
.LBB6_8537:                             ;   in Loop: Header=BB6_8433 Depth=4
	s_andn2_saveexec_b64 s[28:29], s[36:37]
; %bb.8538:                             ;   in Loop: Header=BB6_8433 Depth=4
	v_or_b32_e32 v49, 0x7e, v0
; %bb.8539:                             ;   in Loop: Header=BB6_8433 Depth=4
	s_or_b64 exec, exec, s[28:29]
                                        ; implicit-def: $vgpr1
.LBB6_8540:                             ;   in Loop: Header=BB6_8433 Depth=4
	s_andn2_saveexec_b64 s[28:29], s[34:35]
; %bb.8541:                             ;   in Loop: Header=BB6_8433 Depth=4
	v_or_b32_sdwa v49, v1, s86 dst_sel:DWORD dst_unused:UNUSED_PAD src0_sel:BYTE_3 src1_sel:DWORD
; %bb.8542:                             ;   in Loop: Header=BB6_8433 Depth=4
	s_or_b64 exec, exec, s[28:29]
	flat_load_ubyte v0, v[8:9] offset:256 glc slc
	v_mov_b32_e32 v1, 0
	s_waitcnt vmcnt(0) lgkmcnt(0)
	v_cmp_ne_u16_e32 vcc, 0, v0
	s_and_saveexec_b64 s[28:29], vcc
	s_cbranch_execz .LBB6_8548
; %bb.8543:                             ;   in Loop: Header=BB6_8433 Depth=4
	v_cmp_ne_u16_e32 vcc, s96, v0
	v_bfrev_b32_e32 v1, 1
	s_and_saveexec_b64 s[34:35], vcc
	s_cbranch_execz .LBB6_8547
; %bb.8544:                             ;   in Loop: Header=BB6_8433 Depth=4
	v_and_b32_e32 v14, 0xffff, v0
	v_and_b32_e32 v2, 0x7f, v14
	v_cmp_ne_u32_e32 vcc, s86, v2
	v_mov_b32_e32 v1, 0x7f800001
	s_and_saveexec_b64 s[36:37], vcc
	s_cbranch_execz .LBB6_8546
; %bb.8545:                             ;   in Loop: Header=BB6_8433 Depth=4
	v_and_b32_e32 v3, 7, v14
	v_ffbh_u32_e32 v1, v3
	v_min_u32_e32 v5, 32, v1
	v_subrev_u32_e32 v1, 28, v5
	v_lshrrev_b32_e32 v4, 3, v2
	v_cmp_gt_u32_e32 vcc, 8, v2
	v_lshlrev_b64 v[1:2], v1, v[14:15]
	v_sub_u32_e32 v2, 29, v5
	v_and_b32_e32 v1, 7, v1
	v_cndmask_b32_e32 v2, v4, v2, vcc
	v_cndmask_b32_e32 v1, v3, v1, vcc
	v_lshlrev_b32_e32 v0, 24, v0
	v_bfrev_b32_e32 v3, 60
	v_lshlrev_b32_e32 v1, 20, v1
	v_and_b32_e32 v0, 0x80000000, v0
	v_lshl_add_u32 v2, v2, 23, v3
	v_or3_b32 v1, v0, v2, v1
.LBB6_8546:                             ;   in Loop: Header=BB6_8433 Depth=4
	s_or_b64 exec, exec, s[36:37]
.LBB6_8547:                             ;   in Loop: Header=BB6_8433 Depth=4
	s_or_b64 exec, exec, s[34:35]
.LBB6_8548:                             ;   in Loop: Header=BB6_8433 Depth=4
	s_or_b64 exec, exec, s[28:29]
	v_mul_f32_e32 v1, s9, v1
	v_and_b32_e32 v50, 0x7f800000, v1
	v_cmp_ne_u64_e32 vcc, s[76:77], v[50:51]
                                        ; implicit-def: $vgpr43
	s_and_saveexec_b64 s[28:29], vcc
	s_xor_b64 s[34:35], exec, s[28:29]
	s_cbranch_execz .LBB6_8566
; %bb.8549:                             ;   in Loop: Header=BB6_8433 Depth=4
	v_and_b32_e32 v50, 0x7fffffff, v1
	v_cmp_gt_u64_e32 vcc, s[78:79], v[50:51]
	v_and_b32_sdwa v0, v1, s96 dst_sel:DWORD dst_unused:UNUSED_PAD src0_sel:BYTE_3 src1_sel:DWORD
                                        ; implicit-def: $vgpr43
	s_and_saveexec_b64 s[28:29], vcc
	s_xor_b64 s[36:37], exec, s[28:29]
	s_cbranch_execz .LBB6_8563
; %bb.8550:                             ;   in Loop: Header=BB6_8433 Depth=4
	v_cmp_ne_u32_e32 vcc, 0, v1
	v_mov_b32_e32 v43, 0
	s_and_saveexec_b64 s[38:39], vcc
	s_cbranch_execz .LBB6_8562
; %bb.8551:                             ;   in Loop: Header=BB6_8433 Depth=4
	v_and_b32_e32 v3, 0x7fffff, v1
	v_bfe_u32 v1, v1, 23, 8
	v_cmp_gt_u32_e64 s[28:29], s97, v1
	v_sub_u32_e32 v2, 0x79, v1
	v_cmp_eq_u32_e32 vcc, 0, v1
	v_cndmask_b32_e64 v2, 0, v2, s[28:29]
	v_mov_b32_e32 v5, 0x78
	v_or_b32_e32 v4, 0x800000, v3
	v_cndmask_b32_e32 v2, v2, v5, vcc
	v_cndmask_b32_e32 v50, v4, v3, vcc
	v_add_u32_e32 v3, 20, v2
	v_lshlrev_b64 v[3:4], v3, -1
	v_add_u32_e32 v5, 19, v2
	v_lshlrev_b64 v[5:6], v5, 1
	v_bfi_b32 v4, v4, 0, 0
	v_bfi_b32 v3, v3, 0, v50
	v_lshrrev_b64 v[14:15], v2, v[50:51]
	v_cmp_eq_u64_e64 s[28:29], v[3:4], v[5:6]
	v_mov_b32_e32 v4, v14
	v_mov_b32_e32 v5, v15
	s_and_saveexec_b64 s[48:49], s[28:29]
; %bb.8552:                             ;   in Loop: Header=BB6_8433 Depth=4
	v_bfe_u32 v3, v14, 20, 1
	v_add_co_u32_e64 v3, s[28:29], v14, v3
	v_add_co_u32_e64 v4, s[28:29], -1, v3
; %bb.8553:                             ;   in Loop: Header=BB6_8433 Depth=4
	s_or_b64 exec, exec, s[48:49]
	v_add_u32_e32 v1, 0xffffff81, v1
	v_mov_b32_e32 v3, 0xffffff82
	v_cndmask_b32_e32 v1, v1, v3, vcc
	v_lshrrev_b32_e32 v3, 23, v14
	v_add3_u32 v3, v2, v1, v3
	v_add_u32_e32 v2, 6, v3
	v_and_b32_e32 v1, 0xfffff, v4
	v_add_u32_e32 v50, v1, v14
	v_cmp_ne_u32_e32 vcc, 0, v2
                                        ; implicit-def: $vgpr14_vgpr15
                                        ; implicit-def: $vgpr1
	s_and_saveexec_b64 s[28:29], vcc
	s_xor_b64 s[28:29], exec, s[28:29]
; %bb.8554:                             ;   in Loop: Header=BB6_8433 Depth=4
	v_cmp_lt_u64_e32 vcc, s[88:89], v[50:51]
	v_add_u32_e32 v1, 7, v3
	v_cndmask_b32_e32 v1, v2, v1, vcc
	v_cndmask_b32_e64 v2, 0, 1, vcc
	v_lshrrev_b64 v[14:15], v2, v[50:51]
; %bb.8555:                             ;   in Loop: Header=BB6_8433 Depth=4
	s_andn2_saveexec_b64 s[28:29], s[28:29]
; %bb.8556:                             ;   in Loop: Header=BB6_8433 Depth=4
	v_mov_b32_e32 v14, v50
	v_bfe_u32 v1, v50, 23, 1
	v_mov_b32_e32 v15, v51
; %bb.8557:                             ;   in Loop: Header=BB6_8433 Depth=4
	s_or_b64 exec, exec, s[28:29]
	v_lshrrev_b64 v[2:3], 20, v[14:15]
	v_cmp_gt_i32_e32 vcc, 16, v1
	v_cndmask_b32_e32 v15, 0, v3, vcc
	v_cndmask_b32_e32 v14, 7, v2, vcc
	v_cmp_ne_u64_e32 vcc, 0, v[14:15]
	v_cmp_ne_u32_e64 s[28:29], 0, v1
	s_or_b64 s[28:29], s[28:29], vcc
                                        ; implicit-def: $vgpr43
	s_and_saveexec_b64 vcc, s[28:29]
	s_xor_b64 s[28:29], exec, vcc
; %bb.8558:                             ;   in Loop: Header=BB6_8433 Depth=4
	v_min_i32_e32 v1, 15, v1
	v_lshl_or_b32 v0, v1, 3, v0
	v_and_or_b32 v43, v14, 7, v0
                                        ; implicit-def: $vgpr0
; %bb.8559:                             ;   in Loop: Header=BB6_8433 Depth=4
	s_andn2_saveexec_b64 s[28:29], s[28:29]
; %bb.8560:                             ;   in Loop: Header=BB6_8433 Depth=4
	v_mov_b32_e32 v43, v0
; %bb.8561:                             ;   in Loop: Header=BB6_8433 Depth=4
	s_or_b64 exec, exec, s[28:29]
.LBB6_8562:                             ;   in Loop: Header=BB6_8433 Depth=4
	s_or_b64 exec, exec, s[38:39]
                                        ; implicit-def: $vgpr0
.LBB6_8563:                             ;   in Loop: Header=BB6_8433 Depth=4
	s_andn2_saveexec_b64 s[28:29], s[36:37]
; %bb.8564:                             ;   in Loop: Header=BB6_8433 Depth=4
	v_or_b32_e32 v43, 0x7e, v0
; %bb.8565:                             ;   in Loop: Header=BB6_8433 Depth=4
	s_or_b64 exec, exec, s[28:29]
                                        ; implicit-def: $vgpr1
.LBB6_8566:                             ;   in Loop: Header=BB6_8433 Depth=4
	s_andn2_saveexec_b64 s[28:29], s[34:35]
; %bb.8567:                             ;   in Loop: Header=BB6_8433 Depth=4
	v_or_b32_sdwa v43, v1, s86 dst_sel:DWORD dst_unused:UNUSED_PAD src0_sel:BYTE_3 src1_sel:DWORD
; %bb.8568:                             ;   in Loop: Header=BB6_8433 Depth=4
	s_or_b64 exec, exec, s[28:29]
	flat_load_ubyte v0, v[8:9] offset:320 glc slc
	v_mov_b32_e32 v1, 0
	s_waitcnt vmcnt(0) lgkmcnt(0)
	v_cmp_ne_u16_e32 vcc, 0, v0
	s_and_saveexec_b64 s[28:29], vcc
	s_cbranch_execz .LBB6_8574
; %bb.8569:                             ;   in Loop: Header=BB6_8433 Depth=4
	v_cmp_ne_u16_e32 vcc, s96, v0
	v_bfrev_b32_e32 v1, 1
	s_and_saveexec_b64 s[34:35], vcc
	s_cbranch_execz .LBB6_8573
; %bb.8570:                             ;   in Loop: Header=BB6_8433 Depth=4
	v_and_b32_e32 v14, 0xffff, v0
	v_and_b32_e32 v2, 0x7f, v14
	v_cmp_ne_u32_e32 vcc, s86, v2
	v_mov_b32_e32 v1, 0x7f800001
	s_and_saveexec_b64 s[36:37], vcc
	s_cbranch_execz .LBB6_8572
; %bb.8571:                             ;   in Loop: Header=BB6_8433 Depth=4
	v_and_b32_e32 v3, 7, v14
	v_ffbh_u32_e32 v1, v3
	v_min_u32_e32 v5, 32, v1
	v_subrev_u32_e32 v1, 28, v5
	v_lshrrev_b32_e32 v4, 3, v2
	v_cmp_gt_u32_e32 vcc, 8, v2
	v_lshlrev_b64 v[1:2], v1, v[14:15]
	v_sub_u32_e32 v2, 29, v5
	v_and_b32_e32 v1, 7, v1
	v_cndmask_b32_e32 v2, v4, v2, vcc
	v_cndmask_b32_e32 v1, v3, v1, vcc
	v_lshlrev_b32_e32 v0, 24, v0
	v_bfrev_b32_e32 v3, 60
	v_lshlrev_b32_e32 v1, 20, v1
	v_and_b32_e32 v0, 0x80000000, v0
	v_lshl_add_u32 v2, v2, 23, v3
	v_or3_b32 v1, v0, v2, v1
.LBB6_8572:                             ;   in Loop: Header=BB6_8433 Depth=4
	s_or_b64 exec, exec, s[36:37]
.LBB6_8573:                             ;   in Loop: Header=BB6_8433 Depth=4
	s_or_b64 exec, exec, s[34:35]
.LBB6_8574:                             ;   in Loop: Header=BB6_8433 Depth=4
	s_or_b64 exec, exec, s[28:29]
	v_mul_f32_e32 v1, s9, v1
	v_and_b32_e32 v50, 0x7f800000, v1
	v_cmp_ne_u64_e32 vcc, s[76:77], v[50:51]
                                        ; implicit-def: $vgpr46
	s_and_saveexec_b64 s[28:29], vcc
	s_xor_b64 s[34:35], exec, s[28:29]
	s_cbranch_execz .LBB6_8592
; %bb.8575:                             ;   in Loop: Header=BB6_8433 Depth=4
	v_and_b32_e32 v50, 0x7fffffff, v1
	v_cmp_gt_u64_e32 vcc, s[78:79], v[50:51]
	v_and_b32_sdwa v0, v1, s96 dst_sel:DWORD dst_unused:UNUSED_PAD src0_sel:BYTE_3 src1_sel:DWORD
                                        ; implicit-def: $vgpr46
	s_and_saveexec_b64 s[28:29], vcc
	s_xor_b64 s[36:37], exec, s[28:29]
	s_cbranch_execz .LBB6_8589
; %bb.8576:                             ;   in Loop: Header=BB6_8433 Depth=4
	v_cmp_ne_u32_e32 vcc, 0, v1
	v_mov_b32_e32 v46, 0
	s_and_saveexec_b64 s[38:39], vcc
	s_cbranch_execz .LBB6_8588
; %bb.8577:                             ;   in Loop: Header=BB6_8433 Depth=4
	v_and_b32_e32 v3, 0x7fffff, v1
	v_bfe_u32 v1, v1, 23, 8
	v_cmp_gt_u32_e64 s[28:29], s97, v1
	v_sub_u32_e32 v2, 0x79, v1
	v_cmp_eq_u32_e32 vcc, 0, v1
	v_cndmask_b32_e64 v2, 0, v2, s[28:29]
	v_mov_b32_e32 v5, 0x78
	v_or_b32_e32 v4, 0x800000, v3
	v_cndmask_b32_e32 v2, v2, v5, vcc
	v_cndmask_b32_e32 v50, v4, v3, vcc
	v_add_u32_e32 v3, 20, v2
	v_lshlrev_b64 v[3:4], v3, -1
	v_add_u32_e32 v5, 19, v2
	v_lshlrev_b64 v[5:6], v5, 1
	v_bfi_b32 v4, v4, 0, 0
	v_bfi_b32 v3, v3, 0, v50
	v_lshrrev_b64 v[14:15], v2, v[50:51]
	v_cmp_eq_u64_e64 s[28:29], v[3:4], v[5:6]
	v_mov_b32_e32 v4, v14
	v_mov_b32_e32 v5, v15
	s_and_saveexec_b64 s[48:49], s[28:29]
; %bb.8578:                             ;   in Loop: Header=BB6_8433 Depth=4
	v_bfe_u32 v3, v14, 20, 1
	v_add_co_u32_e64 v3, s[28:29], v14, v3
	v_add_co_u32_e64 v4, s[28:29], -1, v3
; %bb.8579:                             ;   in Loop: Header=BB6_8433 Depth=4
	s_or_b64 exec, exec, s[48:49]
	v_add_u32_e32 v1, 0xffffff81, v1
	v_mov_b32_e32 v3, 0xffffff82
	v_cndmask_b32_e32 v1, v1, v3, vcc
	v_lshrrev_b32_e32 v3, 23, v14
	v_add3_u32 v3, v2, v1, v3
	v_add_u32_e32 v2, 6, v3
	v_and_b32_e32 v1, 0xfffff, v4
	v_add_u32_e32 v50, v1, v14
	v_cmp_ne_u32_e32 vcc, 0, v2
                                        ; implicit-def: $vgpr14_vgpr15
                                        ; implicit-def: $vgpr1
	s_and_saveexec_b64 s[28:29], vcc
	s_xor_b64 s[28:29], exec, s[28:29]
; %bb.8580:                             ;   in Loop: Header=BB6_8433 Depth=4
	v_cmp_lt_u64_e32 vcc, s[88:89], v[50:51]
	v_add_u32_e32 v1, 7, v3
	v_cndmask_b32_e32 v1, v2, v1, vcc
	v_cndmask_b32_e64 v2, 0, 1, vcc
	v_lshrrev_b64 v[14:15], v2, v[50:51]
; %bb.8581:                             ;   in Loop: Header=BB6_8433 Depth=4
	s_andn2_saveexec_b64 s[28:29], s[28:29]
; %bb.8582:                             ;   in Loop: Header=BB6_8433 Depth=4
	v_mov_b32_e32 v14, v50
	v_bfe_u32 v1, v50, 23, 1
	v_mov_b32_e32 v15, v51
; %bb.8583:                             ;   in Loop: Header=BB6_8433 Depth=4
	s_or_b64 exec, exec, s[28:29]
	v_lshrrev_b64 v[2:3], 20, v[14:15]
	v_cmp_gt_i32_e32 vcc, 16, v1
	v_cndmask_b32_e32 v15, 0, v3, vcc
	v_cndmask_b32_e32 v14, 7, v2, vcc
	v_cmp_ne_u64_e32 vcc, 0, v[14:15]
	v_cmp_ne_u32_e64 s[28:29], 0, v1
	s_or_b64 s[28:29], s[28:29], vcc
                                        ; implicit-def: $vgpr46
	s_and_saveexec_b64 vcc, s[28:29]
	s_xor_b64 s[28:29], exec, vcc
; %bb.8584:                             ;   in Loop: Header=BB6_8433 Depth=4
	v_min_i32_e32 v1, 15, v1
	v_lshl_or_b32 v0, v1, 3, v0
	v_and_or_b32 v46, v14, 7, v0
                                        ; implicit-def: $vgpr0
; %bb.8585:                             ;   in Loop: Header=BB6_8433 Depth=4
	s_andn2_saveexec_b64 s[28:29], s[28:29]
; %bb.8586:                             ;   in Loop: Header=BB6_8433 Depth=4
	v_mov_b32_e32 v46, v0
; %bb.8587:                             ;   in Loop: Header=BB6_8433 Depth=4
	s_or_b64 exec, exec, s[28:29]
.LBB6_8588:                             ;   in Loop: Header=BB6_8433 Depth=4
	s_or_b64 exec, exec, s[38:39]
                                        ; implicit-def: $vgpr0
.LBB6_8589:                             ;   in Loop: Header=BB6_8433 Depth=4
	s_andn2_saveexec_b64 s[28:29], s[36:37]
; %bb.8590:                             ;   in Loop: Header=BB6_8433 Depth=4
	v_or_b32_e32 v46, 0x7e, v0
; %bb.8591:                             ;   in Loop: Header=BB6_8433 Depth=4
	s_or_b64 exec, exec, s[28:29]
                                        ; implicit-def: $vgpr1
.LBB6_8592:                             ;   in Loop: Header=BB6_8433 Depth=4
	s_andn2_saveexec_b64 s[28:29], s[34:35]
; %bb.8593:                             ;   in Loop: Header=BB6_8433 Depth=4
	v_or_b32_sdwa v46, v1, s86 dst_sel:DWORD dst_unused:UNUSED_PAD src0_sel:BYTE_3 src1_sel:DWORD
; %bb.8594:                             ;   in Loop: Header=BB6_8433 Depth=4
	s_or_b64 exec, exec, s[28:29]
	flat_load_ubyte v0, v[8:9] offset:384 glc slc
	v_mov_b32_e32 v1, 0
	s_waitcnt vmcnt(0) lgkmcnt(0)
	v_cmp_ne_u16_e32 vcc, 0, v0
	s_and_saveexec_b64 s[28:29], vcc
	s_cbranch_execz .LBB6_8600
; %bb.8595:                             ;   in Loop: Header=BB6_8433 Depth=4
	v_cmp_ne_u16_e32 vcc, s96, v0
	v_bfrev_b32_e32 v1, 1
	s_and_saveexec_b64 s[34:35], vcc
	s_cbranch_execz .LBB6_8599
; %bb.8596:                             ;   in Loop: Header=BB6_8433 Depth=4
	v_and_b32_e32 v14, 0xffff, v0
	v_and_b32_e32 v2, 0x7f, v14
	v_cmp_ne_u32_e32 vcc, s86, v2
	v_mov_b32_e32 v1, 0x7f800001
	s_and_saveexec_b64 s[36:37], vcc
	s_cbranch_execz .LBB6_8598
; %bb.8597:                             ;   in Loop: Header=BB6_8433 Depth=4
	v_and_b32_e32 v3, 7, v14
	v_ffbh_u32_e32 v1, v3
	v_min_u32_e32 v5, 32, v1
	v_subrev_u32_e32 v1, 28, v5
	v_lshrrev_b32_e32 v4, 3, v2
	v_cmp_gt_u32_e32 vcc, 8, v2
	v_lshlrev_b64 v[1:2], v1, v[14:15]
	v_sub_u32_e32 v2, 29, v5
	v_and_b32_e32 v1, 7, v1
	v_cndmask_b32_e32 v2, v4, v2, vcc
	v_cndmask_b32_e32 v1, v3, v1, vcc
	v_lshlrev_b32_e32 v0, 24, v0
	v_bfrev_b32_e32 v3, 60
	v_lshlrev_b32_e32 v1, 20, v1
	v_and_b32_e32 v0, 0x80000000, v0
	v_lshl_add_u32 v2, v2, 23, v3
	v_or3_b32 v1, v0, v2, v1
.LBB6_8598:                             ;   in Loop: Header=BB6_8433 Depth=4
	s_or_b64 exec, exec, s[36:37]
.LBB6_8599:                             ;   in Loop: Header=BB6_8433 Depth=4
	s_or_b64 exec, exec, s[34:35]
.LBB6_8600:                             ;   in Loop: Header=BB6_8433 Depth=4
	s_or_b64 exec, exec, s[28:29]
	v_mul_f32_e32 v1, s9, v1
	v_and_b32_e32 v50, 0x7f800000, v1
	v_cmp_ne_u64_e32 vcc, s[76:77], v[50:51]
                                        ; implicit-def: $vgpr45
	s_and_saveexec_b64 s[28:29], vcc
	s_xor_b64 s[34:35], exec, s[28:29]
	s_cbranch_execz .LBB6_8618
; %bb.8601:                             ;   in Loop: Header=BB6_8433 Depth=4
	v_and_b32_e32 v50, 0x7fffffff, v1
	v_cmp_gt_u64_e32 vcc, s[78:79], v[50:51]
	v_and_b32_sdwa v0, v1, s96 dst_sel:DWORD dst_unused:UNUSED_PAD src0_sel:BYTE_3 src1_sel:DWORD
                                        ; implicit-def: $vgpr45
	s_and_saveexec_b64 s[28:29], vcc
	s_xor_b64 s[36:37], exec, s[28:29]
	s_cbranch_execz .LBB6_8615
; %bb.8602:                             ;   in Loop: Header=BB6_8433 Depth=4
	v_cmp_ne_u32_e32 vcc, 0, v1
	v_mov_b32_e32 v45, 0
	s_and_saveexec_b64 s[38:39], vcc
	s_cbranch_execz .LBB6_8614
; %bb.8603:                             ;   in Loop: Header=BB6_8433 Depth=4
	v_and_b32_e32 v3, 0x7fffff, v1
	v_bfe_u32 v1, v1, 23, 8
	v_cmp_gt_u32_e64 s[28:29], s97, v1
	v_sub_u32_e32 v2, 0x79, v1
	v_cmp_eq_u32_e32 vcc, 0, v1
	v_cndmask_b32_e64 v2, 0, v2, s[28:29]
	v_mov_b32_e32 v5, 0x78
	v_or_b32_e32 v4, 0x800000, v3
	v_cndmask_b32_e32 v2, v2, v5, vcc
	v_cndmask_b32_e32 v50, v4, v3, vcc
	v_add_u32_e32 v3, 20, v2
	v_lshlrev_b64 v[3:4], v3, -1
	v_add_u32_e32 v5, 19, v2
	v_lshlrev_b64 v[5:6], v5, 1
	v_bfi_b32 v4, v4, 0, 0
	v_bfi_b32 v3, v3, 0, v50
	v_lshrrev_b64 v[14:15], v2, v[50:51]
	v_cmp_eq_u64_e64 s[28:29], v[3:4], v[5:6]
	v_mov_b32_e32 v4, v14
	v_mov_b32_e32 v5, v15
	s_and_saveexec_b64 s[48:49], s[28:29]
; %bb.8604:                             ;   in Loop: Header=BB6_8433 Depth=4
	v_bfe_u32 v3, v14, 20, 1
	v_add_co_u32_e64 v3, s[28:29], v14, v3
	v_add_co_u32_e64 v4, s[28:29], -1, v3
; %bb.8605:                             ;   in Loop: Header=BB6_8433 Depth=4
	s_or_b64 exec, exec, s[48:49]
	v_add_u32_e32 v1, 0xffffff81, v1
	v_mov_b32_e32 v3, 0xffffff82
	v_cndmask_b32_e32 v1, v1, v3, vcc
	v_lshrrev_b32_e32 v3, 23, v14
	v_add3_u32 v3, v2, v1, v3
	v_add_u32_e32 v2, 6, v3
	v_and_b32_e32 v1, 0xfffff, v4
	v_add_u32_e32 v50, v1, v14
	v_cmp_ne_u32_e32 vcc, 0, v2
                                        ; implicit-def: $vgpr14_vgpr15
                                        ; implicit-def: $vgpr1
	s_and_saveexec_b64 s[28:29], vcc
	s_xor_b64 s[28:29], exec, s[28:29]
; %bb.8606:                             ;   in Loop: Header=BB6_8433 Depth=4
	v_cmp_lt_u64_e32 vcc, s[88:89], v[50:51]
	v_add_u32_e32 v1, 7, v3
	v_cndmask_b32_e32 v1, v2, v1, vcc
	v_cndmask_b32_e64 v2, 0, 1, vcc
	v_lshrrev_b64 v[14:15], v2, v[50:51]
; %bb.8607:                             ;   in Loop: Header=BB6_8433 Depth=4
	s_andn2_saveexec_b64 s[28:29], s[28:29]
; %bb.8608:                             ;   in Loop: Header=BB6_8433 Depth=4
	v_mov_b32_e32 v14, v50
	v_bfe_u32 v1, v50, 23, 1
	v_mov_b32_e32 v15, v51
; %bb.8609:                             ;   in Loop: Header=BB6_8433 Depth=4
	s_or_b64 exec, exec, s[28:29]
	v_lshrrev_b64 v[2:3], 20, v[14:15]
	v_cmp_gt_i32_e32 vcc, 16, v1
	v_cndmask_b32_e32 v15, 0, v3, vcc
	v_cndmask_b32_e32 v14, 7, v2, vcc
	v_cmp_ne_u64_e32 vcc, 0, v[14:15]
	v_cmp_ne_u32_e64 s[28:29], 0, v1
	s_or_b64 s[28:29], s[28:29], vcc
                                        ; implicit-def: $vgpr45
	s_and_saveexec_b64 vcc, s[28:29]
	s_xor_b64 s[28:29], exec, vcc
; %bb.8610:                             ;   in Loop: Header=BB6_8433 Depth=4
	v_min_i32_e32 v1, 15, v1
	v_lshl_or_b32 v0, v1, 3, v0
	v_and_or_b32 v45, v14, 7, v0
                                        ; implicit-def: $vgpr0
; %bb.8611:                             ;   in Loop: Header=BB6_8433 Depth=4
	s_andn2_saveexec_b64 s[28:29], s[28:29]
; %bb.8612:                             ;   in Loop: Header=BB6_8433 Depth=4
	v_mov_b32_e32 v45, v0
; %bb.8613:                             ;   in Loop: Header=BB6_8433 Depth=4
	s_or_b64 exec, exec, s[28:29]
.LBB6_8614:                             ;   in Loop: Header=BB6_8433 Depth=4
	s_or_b64 exec, exec, s[38:39]
                                        ; implicit-def: $vgpr0
.LBB6_8615:                             ;   in Loop: Header=BB6_8433 Depth=4
	s_andn2_saveexec_b64 s[28:29], s[36:37]
; %bb.8616:                             ;   in Loop: Header=BB6_8433 Depth=4
	v_or_b32_e32 v45, 0x7e, v0
; %bb.8617:                             ;   in Loop: Header=BB6_8433 Depth=4
	s_or_b64 exec, exec, s[28:29]
                                        ; implicit-def: $vgpr1
.LBB6_8618:                             ;   in Loop: Header=BB6_8433 Depth=4
	s_andn2_saveexec_b64 s[28:29], s[34:35]
; %bb.8619:                             ;   in Loop: Header=BB6_8433 Depth=4
	v_or_b32_sdwa v45, v1, s86 dst_sel:DWORD dst_unused:UNUSED_PAD src0_sel:BYTE_3 src1_sel:DWORD
; %bb.8620:                             ;   in Loop: Header=BB6_8433 Depth=4
	s_or_b64 exec, exec, s[28:29]
	flat_load_ubyte v0, v[8:9] offset:448 glc slc
	v_mov_b32_e32 v1, 0
	s_waitcnt vmcnt(0) lgkmcnt(0)
	v_cmp_ne_u16_e32 vcc, 0, v0
	s_and_saveexec_b64 s[28:29], vcc
	s_cbranch_execz .LBB6_8626
; %bb.8621:                             ;   in Loop: Header=BB6_8433 Depth=4
	v_cmp_ne_u16_e32 vcc, s96, v0
	v_bfrev_b32_e32 v1, 1
	s_and_saveexec_b64 s[34:35], vcc
	s_cbranch_execz .LBB6_8625
; %bb.8622:                             ;   in Loop: Header=BB6_8433 Depth=4
	v_and_b32_e32 v14, 0xffff, v0
	v_and_b32_e32 v2, 0x7f, v14
	v_cmp_ne_u32_e32 vcc, s86, v2
	v_mov_b32_e32 v1, 0x7f800001
	s_and_saveexec_b64 s[36:37], vcc
	s_cbranch_execz .LBB6_8624
; %bb.8623:                             ;   in Loop: Header=BB6_8433 Depth=4
	v_and_b32_e32 v3, 7, v14
	v_ffbh_u32_e32 v1, v3
	v_min_u32_e32 v5, 32, v1
	v_subrev_u32_e32 v1, 28, v5
	v_lshrrev_b32_e32 v4, 3, v2
	v_cmp_gt_u32_e32 vcc, 8, v2
	v_lshlrev_b64 v[1:2], v1, v[14:15]
	v_sub_u32_e32 v2, 29, v5
	v_and_b32_e32 v1, 7, v1
	v_cndmask_b32_e32 v2, v4, v2, vcc
	v_cndmask_b32_e32 v1, v3, v1, vcc
	v_lshlrev_b32_e32 v0, 24, v0
	v_bfrev_b32_e32 v3, 60
	v_lshlrev_b32_e32 v1, 20, v1
	v_and_b32_e32 v0, 0x80000000, v0
	v_lshl_add_u32 v2, v2, 23, v3
	v_or3_b32 v1, v0, v2, v1
.LBB6_8624:                             ;   in Loop: Header=BB6_8433 Depth=4
	s_or_b64 exec, exec, s[36:37]
.LBB6_8625:                             ;   in Loop: Header=BB6_8433 Depth=4
	s_or_b64 exec, exec, s[34:35]
.LBB6_8626:                             ;   in Loop: Header=BB6_8433 Depth=4
	s_or_b64 exec, exec, s[28:29]
	v_mul_f32_e32 v1, s9, v1
	v_and_b32_e32 v50, 0x7f800000, v1
	v_cmp_ne_u64_e32 vcc, s[76:77], v[50:51]
                                        ; implicit-def: $vgpr42
	s_and_saveexec_b64 s[28:29], vcc
	s_xor_b64 s[34:35], exec, s[28:29]
	s_cbranch_execz .LBB6_8644
; %bb.8627:                             ;   in Loop: Header=BB6_8433 Depth=4
	v_and_b32_e32 v50, 0x7fffffff, v1
	v_cmp_gt_u64_e32 vcc, s[78:79], v[50:51]
	v_and_b32_sdwa v0, v1, s96 dst_sel:DWORD dst_unused:UNUSED_PAD src0_sel:BYTE_3 src1_sel:DWORD
                                        ; implicit-def: $vgpr42
	s_and_saveexec_b64 s[28:29], vcc
	s_xor_b64 s[36:37], exec, s[28:29]
	s_cbranch_execz .LBB6_8641
; %bb.8628:                             ;   in Loop: Header=BB6_8433 Depth=4
	v_cmp_ne_u32_e32 vcc, 0, v1
	v_mov_b32_e32 v42, 0
	s_and_saveexec_b64 s[38:39], vcc
	s_cbranch_execz .LBB6_8640
; %bb.8629:                             ;   in Loop: Header=BB6_8433 Depth=4
	v_and_b32_e32 v3, 0x7fffff, v1
	v_bfe_u32 v1, v1, 23, 8
	v_cmp_gt_u32_e64 s[28:29], s97, v1
	v_sub_u32_e32 v2, 0x79, v1
	v_cmp_eq_u32_e32 vcc, 0, v1
	v_cndmask_b32_e64 v2, 0, v2, s[28:29]
	v_mov_b32_e32 v5, 0x78
	v_or_b32_e32 v4, 0x800000, v3
	v_cndmask_b32_e32 v2, v2, v5, vcc
	v_cndmask_b32_e32 v50, v4, v3, vcc
	v_add_u32_e32 v3, 20, v2
	v_lshlrev_b64 v[3:4], v3, -1
	v_add_u32_e32 v5, 19, v2
	v_lshlrev_b64 v[5:6], v5, 1
	v_bfi_b32 v4, v4, 0, 0
	v_bfi_b32 v3, v3, 0, v50
	v_lshrrev_b64 v[14:15], v2, v[50:51]
	v_cmp_eq_u64_e64 s[28:29], v[3:4], v[5:6]
	v_mov_b32_e32 v4, v14
	v_mov_b32_e32 v5, v15
	s_and_saveexec_b64 s[48:49], s[28:29]
; %bb.8630:                             ;   in Loop: Header=BB6_8433 Depth=4
	v_bfe_u32 v3, v14, 20, 1
	v_add_co_u32_e64 v3, s[28:29], v14, v3
	v_add_co_u32_e64 v4, s[28:29], -1, v3
; %bb.8631:                             ;   in Loop: Header=BB6_8433 Depth=4
	s_or_b64 exec, exec, s[48:49]
	v_add_u32_e32 v1, 0xffffff81, v1
	v_mov_b32_e32 v3, 0xffffff82
	v_cndmask_b32_e32 v1, v1, v3, vcc
	v_lshrrev_b32_e32 v3, 23, v14
	v_add3_u32 v3, v2, v1, v3
	v_add_u32_e32 v2, 6, v3
	v_and_b32_e32 v1, 0xfffff, v4
	v_add_u32_e32 v50, v1, v14
	v_cmp_ne_u32_e32 vcc, 0, v2
                                        ; implicit-def: $vgpr14_vgpr15
                                        ; implicit-def: $vgpr1
	s_and_saveexec_b64 s[28:29], vcc
	s_xor_b64 s[28:29], exec, s[28:29]
; %bb.8632:                             ;   in Loop: Header=BB6_8433 Depth=4
	v_cmp_lt_u64_e32 vcc, s[88:89], v[50:51]
	v_add_u32_e32 v1, 7, v3
	v_cndmask_b32_e32 v1, v2, v1, vcc
	v_cndmask_b32_e64 v2, 0, 1, vcc
	v_lshrrev_b64 v[14:15], v2, v[50:51]
; %bb.8633:                             ;   in Loop: Header=BB6_8433 Depth=4
	s_andn2_saveexec_b64 s[28:29], s[28:29]
; %bb.8634:                             ;   in Loop: Header=BB6_8433 Depth=4
	v_mov_b32_e32 v14, v50
	v_bfe_u32 v1, v50, 23, 1
	v_mov_b32_e32 v15, v51
; %bb.8635:                             ;   in Loop: Header=BB6_8433 Depth=4
	s_or_b64 exec, exec, s[28:29]
	v_lshrrev_b64 v[2:3], 20, v[14:15]
	v_cmp_gt_i32_e32 vcc, 16, v1
	v_cndmask_b32_e32 v15, 0, v3, vcc
	v_cndmask_b32_e32 v14, 7, v2, vcc
	v_cmp_ne_u64_e32 vcc, 0, v[14:15]
	v_cmp_ne_u32_e64 s[28:29], 0, v1
	s_or_b64 s[28:29], s[28:29], vcc
                                        ; implicit-def: $vgpr42
	s_and_saveexec_b64 vcc, s[28:29]
	s_xor_b64 s[28:29], exec, vcc
; %bb.8636:                             ;   in Loop: Header=BB6_8433 Depth=4
	v_min_i32_e32 v1, 15, v1
	v_lshl_or_b32 v0, v1, 3, v0
	v_and_or_b32 v42, v14, 7, v0
                                        ; implicit-def: $vgpr0
; %bb.8637:                             ;   in Loop: Header=BB6_8433 Depth=4
	s_andn2_saveexec_b64 s[28:29], s[28:29]
; %bb.8638:                             ;   in Loop: Header=BB6_8433 Depth=4
	v_mov_b32_e32 v42, v0
; %bb.8639:                             ;   in Loop: Header=BB6_8433 Depth=4
	s_or_b64 exec, exec, s[28:29]
.LBB6_8640:                             ;   in Loop: Header=BB6_8433 Depth=4
	s_or_b64 exec, exec, s[38:39]
                                        ; implicit-def: $vgpr0
.LBB6_8641:                             ;   in Loop: Header=BB6_8433 Depth=4
	s_andn2_saveexec_b64 s[28:29], s[36:37]
; %bb.8642:                             ;   in Loop: Header=BB6_8433 Depth=4
	v_or_b32_e32 v42, 0x7e, v0
; %bb.8643:                             ;   in Loop: Header=BB6_8433 Depth=4
	s_or_b64 exec, exec, s[28:29]
                                        ; implicit-def: $vgpr1
.LBB6_8644:                             ;   in Loop: Header=BB6_8433 Depth=4
	s_andn2_saveexec_b64 s[28:29], s[34:35]
; %bb.8645:                             ;   in Loop: Header=BB6_8433 Depth=4
	v_or_b32_sdwa v42, v1, s86 dst_sel:DWORD dst_unused:UNUSED_PAD src0_sel:BYTE_3 src1_sel:DWORD
; %bb.8646:                             ;   in Loop: Header=BB6_8433 Depth=4
	s_or_b64 exec, exec, s[28:29]
	flat_load_ubyte v0, v[8:9] offset:512 glc slc
	v_mov_b32_e32 v1, 0
	s_waitcnt vmcnt(0) lgkmcnt(0)
	v_cmp_ne_u16_e32 vcc, 0, v0
	s_and_saveexec_b64 s[28:29], vcc
	s_cbranch_execz .LBB6_8652
; %bb.8647:                             ;   in Loop: Header=BB6_8433 Depth=4
	v_cmp_ne_u16_e32 vcc, s96, v0
	v_bfrev_b32_e32 v1, 1
	s_and_saveexec_b64 s[34:35], vcc
	s_cbranch_execz .LBB6_8651
; %bb.8648:                             ;   in Loop: Header=BB6_8433 Depth=4
	v_and_b32_e32 v14, 0xffff, v0
	v_and_b32_e32 v2, 0x7f, v14
	v_cmp_ne_u32_e32 vcc, s86, v2
	v_mov_b32_e32 v1, 0x7f800001
	s_and_saveexec_b64 s[36:37], vcc
	s_cbranch_execz .LBB6_8650
; %bb.8649:                             ;   in Loop: Header=BB6_8433 Depth=4
	v_and_b32_e32 v3, 7, v14
	v_ffbh_u32_e32 v1, v3
	v_min_u32_e32 v5, 32, v1
	v_subrev_u32_e32 v1, 28, v5
	v_lshrrev_b32_e32 v4, 3, v2
	v_cmp_gt_u32_e32 vcc, 8, v2
	v_lshlrev_b64 v[1:2], v1, v[14:15]
	v_sub_u32_e32 v2, 29, v5
	v_and_b32_e32 v1, 7, v1
	v_cndmask_b32_e32 v2, v4, v2, vcc
	v_cndmask_b32_e32 v1, v3, v1, vcc
	v_lshlrev_b32_e32 v0, 24, v0
	v_bfrev_b32_e32 v3, 60
	v_lshlrev_b32_e32 v1, 20, v1
	v_and_b32_e32 v0, 0x80000000, v0
	v_lshl_add_u32 v2, v2, 23, v3
	v_or3_b32 v1, v0, v2, v1
.LBB6_8650:                             ;   in Loop: Header=BB6_8433 Depth=4
	s_or_b64 exec, exec, s[36:37]
.LBB6_8651:                             ;   in Loop: Header=BB6_8433 Depth=4
	s_or_b64 exec, exec, s[34:35]
.LBB6_8652:                             ;   in Loop: Header=BB6_8433 Depth=4
	s_or_b64 exec, exec, s[28:29]
	v_mul_f32_e32 v1, s9, v1
	v_and_b32_e32 v50, 0x7f800000, v1
	v_cmp_ne_u64_e32 vcc, s[76:77], v[50:51]
                                        ; implicit-def: $vgpr41
	s_and_saveexec_b64 s[28:29], vcc
	s_xor_b64 s[34:35], exec, s[28:29]
	s_cbranch_execz .LBB6_8670
; %bb.8653:                             ;   in Loop: Header=BB6_8433 Depth=4
	v_and_b32_e32 v50, 0x7fffffff, v1
	v_cmp_gt_u64_e32 vcc, s[78:79], v[50:51]
	v_and_b32_sdwa v0, v1, s96 dst_sel:DWORD dst_unused:UNUSED_PAD src0_sel:BYTE_3 src1_sel:DWORD
                                        ; implicit-def: $vgpr41
	s_and_saveexec_b64 s[28:29], vcc
	s_xor_b64 s[36:37], exec, s[28:29]
	s_cbranch_execz .LBB6_8667
; %bb.8654:                             ;   in Loop: Header=BB6_8433 Depth=4
	v_cmp_ne_u32_e32 vcc, 0, v1
	v_mov_b32_e32 v41, 0
	s_and_saveexec_b64 s[38:39], vcc
	s_cbranch_execz .LBB6_8666
; %bb.8655:                             ;   in Loop: Header=BB6_8433 Depth=4
	v_and_b32_e32 v3, 0x7fffff, v1
	v_bfe_u32 v1, v1, 23, 8
	v_cmp_gt_u32_e64 s[28:29], s97, v1
	v_sub_u32_e32 v2, 0x79, v1
	v_cmp_eq_u32_e32 vcc, 0, v1
	v_cndmask_b32_e64 v2, 0, v2, s[28:29]
	v_mov_b32_e32 v5, 0x78
	v_or_b32_e32 v4, 0x800000, v3
	v_cndmask_b32_e32 v2, v2, v5, vcc
	v_cndmask_b32_e32 v50, v4, v3, vcc
	v_add_u32_e32 v3, 20, v2
	v_lshlrev_b64 v[3:4], v3, -1
	v_add_u32_e32 v5, 19, v2
	v_lshlrev_b64 v[5:6], v5, 1
	v_bfi_b32 v4, v4, 0, 0
	v_bfi_b32 v3, v3, 0, v50
	v_lshrrev_b64 v[14:15], v2, v[50:51]
	v_cmp_eq_u64_e64 s[28:29], v[3:4], v[5:6]
	v_mov_b32_e32 v4, v14
	v_mov_b32_e32 v5, v15
	s_and_saveexec_b64 s[48:49], s[28:29]
; %bb.8656:                             ;   in Loop: Header=BB6_8433 Depth=4
	v_bfe_u32 v3, v14, 20, 1
	v_add_co_u32_e64 v3, s[28:29], v14, v3
	v_add_co_u32_e64 v4, s[28:29], -1, v3
; %bb.8657:                             ;   in Loop: Header=BB6_8433 Depth=4
	s_or_b64 exec, exec, s[48:49]
	v_add_u32_e32 v1, 0xffffff81, v1
	v_mov_b32_e32 v3, 0xffffff82
	v_cndmask_b32_e32 v1, v1, v3, vcc
	v_lshrrev_b32_e32 v3, 23, v14
	v_add3_u32 v3, v2, v1, v3
	v_add_u32_e32 v2, 6, v3
	v_and_b32_e32 v1, 0xfffff, v4
	v_add_u32_e32 v50, v1, v14
	v_cmp_ne_u32_e32 vcc, 0, v2
                                        ; implicit-def: $vgpr14_vgpr15
                                        ; implicit-def: $vgpr1
	s_and_saveexec_b64 s[28:29], vcc
	s_xor_b64 s[28:29], exec, s[28:29]
; %bb.8658:                             ;   in Loop: Header=BB6_8433 Depth=4
	v_cmp_lt_u64_e32 vcc, s[88:89], v[50:51]
	v_add_u32_e32 v1, 7, v3
	v_cndmask_b32_e32 v1, v2, v1, vcc
	v_cndmask_b32_e64 v2, 0, 1, vcc
	v_lshrrev_b64 v[14:15], v2, v[50:51]
; %bb.8659:                             ;   in Loop: Header=BB6_8433 Depth=4
	s_andn2_saveexec_b64 s[28:29], s[28:29]
; %bb.8660:                             ;   in Loop: Header=BB6_8433 Depth=4
	v_mov_b32_e32 v14, v50
	v_bfe_u32 v1, v50, 23, 1
	v_mov_b32_e32 v15, v51
; %bb.8661:                             ;   in Loop: Header=BB6_8433 Depth=4
	s_or_b64 exec, exec, s[28:29]
	v_lshrrev_b64 v[2:3], 20, v[14:15]
	v_cmp_gt_i32_e32 vcc, 16, v1
	v_cndmask_b32_e32 v15, 0, v3, vcc
	v_cndmask_b32_e32 v14, 7, v2, vcc
	v_cmp_ne_u64_e32 vcc, 0, v[14:15]
	v_cmp_ne_u32_e64 s[28:29], 0, v1
	s_or_b64 s[28:29], s[28:29], vcc
                                        ; implicit-def: $vgpr41
	s_and_saveexec_b64 vcc, s[28:29]
	s_xor_b64 s[28:29], exec, vcc
; %bb.8662:                             ;   in Loop: Header=BB6_8433 Depth=4
	v_min_i32_e32 v1, 15, v1
	v_lshl_or_b32 v0, v1, 3, v0
	v_and_or_b32 v41, v14, 7, v0
                                        ; implicit-def: $vgpr0
; %bb.8663:                             ;   in Loop: Header=BB6_8433 Depth=4
	s_andn2_saveexec_b64 s[28:29], s[28:29]
; %bb.8664:                             ;   in Loop: Header=BB6_8433 Depth=4
	v_mov_b32_e32 v41, v0
; %bb.8665:                             ;   in Loop: Header=BB6_8433 Depth=4
	s_or_b64 exec, exec, s[28:29]
.LBB6_8666:                             ;   in Loop: Header=BB6_8433 Depth=4
	s_or_b64 exec, exec, s[38:39]
                                        ; implicit-def: $vgpr0
.LBB6_8667:                             ;   in Loop: Header=BB6_8433 Depth=4
	s_andn2_saveexec_b64 s[28:29], s[36:37]
; %bb.8668:                             ;   in Loop: Header=BB6_8433 Depth=4
	v_or_b32_e32 v41, 0x7e, v0
; %bb.8669:                             ;   in Loop: Header=BB6_8433 Depth=4
	s_or_b64 exec, exec, s[28:29]
                                        ; implicit-def: $vgpr1
.LBB6_8670:                             ;   in Loop: Header=BB6_8433 Depth=4
	s_andn2_saveexec_b64 s[28:29], s[34:35]
; %bb.8671:                             ;   in Loop: Header=BB6_8433 Depth=4
	v_or_b32_sdwa v41, v1, s86 dst_sel:DWORD dst_unused:UNUSED_PAD src0_sel:BYTE_3 src1_sel:DWORD
; %bb.8672:                             ;   in Loop: Header=BB6_8433 Depth=4
	s_or_b64 exec, exec, s[28:29]
	flat_load_ubyte v0, v[8:9] offset:576 glc slc
	v_mov_b32_e32 v1, 0
	s_waitcnt vmcnt(0) lgkmcnt(0)
	v_cmp_ne_u16_e32 vcc, 0, v0
	s_and_saveexec_b64 s[28:29], vcc
	s_cbranch_execz .LBB6_8678
; %bb.8673:                             ;   in Loop: Header=BB6_8433 Depth=4
	v_cmp_ne_u16_e32 vcc, s96, v0
	v_bfrev_b32_e32 v1, 1
	s_and_saveexec_b64 s[34:35], vcc
	s_cbranch_execz .LBB6_8677
; %bb.8674:                             ;   in Loop: Header=BB6_8433 Depth=4
	v_and_b32_e32 v14, 0xffff, v0
	v_and_b32_e32 v2, 0x7f, v14
	v_cmp_ne_u32_e32 vcc, s86, v2
	v_mov_b32_e32 v1, 0x7f800001
	s_and_saveexec_b64 s[36:37], vcc
	s_cbranch_execz .LBB6_8676
; %bb.8675:                             ;   in Loop: Header=BB6_8433 Depth=4
	v_and_b32_e32 v3, 7, v14
	v_ffbh_u32_e32 v1, v3
	v_min_u32_e32 v5, 32, v1
	v_subrev_u32_e32 v1, 28, v5
	v_lshrrev_b32_e32 v4, 3, v2
	v_cmp_gt_u32_e32 vcc, 8, v2
	v_lshlrev_b64 v[1:2], v1, v[14:15]
	v_sub_u32_e32 v2, 29, v5
	v_and_b32_e32 v1, 7, v1
	v_cndmask_b32_e32 v2, v4, v2, vcc
	v_cndmask_b32_e32 v1, v3, v1, vcc
	v_lshlrev_b32_e32 v0, 24, v0
	v_bfrev_b32_e32 v3, 60
	v_lshlrev_b32_e32 v1, 20, v1
	v_and_b32_e32 v0, 0x80000000, v0
	v_lshl_add_u32 v2, v2, 23, v3
	v_or3_b32 v1, v0, v2, v1
.LBB6_8676:                             ;   in Loop: Header=BB6_8433 Depth=4
	s_or_b64 exec, exec, s[36:37]
.LBB6_8677:                             ;   in Loop: Header=BB6_8433 Depth=4
	s_or_b64 exec, exec, s[34:35]
.LBB6_8678:                             ;   in Loop: Header=BB6_8433 Depth=4
	s_or_b64 exec, exec, s[28:29]
	v_mul_f32_e32 v1, s9, v1
	v_and_b32_e32 v50, 0x7f800000, v1
	v_cmp_ne_u64_e32 vcc, s[76:77], v[50:51]
                                        ; implicit-def: $vgpr40
	s_and_saveexec_b64 s[28:29], vcc
	s_xor_b64 s[34:35], exec, s[28:29]
	s_cbranch_execz .LBB6_8696
; %bb.8679:                             ;   in Loop: Header=BB6_8433 Depth=4
	v_and_b32_e32 v50, 0x7fffffff, v1
	v_cmp_gt_u64_e32 vcc, s[78:79], v[50:51]
	v_and_b32_sdwa v0, v1, s96 dst_sel:DWORD dst_unused:UNUSED_PAD src0_sel:BYTE_3 src1_sel:DWORD
                                        ; implicit-def: $vgpr40
	s_and_saveexec_b64 s[28:29], vcc
	s_xor_b64 s[36:37], exec, s[28:29]
	s_cbranch_execz .LBB6_8693
; %bb.8680:                             ;   in Loop: Header=BB6_8433 Depth=4
	v_cmp_ne_u32_e32 vcc, 0, v1
	v_mov_b32_e32 v40, 0
	s_and_saveexec_b64 s[38:39], vcc
	s_cbranch_execz .LBB6_8692
; %bb.8681:                             ;   in Loop: Header=BB6_8433 Depth=4
	v_and_b32_e32 v3, 0x7fffff, v1
	v_bfe_u32 v1, v1, 23, 8
	v_cmp_gt_u32_e64 s[28:29], s97, v1
	v_sub_u32_e32 v2, 0x79, v1
	v_cmp_eq_u32_e32 vcc, 0, v1
	v_cndmask_b32_e64 v2, 0, v2, s[28:29]
	v_mov_b32_e32 v5, 0x78
	v_or_b32_e32 v4, 0x800000, v3
	v_cndmask_b32_e32 v2, v2, v5, vcc
	v_cndmask_b32_e32 v50, v4, v3, vcc
	v_add_u32_e32 v3, 20, v2
	v_lshlrev_b64 v[3:4], v3, -1
	v_add_u32_e32 v5, 19, v2
	v_lshlrev_b64 v[5:6], v5, 1
	v_bfi_b32 v4, v4, 0, 0
	v_bfi_b32 v3, v3, 0, v50
	v_lshrrev_b64 v[14:15], v2, v[50:51]
	v_cmp_eq_u64_e64 s[28:29], v[3:4], v[5:6]
	v_mov_b32_e32 v4, v14
	v_mov_b32_e32 v5, v15
	s_and_saveexec_b64 s[48:49], s[28:29]
; %bb.8682:                             ;   in Loop: Header=BB6_8433 Depth=4
	v_bfe_u32 v3, v14, 20, 1
	v_add_co_u32_e64 v3, s[28:29], v14, v3
	v_add_co_u32_e64 v4, s[28:29], -1, v3
; %bb.8683:                             ;   in Loop: Header=BB6_8433 Depth=4
	s_or_b64 exec, exec, s[48:49]
	v_add_u32_e32 v1, 0xffffff81, v1
	v_mov_b32_e32 v3, 0xffffff82
	v_cndmask_b32_e32 v1, v1, v3, vcc
	v_lshrrev_b32_e32 v3, 23, v14
	v_add3_u32 v3, v2, v1, v3
	v_add_u32_e32 v2, 6, v3
	v_and_b32_e32 v1, 0xfffff, v4
	v_add_u32_e32 v50, v1, v14
	v_cmp_ne_u32_e32 vcc, 0, v2
                                        ; implicit-def: $vgpr14_vgpr15
                                        ; implicit-def: $vgpr1
	s_and_saveexec_b64 s[28:29], vcc
	s_xor_b64 s[28:29], exec, s[28:29]
; %bb.8684:                             ;   in Loop: Header=BB6_8433 Depth=4
	v_cmp_lt_u64_e32 vcc, s[88:89], v[50:51]
	v_add_u32_e32 v1, 7, v3
	v_cndmask_b32_e32 v1, v2, v1, vcc
	v_cndmask_b32_e64 v2, 0, 1, vcc
	v_lshrrev_b64 v[14:15], v2, v[50:51]
; %bb.8685:                             ;   in Loop: Header=BB6_8433 Depth=4
	s_andn2_saveexec_b64 s[28:29], s[28:29]
; %bb.8686:                             ;   in Loop: Header=BB6_8433 Depth=4
	v_mov_b32_e32 v14, v50
	v_bfe_u32 v1, v50, 23, 1
	v_mov_b32_e32 v15, v51
; %bb.8687:                             ;   in Loop: Header=BB6_8433 Depth=4
	s_or_b64 exec, exec, s[28:29]
	v_lshrrev_b64 v[2:3], 20, v[14:15]
	v_cmp_gt_i32_e32 vcc, 16, v1
	v_cndmask_b32_e32 v15, 0, v3, vcc
	v_cndmask_b32_e32 v14, 7, v2, vcc
	v_cmp_ne_u64_e32 vcc, 0, v[14:15]
	v_cmp_ne_u32_e64 s[28:29], 0, v1
	s_or_b64 s[28:29], s[28:29], vcc
                                        ; implicit-def: $vgpr40
	s_and_saveexec_b64 vcc, s[28:29]
	s_xor_b64 s[28:29], exec, vcc
; %bb.8688:                             ;   in Loop: Header=BB6_8433 Depth=4
	v_min_i32_e32 v1, 15, v1
	v_lshl_or_b32 v0, v1, 3, v0
	v_and_or_b32 v40, v14, 7, v0
                                        ; implicit-def: $vgpr0
; %bb.8689:                             ;   in Loop: Header=BB6_8433 Depth=4
	s_andn2_saveexec_b64 s[28:29], s[28:29]
; %bb.8690:                             ;   in Loop: Header=BB6_8433 Depth=4
	v_mov_b32_e32 v40, v0
; %bb.8691:                             ;   in Loop: Header=BB6_8433 Depth=4
	s_or_b64 exec, exec, s[28:29]
.LBB6_8692:                             ;   in Loop: Header=BB6_8433 Depth=4
	s_or_b64 exec, exec, s[38:39]
                                        ; implicit-def: $vgpr0
.LBB6_8693:                             ;   in Loop: Header=BB6_8433 Depth=4
	s_andn2_saveexec_b64 s[28:29], s[36:37]
; %bb.8694:                             ;   in Loop: Header=BB6_8433 Depth=4
	v_or_b32_e32 v40, 0x7e, v0
; %bb.8695:                             ;   in Loop: Header=BB6_8433 Depth=4
	s_or_b64 exec, exec, s[28:29]
                                        ; implicit-def: $vgpr1
.LBB6_8696:                             ;   in Loop: Header=BB6_8433 Depth=4
	s_andn2_saveexec_b64 s[28:29], s[34:35]
; %bb.8697:                             ;   in Loop: Header=BB6_8433 Depth=4
	v_or_b32_sdwa v40, v1, s86 dst_sel:DWORD dst_unused:UNUSED_PAD src0_sel:BYTE_3 src1_sel:DWORD
; %bb.8698:                             ;   in Loop: Header=BB6_8433 Depth=4
	s_or_b64 exec, exec, s[28:29]
	flat_load_ubyte v0, v[8:9] offset:640 glc slc
	v_mov_b32_e32 v1, 0
	s_waitcnt vmcnt(0) lgkmcnt(0)
	v_cmp_ne_u16_e32 vcc, 0, v0
	s_and_saveexec_b64 s[28:29], vcc
	s_cbranch_execz .LBB6_8704
; %bb.8699:                             ;   in Loop: Header=BB6_8433 Depth=4
	v_cmp_ne_u16_e32 vcc, s96, v0
	v_bfrev_b32_e32 v1, 1
	s_and_saveexec_b64 s[34:35], vcc
	s_cbranch_execz .LBB6_8703
; %bb.8700:                             ;   in Loop: Header=BB6_8433 Depth=4
	v_and_b32_e32 v14, 0xffff, v0
	v_and_b32_e32 v2, 0x7f, v14
	v_cmp_ne_u32_e32 vcc, s86, v2
	v_mov_b32_e32 v1, 0x7f800001
	s_and_saveexec_b64 s[36:37], vcc
	s_cbranch_execz .LBB6_8702
; %bb.8701:                             ;   in Loop: Header=BB6_8433 Depth=4
	v_and_b32_e32 v3, 7, v14
	v_ffbh_u32_e32 v1, v3
	v_min_u32_e32 v5, 32, v1
	v_subrev_u32_e32 v1, 28, v5
	v_lshrrev_b32_e32 v4, 3, v2
	v_cmp_gt_u32_e32 vcc, 8, v2
	v_lshlrev_b64 v[1:2], v1, v[14:15]
	v_sub_u32_e32 v2, 29, v5
	v_and_b32_e32 v1, 7, v1
	v_cndmask_b32_e32 v2, v4, v2, vcc
	v_cndmask_b32_e32 v1, v3, v1, vcc
	v_lshlrev_b32_e32 v0, 24, v0
	v_bfrev_b32_e32 v3, 60
	v_lshlrev_b32_e32 v1, 20, v1
	v_and_b32_e32 v0, 0x80000000, v0
	v_lshl_add_u32 v2, v2, 23, v3
	v_or3_b32 v1, v0, v2, v1
.LBB6_8702:                             ;   in Loop: Header=BB6_8433 Depth=4
	s_or_b64 exec, exec, s[36:37]
.LBB6_8703:                             ;   in Loop: Header=BB6_8433 Depth=4
	s_or_b64 exec, exec, s[34:35]
.LBB6_8704:                             ;   in Loop: Header=BB6_8433 Depth=4
	s_or_b64 exec, exec, s[28:29]
	v_mul_f32_e32 v1, s9, v1
	v_and_b32_e32 v50, 0x7f800000, v1
	v_cmp_ne_u64_e32 vcc, s[76:77], v[50:51]
                                        ; implicit-def: $vgpr55
	s_and_saveexec_b64 s[28:29], vcc
	s_xor_b64 s[34:35], exec, s[28:29]
	s_cbranch_execz .LBB6_8722
; %bb.8705:                             ;   in Loop: Header=BB6_8433 Depth=4
	v_and_b32_e32 v50, 0x7fffffff, v1
	v_cmp_gt_u64_e32 vcc, s[78:79], v[50:51]
	v_and_b32_sdwa v0, v1, s96 dst_sel:DWORD dst_unused:UNUSED_PAD src0_sel:BYTE_3 src1_sel:DWORD
                                        ; implicit-def: $vgpr55
	s_and_saveexec_b64 s[28:29], vcc
	s_xor_b64 s[36:37], exec, s[28:29]
	s_cbranch_execz .LBB6_8719
; %bb.8706:                             ;   in Loop: Header=BB6_8433 Depth=4
	v_cmp_ne_u32_e32 vcc, 0, v1
	v_mov_b32_e32 v55, 0
	s_and_saveexec_b64 s[38:39], vcc
	s_cbranch_execz .LBB6_8718
; %bb.8707:                             ;   in Loop: Header=BB6_8433 Depth=4
	v_and_b32_e32 v3, 0x7fffff, v1
	v_bfe_u32 v1, v1, 23, 8
	v_cmp_gt_u32_e64 s[28:29], s97, v1
	v_sub_u32_e32 v2, 0x79, v1
	v_cmp_eq_u32_e32 vcc, 0, v1
	v_cndmask_b32_e64 v2, 0, v2, s[28:29]
	v_mov_b32_e32 v5, 0x78
	v_or_b32_e32 v4, 0x800000, v3
	v_cndmask_b32_e32 v2, v2, v5, vcc
	v_cndmask_b32_e32 v50, v4, v3, vcc
	v_add_u32_e32 v3, 20, v2
	v_lshlrev_b64 v[3:4], v3, -1
	v_add_u32_e32 v5, 19, v2
	v_lshlrev_b64 v[5:6], v5, 1
	v_bfi_b32 v4, v4, 0, 0
	v_bfi_b32 v3, v3, 0, v50
	v_lshrrev_b64 v[14:15], v2, v[50:51]
	v_cmp_eq_u64_e64 s[28:29], v[3:4], v[5:6]
	v_mov_b32_e32 v4, v14
	v_mov_b32_e32 v5, v15
	s_and_saveexec_b64 s[48:49], s[28:29]
; %bb.8708:                             ;   in Loop: Header=BB6_8433 Depth=4
	v_bfe_u32 v3, v14, 20, 1
	v_add_co_u32_e64 v3, s[28:29], v14, v3
	v_add_co_u32_e64 v4, s[28:29], -1, v3
; %bb.8709:                             ;   in Loop: Header=BB6_8433 Depth=4
	s_or_b64 exec, exec, s[48:49]
	v_add_u32_e32 v1, 0xffffff81, v1
	v_mov_b32_e32 v3, 0xffffff82
	v_cndmask_b32_e32 v1, v1, v3, vcc
	v_lshrrev_b32_e32 v3, 23, v14
	v_add3_u32 v3, v2, v1, v3
	v_add_u32_e32 v2, 6, v3
	v_and_b32_e32 v1, 0xfffff, v4
	v_add_u32_e32 v50, v1, v14
	v_cmp_ne_u32_e32 vcc, 0, v2
                                        ; implicit-def: $vgpr14_vgpr15
                                        ; implicit-def: $vgpr1
	s_and_saveexec_b64 s[28:29], vcc
	s_xor_b64 s[28:29], exec, s[28:29]
; %bb.8710:                             ;   in Loop: Header=BB6_8433 Depth=4
	v_cmp_lt_u64_e32 vcc, s[88:89], v[50:51]
	v_add_u32_e32 v1, 7, v3
	v_cndmask_b32_e32 v1, v2, v1, vcc
	v_cndmask_b32_e64 v2, 0, 1, vcc
	v_lshrrev_b64 v[14:15], v2, v[50:51]
; %bb.8711:                             ;   in Loop: Header=BB6_8433 Depth=4
	s_andn2_saveexec_b64 s[28:29], s[28:29]
; %bb.8712:                             ;   in Loop: Header=BB6_8433 Depth=4
	v_mov_b32_e32 v14, v50
	v_bfe_u32 v1, v50, 23, 1
	v_mov_b32_e32 v15, v51
; %bb.8713:                             ;   in Loop: Header=BB6_8433 Depth=4
	s_or_b64 exec, exec, s[28:29]
	v_lshrrev_b64 v[2:3], 20, v[14:15]
	v_cmp_gt_i32_e32 vcc, 16, v1
	v_cndmask_b32_e32 v15, 0, v3, vcc
	v_cndmask_b32_e32 v14, 7, v2, vcc
	v_cmp_ne_u64_e32 vcc, 0, v[14:15]
	v_cmp_ne_u32_e64 s[28:29], 0, v1
	s_or_b64 s[28:29], s[28:29], vcc
                                        ; implicit-def: $vgpr55
	s_and_saveexec_b64 vcc, s[28:29]
	s_xor_b64 s[28:29], exec, vcc
; %bb.8714:                             ;   in Loop: Header=BB6_8433 Depth=4
	v_min_i32_e32 v1, 15, v1
	v_lshl_or_b32 v0, v1, 3, v0
	v_and_or_b32 v55, v14, 7, v0
                                        ; implicit-def: $vgpr0
; %bb.8715:                             ;   in Loop: Header=BB6_8433 Depth=4
	s_andn2_saveexec_b64 s[28:29], s[28:29]
; %bb.8716:                             ;   in Loop: Header=BB6_8433 Depth=4
	v_mov_b32_e32 v55, v0
; %bb.8717:                             ;   in Loop: Header=BB6_8433 Depth=4
	s_or_b64 exec, exec, s[28:29]
.LBB6_8718:                             ;   in Loop: Header=BB6_8433 Depth=4
	s_or_b64 exec, exec, s[38:39]
                                        ; implicit-def: $vgpr0
.LBB6_8719:                             ;   in Loop: Header=BB6_8433 Depth=4
	s_andn2_saveexec_b64 s[28:29], s[36:37]
; %bb.8720:                             ;   in Loop: Header=BB6_8433 Depth=4
	v_or_b32_e32 v55, 0x7e, v0
; %bb.8721:                             ;   in Loop: Header=BB6_8433 Depth=4
	s_or_b64 exec, exec, s[28:29]
                                        ; implicit-def: $vgpr1
.LBB6_8722:                             ;   in Loop: Header=BB6_8433 Depth=4
	s_andn2_saveexec_b64 s[28:29], s[34:35]
; %bb.8723:                             ;   in Loop: Header=BB6_8433 Depth=4
	v_or_b32_sdwa v55, v1, s86 dst_sel:DWORD dst_unused:UNUSED_PAD src0_sel:BYTE_3 src1_sel:DWORD
; %bb.8724:                             ;   in Loop: Header=BB6_8433 Depth=4
	s_or_b64 exec, exec, s[28:29]
	flat_load_ubyte v0, v[8:9] offset:704 glc slc
	v_mov_b32_e32 v1, 0
	s_waitcnt vmcnt(0) lgkmcnt(0)
	v_cmp_ne_u16_e32 vcc, 0, v0
	s_and_saveexec_b64 s[28:29], vcc
	s_cbranch_execz .LBB6_8730
; %bb.8725:                             ;   in Loop: Header=BB6_8433 Depth=4
	v_cmp_ne_u16_e32 vcc, s96, v0
	v_bfrev_b32_e32 v1, 1
	s_and_saveexec_b64 s[34:35], vcc
	s_cbranch_execz .LBB6_8729
; %bb.8726:                             ;   in Loop: Header=BB6_8433 Depth=4
	v_and_b32_e32 v14, 0xffff, v0
	v_and_b32_e32 v2, 0x7f, v14
	v_cmp_ne_u32_e32 vcc, s86, v2
	v_mov_b32_e32 v1, 0x7f800001
	s_and_saveexec_b64 s[36:37], vcc
	s_cbranch_execz .LBB6_8728
; %bb.8727:                             ;   in Loop: Header=BB6_8433 Depth=4
	v_and_b32_e32 v3, 7, v14
	v_ffbh_u32_e32 v1, v3
	v_min_u32_e32 v5, 32, v1
	v_subrev_u32_e32 v1, 28, v5
	v_lshrrev_b32_e32 v4, 3, v2
	v_cmp_gt_u32_e32 vcc, 8, v2
	v_lshlrev_b64 v[1:2], v1, v[14:15]
	v_sub_u32_e32 v2, 29, v5
	v_and_b32_e32 v1, 7, v1
	v_cndmask_b32_e32 v2, v4, v2, vcc
	v_cndmask_b32_e32 v1, v3, v1, vcc
	v_lshlrev_b32_e32 v0, 24, v0
	v_bfrev_b32_e32 v3, 60
	v_lshlrev_b32_e32 v1, 20, v1
	v_and_b32_e32 v0, 0x80000000, v0
	v_lshl_add_u32 v2, v2, 23, v3
	v_or3_b32 v1, v0, v2, v1
.LBB6_8728:                             ;   in Loop: Header=BB6_8433 Depth=4
	s_or_b64 exec, exec, s[36:37]
.LBB6_8729:                             ;   in Loop: Header=BB6_8433 Depth=4
	s_or_b64 exec, exec, s[34:35]
.LBB6_8730:                             ;   in Loop: Header=BB6_8433 Depth=4
	s_or_b64 exec, exec, s[28:29]
	v_mul_f32_e32 v1, s9, v1
	v_and_b32_e32 v50, 0x7f800000, v1
	v_cmp_ne_u64_e32 vcc, s[76:77], v[50:51]
                                        ; implicit-def: $vgpr54
	s_and_saveexec_b64 s[28:29], vcc
	s_xor_b64 s[34:35], exec, s[28:29]
	s_cbranch_execz .LBB6_8748
; %bb.8731:                             ;   in Loop: Header=BB6_8433 Depth=4
	v_and_b32_e32 v50, 0x7fffffff, v1
	v_cmp_gt_u64_e32 vcc, s[78:79], v[50:51]
	v_and_b32_sdwa v0, v1, s96 dst_sel:DWORD dst_unused:UNUSED_PAD src0_sel:BYTE_3 src1_sel:DWORD
                                        ; implicit-def: $vgpr54
	s_and_saveexec_b64 s[28:29], vcc
	s_xor_b64 s[36:37], exec, s[28:29]
	s_cbranch_execz .LBB6_8745
; %bb.8732:                             ;   in Loop: Header=BB6_8433 Depth=4
	v_cmp_ne_u32_e32 vcc, 0, v1
	v_mov_b32_e32 v54, 0
	s_and_saveexec_b64 s[38:39], vcc
	s_cbranch_execz .LBB6_8744
; %bb.8733:                             ;   in Loop: Header=BB6_8433 Depth=4
	v_and_b32_e32 v3, 0x7fffff, v1
	v_bfe_u32 v1, v1, 23, 8
	v_cmp_gt_u32_e64 s[28:29], s97, v1
	v_sub_u32_e32 v2, 0x79, v1
	v_cmp_eq_u32_e32 vcc, 0, v1
	v_cndmask_b32_e64 v2, 0, v2, s[28:29]
	v_mov_b32_e32 v5, 0x78
	v_or_b32_e32 v4, 0x800000, v3
	v_cndmask_b32_e32 v2, v2, v5, vcc
	v_cndmask_b32_e32 v50, v4, v3, vcc
	v_add_u32_e32 v3, 20, v2
	v_lshlrev_b64 v[3:4], v3, -1
	v_add_u32_e32 v5, 19, v2
	v_lshlrev_b64 v[5:6], v5, 1
	v_bfi_b32 v4, v4, 0, 0
	v_bfi_b32 v3, v3, 0, v50
	v_lshrrev_b64 v[14:15], v2, v[50:51]
	v_cmp_eq_u64_e64 s[28:29], v[3:4], v[5:6]
	v_mov_b32_e32 v4, v14
	v_mov_b32_e32 v5, v15
	s_and_saveexec_b64 s[48:49], s[28:29]
; %bb.8734:                             ;   in Loop: Header=BB6_8433 Depth=4
	v_bfe_u32 v3, v14, 20, 1
	v_add_co_u32_e64 v3, s[28:29], v14, v3
	v_add_co_u32_e64 v4, s[28:29], -1, v3
; %bb.8735:                             ;   in Loop: Header=BB6_8433 Depth=4
	s_or_b64 exec, exec, s[48:49]
	v_add_u32_e32 v1, 0xffffff81, v1
	v_mov_b32_e32 v3, 0xffffff82
	v_cndmask_b32_e32 v1, v1, v3, vcc
	v_lshrrev_b32_e32 v3, 23, v14
	v_add3_u32 v3, v2, v1, v3
	v_add_u32_e32 v2, 6, v3
	v_and_b32_e32 v1, 0xfffff, v4
	v_add_u32_e32 v50, v1, v14
	v_cmp_ne_u32_e32 vcc, 0, v2
                                        ; implicit-def: $vgpr14_vgpr15
                                        ; implicit-def: $vgpr1
	s_and_saveexec_b64 s[28:29], vcc
	s_xor_b64 s[28:29], exec, s[28:29]
; %bb.8736:                             ;   in Loop: Header=BB6_8433 Depth=4
	v_cmp_lt_u64_e32 vcc, s[88:89], v[50:51]
	v_add_u32_e32 v1, 7, v3
	v_cndmask_b32_e32 v1, v2, v1, vcc
	v_cndmask_b32_e64 v2, 0, 1, vcc
	v_lshrrev_b64 v[14:15], v2, v[50:51]
; %bb.8737:                             ;   in Loop: Header=BB6_8433 Depth=4
	s_andn2_saveexec_b64 s[28:29], s[28:29]
; %bb.8738:                             ;   in Loop: Header=BB6_8433 Depth=4
	v_mov_b32_e32 v14, v50
	v_bfe_u32 v1, v50, 23, 1
	v_mov_b32_e32 v15, v51
; %bb.8739:                             ;   in Loop: Header=BB6_8433 Depth=4
	s_or_b64 exec, exec, s[28:29]
	v_lshrrev_b64 v[2:3], 20, v[14:15]
	v_cmp_gt_i32_e32 vcc, 16, v1
	v_cndmask_b32_e32 v15, 0, v3, vcc
	v_cndmask_b32_e32 v14, 7, v2, vcc
	v_cmp_ne_u64_e32 vcc, 0, v[14:15]
	v_cmp_ne_u32_e64 s[28:29], 0, v1
	s_or_b64 s[28:29], s[28:29], vcc
                                        ; implicit-def: $vgpr54
	s_and_saveexec_b64 vcc, s[28:29]
	s_xor_b64 s[28:29], exec, vcc
; %bb.8740:                             ;   in Loop: Header=BB6_8433 Depth=4
	v_min_i32_e32 v1, 15, v1
	v_lshl_or_b32 v0, v1, 3, v0
	v_and_or_b32 v54, v14, 7, v0
                                        ; implicit-def: $vgpr0
; %bb.8741:                             ;   in Loop: Header=BB6_8433 Depth=4
	s_andn2_saveexec_b64 s[28:29], s[28:29]
; %bb.8742:                             ;   in Loop: Header=BB6_8433 Depth=4
	v_mov_b32_e32 v54, v0
; %bb.8743:                             ;   in Loop: Header=BB6_8433 Depth=4
	s_or_b64 exec, exec, s[28:29]
.LBB6_8744:                             ;   in Loop: Header=BB6_8433 Depth=4
	s_or_b64 exec, exec, s[38:39]
                                        ; implicit-def: $vgpr0
.LBB6_8745:                             ;   in Loop: Header=BB6_8433 Depth=4
	s_andn2_saveexec_b64 s[28:29], s[36:37]
; %bb.8746:                             ;   in Loop: Header=BB6_8433 Depth=4
	v_or_b32_e32 v54, 0x7e, v0
; %bb.8747:                             ;   in Loop: Header=BB6_8433 Depth=4
	s_or_b64 exec, exec, s[28:29]
                                        ; implicit-def: $vgpr1
.LBB6_8748:                             ;   in Loop: Header=BB6_8433 Depth=4
	s_andn2_saveexec_b64 s[28:29], s[34:35]
; %bb.8749:                             ;   in Loop: Header=BB6_8433 Depth=4
	v_or_b32_sdwa v54, v1, s86 dst_sel:DWORD dst_unused:UNUSED_PAD src0_sel:BYTE_3 src1_sel:DWORD
; %bb.8750:                             ;   in Loop: Header=BB6_8433 Depth=4
	s_or_b64 exec, exec, s[28:29]
	flat_load_ubyte v0, v[8:9] offset:768 glc slc
	v_mov_b32_e32 v1, 0
	s_waitcnt vmcnt(0) lgkmcnt(0)
	v_cmp_ne_u16_e32 vcc, 0, v0
	s_and_saveexec_b64 s[28:29], vcc
	s_cbranch_execz .LBB6_8756
; %bb.8751:                             ;   in Loop: Header=BB6_8433 Depth=4
	v_cmp_ne_u16_e32 vcc, s96, v0
	v_bfrev_b32_e32 v1, 1
	s_and_saveexec_b64 s[34:35], vcc
	s_cbranch_execz .LBB6_8755
; %bb.8752:                             ;   in Loop: Header=BB6_8433 Depth=4
	v_and_b32_e32 v14, 0xffff, v0
	v_and_b32_e32 v2, 0x7f, v14
	v_cmp_ne_u32_e32 vcc, s86, v2
	v_mov_b32_e32 v1, 0x7f800001
	s_and_saveexec_b64 s[36:37], vcc
	s_cbranch_execz .LBB6_8754
; %bb.8753:                             ;   in Loop: Header=BB6_8433 Depth=4
	v_and_b32_e32 v3, 7, v14
	v_ffbh_u32_e32 v1, v3
	v_min_u32_e32 v5, 32, v1
	v_subrev_u32_e32 v1, 28, v5
	v_lshrrev_b32_e32 v4, 3, v2
	v_cmp_gt_u32_e32 vcc, 8, v2
	v_lshlrev_b64 v[1:2], v1, v[14:15]
	v_sub_u32_e32 v2, 29, v5
	v_and_b32_e32 v1, 7, v1
	v_cndmask_b32_e32 v2, v4, v2, vcc
	v_cndmask_b32_e32 v1, v3, v1, vcc
	v_lshlrev_b32_e32 v0, 24, v0
	v_bfrev_b32_e32 v3, 60
	v_lshlrev_b32_e32 v1, 20, v1
	v_and_b32_e32 v0, 0x80000000, v0
	v_lshl_add_u32 v2, v2, 23, v3
	v_or3_b32 v1, v0, v2, v1
.LBB6_8754:                             ;   in Loop: Header=BB6_8433 Depth=4
	s_or_b64 exec, exec, s[36:37]
.LBB6_8755:                             ;   in Loop: Header=BB6_8433 Depth=4
	s_or_b64 exec, exec, s[34:35]
.LBB6_8756:                             ;   in Loop: Header=BB6_8433 Depth=4
	s_or_b64 exec, exec, s[28:29]
	v_mul_f32_e32 v1, s9, v1
	v_and_b32_e32 v50, 0x7f800000, v1
	v_cmp_ne_u64_e32 vcc, s[76:77], v[50:51]
                                        ; implicit-def: $vgpr53
	s_and_saveexec_b64 s[28:29], vcc
	s_xor_b64 s[34:35], exec, s[28:29]
	s_cbranch_execz .LBB6_8774
; %bb.8757:                             ;   in Loop: Header=BB6_8433 Depth=4
	v_and_b32_e32 v50, 0x7fffffff, v1
	v_cmp_gt_u64_e32 vcc, s[78:79], v[50:51]
	v_and_b32_sdwa v0, v1, s96 dst_sel:DWORD dst_unused:UNUSED_PAD src0_sel:BYTE_3 src1_sel:DWORD
                                        ; implicit-def: $vgpr53
	s_and_saveexec_b64 s[28:29], vcc
	s_xor_b64 s[36:37], exec, s[28:29]
	s_cbranch_execz .LBB6_8771
; %bb.8758:                             ;   in Loop: Header=BB6_8433 Depth=4
	v_cmp_ne_u32_e32 vcc, 0, v1
	v_mov_b32_e32 v53, 0
	s_and_saveexec_b64 s[38:39], vcc
	s_cbranch_execz .LBB6_8770
; %bb.8759:                             ;   in Loop: Header=BB6_8433 Depth=4
	v_and_b32_e32 v3, 0x7fffff, v1
	v_bfe_u32 v1, v1, 23, 8
	v_cmp_gt_u32_e64 s[28:29], s97, v1
	v_sub_u32_e32 v2, 0x79, v1
	v_cmp_eq_u32_e32 vcc, 0, v1
	v_cndmask_b32_e64 v2, 0, v2, s[28:29]
	v_mov_b32_e32 v5, 0x78
	v_or_b32_e32 v4, 0x800000, v3
	v_cndmask_b32_e32 v2, v2, v5, vcc
	v_cndmask_b32_e32 v50, v4, v3, vcc
	v_add_u32_e32 v3, 20, v2
	v_lshlrev_b64 v[3:4], v3, -1
	v_add_u32_e32 v5, 19, v2
	v_lshlrev_b64 v[5:6], v5, 1
	v_bfi_b32 v4, v4, 0, 0
	v_bfi_b32 v3, v3, 0, v50
	v_lshrrev_b64 v[14:15], v2, v[50:51]
	v_cmp_eq_u64_e64 s[28:29], v[3:4], v[5:6]
	v_mov_b32_e32 v4, v14
	v_mov_b32_e32 v5, v15
	s_and_saveexec_b64 s[48:49], s[28:29]
; %bb.8760:                             ;   in Loop: Header=BB6_8433 Depth=4
	v_bfe_u32 v3, v14, 20, 1
	v_add_co_u32_e64 v3, s[28:29], v14, v3
	v_add_co_u32_e64 v4, s[28:29], -1, v3
; %bb.8761:                             ;   in Loop: Header=BB6_8433 Depth=4
	s_or_b64 exec, exec, s[48:49]
	v_add_u32_e32 v1, 0xffffff81, v1
	v_mov_b32_e32 v3, 0xffffff82
	v_cndmask_b32_e32 v1, v1, v3, vcc
	v_lshrrev_b32_e32 v3, 23, v14
	v_add3_u32 v3, v2, v1, v3
	v_add_u32_e32 v2, 6, v3
	v_and_b32_e32 v1, 0xfffff, v4
	v_add_u32_e32 v50, v1, v14
	v_cmp_ne_u32_e32 vcc, 0, v2
                                        ; implicit-def: $vgpr14_vgpr15
                                        ; implicit-def: $vgpr1
	s_and_saveexec_b64 s[28:29], vcc
	s_xor_b64 s[28:29], exec, s[28:29]
; %bb.8762:                             ;   in Loop: Header=BB6_8433 Depth=4
	v_cmp_lt_u64_e32 vcc, s[88:89], v[50:51]
	v_add_u32_e32 v1, 7, v3
	v_cndmask_b32_e32 v1, v2, v1, vcc
	v_cndmask_b32_e64 v2, 0, 1, vcc
	v_lshrrev_b64 v[14:15], v2, v[50:51]
; %bb.8763:                             ;   in Loop: Header=BB6_8433 Depth=4
	s_andn2_saveexec_b64 s[28:29], s[28:29]
; %bb.8764:                             ;   in Loop: Header=BB6_8433 Depth=4
	v_mov_b32_e32 v14, v50
	v_bfe_u32 v1, v50, 23, 1
	v_mov_b32_e32 v15, v51
; %bb.8765:                             ;   in Loop: Header=BB6_8433 Depth=4
	s_or_b64 exec, exec, s[28:29]
	v_lshrrev_b64 v[2:3], 20, v[14:15]
	v_cmp_gt_i32_e32 vcc, 16, v1
	v_cndmask_b32_e32 v15, 0, v3, vcc
	v_cndmask_b32_e32 v14, 7, v2, vcc
	v_cmp_ne_u64_e32 vcc, 0, v[14:15]
	v_cmp_ne_u32_e64 s[28:29], 0, v1
	s_or_b64 s[28:29], s[28:29], vcc
                                        ; implicit-def: $vgpr53
	s_and_saveexec_b64 vcc, s[28:29]
	s_xor_b64 s[28:29], exec, vcc
; %bb.8766:                             ;   in Loop: Header=BB6_8433 Depth=4
	v_min_i32_e32 v1, 15, v1
	v_lshl_or_b32 v0, v1, 3, v0
	v_and_or_b32 v53, v14, 7, v0
                                        ; implicit-def: $vgpr0
; %bb.8767:                             ;   in Loop: Header=BB6_8433 Depth=4
	s_andn2_saveexec_b64 s[28:29], s[28:29]
; %bb.8768:                             ;   in Loop: Header=BB6_8433 Depth=4
	v_mov_b32_e32 v53, v0
; %bb.8769:                             ;   in Loop: Header=BB6_8433 Depth=4
	s_or_b64 exec, exec, s[28:29]
.LBB6_8770:                             ;   in Loop: Header=BB6_8433 Depth=4
	s_or_b64 exec, exec, s[38:39]
                                        ; implicit-def: $vgpr0
.LBB6_8771:                             ;   in Loop: Header=BB6_8433 Depth=4
	s_andn2_saveexec_b64 s[28:29], s[36:37]
; %bb.8772:                             ;   in Loop: Header=BB6_8433 Depth=4
	v_or_b32_e32 v53, 0x7e, v0
; %bb.8773:                             ;   in Loop: Header=BB6_8433 Depth=4
	s_or_b64 exec, exec, s[28:29]
                                        ; implicit-def: $vgpr1
.LBB6_8774:                             ;   in Loop: Header=BB6_8433 Depth=4
	s_andn2_saveexec_b64 s[28:29], s[34:35]
; %bb.8775:                             ;   in Loop: Header=BB6_8433 Depth=4
	v_or_b32_sdwa v53, v1, s86 dst_sel:DWORD dst_unused:UNUSED_PAD src0_sel:BYTE_3 src1_sel:DWORD
; %bb.8776:                             ;   in Loop: Header=BB6_8433 Depth=4
	s_or_b64 exec, exec, s[28:29]
	flat_load_ubyte v0, v[8:9] offset:832 glc slc
	v_mov_b32_e32 v1, 0
	s_waitcnt vmcnt(0) lgkmcnt(0)
	v_cmp_ne_u16_e32 vcc, 0, v0
	s_and_saveexec_b64 s[28:29], vcc
	s_cbranch_execz .LBB6_8782
; %bb.8777:                             ;   in Loop: Header=BB6_8433 Depth=4
	v_cmp_ne_u16_e32 vcc, s96, v0
	v_bfrev_b32_e32 v1, 1
	s_and_saveexec_b64 s[34:35], vcc
	s_cbranch_execz .LBB6_8781
; %bb.8778:                             ;   in Loop: Header=BB6_8433 Depth=4
	v_and_b32_e32 v14, 0xffff, v0
	v_and_b32_e32 v2, 0x7f, v14
	v_cmp_ne_u32_e32 vcc, s86, v2
	v_mov_b32_e32 v1, 0x7f800001
	s_and_saveexec_b64 s[36:37], vcc
	s_cbranch_execz .LBB6_8780
; %bb.8779:                             ;   in Loop: Header=BB6_8433 Depth=4
	v_and_b32_e32 v3, 7, v14
	v_ffbh_u32_e32 v1, v3
	v_min_u32_e32 v5, 32, v1
	v_subrev_u32_e32 v1, 28, v5
	v_lshrrev_b32_e32 v4, 3, v2
	v_cmp_gt_u32_e32 vcc, 8, v2
	v_lshlrev_b64 v[1:2], v1, v[14:15]
	v_sub_u32_e32 v2, 29, v5
	v_and_b32_e32 v1, 7, v1
	v_cndmask_b32_e32 v2, v4, v2, vcc
	v_cndmask_b32_e32 v1, v3, v1, vcc
	v_lshlrev_b32_e32 v0, 24, v0
	v_bfrev_b32_e32 v3, 60
	v_lshlrev_b32_e32 v1, 20, v1
	v_and_b32_e32 v0, 0x80000000, v0
	v_lshl_add_u32 v2, v2, 23, v3
	v_or3_b32 v1, v0, v2, v1
.LBB6_8780:                             ;   in Loop: Header=BB6_8433 Depth=4
	s_or_b64 exec, exec, s[36:37]
.LBB6_8781:                             ;   in Loop: Header=BB6_8433 Depth=4
	s_or_b64 exec, exec, s[34:35]
.LBB6_8782:                             ;   in Loop: Header=BB6_8433 Depth=4
	s_or_b64 exec, exec, s[28:29]
	v_mul_f32_e32 v1, s9, v1
	v_and_b32_e32 v50, 0x7f800000, v1
	v_cmp_ne_u64_e32 vcc, s[76:77], v[50:51]
                                        ; implicit-def: $vgpr48
	s_and_saveexec_b64 s[28:29], vcc
	s_xor_b64 s[34:35], exec, s[28:29]
	s_cbranch_execz .LBB6_8800
; %bb.8783:                             ;   in Loop: Header=BB6_8433 Depth=4
	v_and_b32_e32 v50, 0x7fffffff, v1
	v_cmp_gt_u64_e32 vcc, s[78:79], v[50:51]
	v_and_b32_sdwa v0, v1, s96 dst_sel:DWORD dst_unused:UNUSED_PAD src0_sel:BYTE_3 src1_sel:DWORD
                                        ; implicit-def: $vgpr48
	s_and_saveexec_b64 s[28:29], vcc
	s_xor_b64 s[36:37], exec, s[28:29]
	s_cbranch_execz .LBB6_8797
; %bb.8784:                             ;   in Loop: Header=BB6_8433 Depth=4
	v_cmp_ne_u32_e32 vcc, 0, v1
	v_mov_b32_e32 v48, 0
	s_and_saveexec_b64 s[38:39], vcc
	s_cbranch_execz .LBB6_8796
; %bb.8785:                             ;   in Loop: Header=BB6_8433 Depth=4
	v_and_b32_e32 v3, 0x7fffff, v1
	v_bfe_u32 v1, v1, 23, 8
	v_cmp_gt_u32_e64 s[28:29], s97, v1
	v_sub_u32_e32 v2, 0x79, v1
	v_cmp_eq_u32_e32 vcc, 0, v1
	v_cndmask_b32_e64 v2, 0, v2, s[28:29]
	v_mov_b32_e32 v5, 0x78
	v_or_b32_e32 v4, 0x800000, v3
	v_cndmask_b32_e32 v2, v2, v5, vcc
	v_cndmask_b32_e32 v50, v4, v3, vcc
	v_add_u32_e32 v3, 20, v2
	v_lshlrev_b64 v[3:4], v3, -1
	v_add_u32_e32 v5, 19, v2
	v_lshlrev_b64 v[5:6], v5, 1
	v_bfi_b32 v4, v4, 0, 0
	v_bfi_b32 v3, v3, 0, v50
	v_lshrrev_b64 v[14:15], v2, v[50:51]
	v_cmp_eq_u64_e64 s[28:29], v[3:4], v[5:6]
	v_mov_b32_e32 v4, v14
	v_mov_b32_e32 v5, v15
	s_and_saveexec_b64 s[48:49], s[28:29]
; %bb.8786:                             ;   in Loop: Header=BB6_8433 Depth=4
	v_bfe_u32 v3, v14, 20, 1
	v_add_co_u32_e64 v3, s[28:29], v14, v3
	v_add_co_u32_e64 v4, s[28:29], -1, v3
; %bb.8787:                             ;   in Loop: Header=BB6_8433 Depth=4
	s_or_b64 exec, exec, s[48:49]
	v_add_u32_e32 v1, 0xffffff81, v1
	v_mov_b32_e32 v3, 0xffffff82
	v_cndmask_b32_e32 v1, v1, v3, vcc
	v_lshrrev_b32_e32 v3, 23, v14
	v_add3_u32 v3, v2, v1, v3
	v_add_u32_e32 v2, 6, v3
	v_and_b32_e32 v1, 0xfffff, v4
	v_add_u32_e32 v50, v1, v14
	v_cmp_ne_u32_e32 vcc, 0, v2
                                        ; implicit-def: $vgpr14_vgpr15
                                        ; implicit-def: $vgpr1
	s_and_saveexec_b64 s[28:29], vcc
	s_xor_b64 s[28:29], exec, s[28:29]
; %bb.8788:                             ;   in Loop: Header=BB6_8433 Depth=4
	v_cmp_lt_u64_e32 vcc, s[88:89], v[50:51]
	v_add_u32_e32 v1, 7, v3
	v_cndmask_b32_e32 v1, v2, v1, vcc
	v_cndmask_b32_e64 v2, 0, 1, vcc
	v_lshrrev_b64 v[14:15], v2, v[50:51]
; %bb.8789:                             ;   in Loop: Header=BB6_8433 Depth=4
	s_andn2_saveexec_b64 s[28:29], s[28:29]
; %bb.8790:                             ;   in Loop: Header=BB6_8433 Depth=4
	v_mov_b32_e32 v14, v50
	v_bfe_u32 v1, v50, 23, 1
	v_mov_b32_e32 v15, v51
; %bb.8791:                             ;   in Loop: Header=BB6_8433 Depth=4
	s_or_b64 exec, exec, s[28:29]
	v_lshrrev_b64 v[2:3], 20, v[14:15]
	v_cmp_gt_i32_e32 vcc, 16, v1
	v_cndmask_b32_e32 v15, 0, v3, vcc
	v_cndmask_b32_e32 v14, 7, v2, vcc
	v_cmp_ne_u64_e32 vcc, 0, v[14:15]
	v_cmp_ne_u32_e64 s[28:29], 0, v1
	s_or_b64 s[28:29], s[28:29], vcc
                                        ; implicit-def: $vgpr48
	s_and_saveexec_b64 vcc, s[28:29]
	s_xor_b64 s[28:29], exec, vcc
; %bb.8792:                             ;   in Loop: Header=BB6_8433 Depth=4
	v_min_i32_e32 v1, 15, v1
	v_lshl_or_b32 v0, v1, 3, v0
	v_and_or_b32 v48, v14, 7, v0
                                        ; implicit-def: $vgpr0
; %bb.8793:                             ;   in Loop: Header=BB6_8433 Depth=4
	s_andn2_saveexec_b64 s[28:29], s[28:29]
; %bb.8794:                             ;   in Loop: Header=BB6_8433 Depth=4
	v_mov_b32_e32 v48, v0
; %bb.8795:                             ;   in Loop: Header=BB6_8433 Depth=4
	s_or_b64 exec, exec, s[28:29]
.LBB6_8796:                             ;   in Loop: Header=BB6_8433 Depth=4
	s_or_b64 exec, exec, s[38:39]
                                        ; implicit-def: $vgpr0
.LBB6_8797:                             ;   in Loop: Header=BB6_8433 Depth=4
	s_andn2_saveexec_b64 s[28:29], s[36:37]
; %bb.8798:                             ;   in Loop: Header=BB6_8433 Depth=4
	v_or_b32_e32 v48, 0x7e, v0
; %bb.8799:                             ;   in Loop: Header=BB6_8433 Depth=4
	s_or_b64 exec, exec, s[28:29]
                                        ; implicit-def: $vgpr1
.LBB6_8800:                             ;   in Loop: Header=BB6_8433 Depth=4
	s_andn2_saveexec_b64 s[28:29], s[34:35]
; %bb.8801:                             ;   in Loop: Header=BB6_8433 Depth=4
	v_or_b32_sdwa v48, v1, s86 dst_sel:DWORD dst_unused:UNUSED_PAD src0_sel:BYTE_3 src1_sel:DWORD
; %bb.8802:                             ;   in Loop: Header=BB6_8433 Depth=4
	s_or_b64 exec, exec, s[28:29]
	flat_load_ubyte v0, v[8:9] offset:896 glc slc
	v_mov_b32_e32 v1, 0
	s_waitcnt vmcnt(0) lgkmcnt(0)
	v_cmp_ne_u16_e32 vcc, 0, v0
	s_and_saveexec_b64 s[28:29], vcc
	s_cbranch_execz .LBB6_8808
; %bb.8803:                             ;   in Loop: Header=BB6_8433 Depth=4
	v_cmp_ne_u16_e32 vcc, s96, v0
	v_bfrev_b32_e32 v1, 1
	s_and_saveexec_b64 s[34:35], vcc
	s_cbranch_execz .LBB6_8807
; %bb.8804:                             ;   in Loop: Header=BB6_8433 Depth=4
	v_and_b32_e32 v14, 0xffff, v0
	v_and_b32_e32 v2, 0x7f, v14
	v_cmp_ne_u32_e32 vcc, s86, v2
	v_mov_b32_e32 v1, 0x7f800001
	s_and_saveexec_b64 s[36:37], vcc
	s_cbranch_execz .LBB6_8806
; %bb.8805:                             ;   in Loop: Header=BB6_8433 Depth=4
	v_and_b32_e32 v3, 7, v14
	v_ffbh_u32_e32 v1, v3
	v_min_u32_e32 v5, 32, v1
	v_subrev_u32_e32 v1, 28, v5
	v_lshrrev_b32_e32 v4, 3, v2
	v_cmp_gt_u32_e32 vcc, 8, v2
	v_lshlrev_b64 v[1:2], v1, v[14:15]
	v_sub_u32_e32 v2, 29, v5
	v_and_b32_e32 v1, 7, v1
	v_cndmask_b32_e32 v2, v4, v2, vcc
	v_cndmask_b32_e32 v1, v3, v1, vcc
	v_lshlrev_b32_e32 v0, 24, v0
	v_bfrev_b32_e32 v3, 60
	v_lshlrev_b32_e32 v1, 20, v1
	v_and_b32_e32 v0, 0x80000000, v0
	v_lshl_add_u32 v2, v2, 23, v3
	v_or3_b32 v1, v0, v2, v1
.LBB6_8806:                             ;   in Loop: Header=BB6_8433 Depth=4
	s_or_b64 exec, exec, s[36:37]
.LBB6_8807:                             ;   in Loop: Header=BB6_8433 Depth=4
	s_or_b64 exec, exec, s[34:35]
.LBB6_8808:                             ;   in Loop: Header=BB6_8433 Depth=4
	s_or_b64 exec, exec, s[28:29]
	v_mul_f32_e32 v1, s9, v1
	v_and_b32_e32 v50, 0x7f800000, v1
	v_cmp_ne_u64_e32 vcc, s[76:77], v[50:51]
                                        ; implicit-def: $vgpr39
	s_and_saveexec_b64 s[28:29], vcc
	s_xor_b64 s[34:35], exec, s[28:29]
	s_cbranch_execz .LBB6_8826
; %bb.8809:                             ;   in Loop: Header=BB6_8433 Depth=4
	v_and_b32_e32 v50, 0x7fffffff, v1
	v_cmp_gt_u64_e32 vcc, s[78:79], v[50:51]
	v_and_b32_sdwa v0, v1, s96 dst_sel:DWORD dst_unused:UNUSED_PAD src0_sel:BYTE_3 src1_sel:DWORD
                                        ; implicit-def: $vgpr39
	s_and_saveexec_b64 s[28:29], vcc
	s_xor_b64 s[36:37], exec, s[28:29]
	s_cbranch_execz .LBB6_8823
; %bb.8810:                             ;   in Loop: Header=BB6_8433 Depth=4
	v_cmp_ne_u32_e32 vcc, 0, v1
	v_mov_b32_e32 v39, 0
	s_and_saveexec_b64 s[38:39], vcc
	s_cbranch_execz .LBB6_8822
; %bb.8811:                             ;   in Loop: Header=BB6_8433 Depth=4
	v_and_b32_e32 v3, 0x7fffff, v1
	v_bfe_u32 v1, v1, 23, 8
	v_cmp_gt_u32_e64 s[28:29], s97, v1
	v_sub_u32_e32 v2, 0x79, v1
	v_cmp_eq_u32_e32 vcc, 0, v1
	v_cndmask_b32_e64 v2, 0, v2, s[28:29]
	v_mov_b32_e32 v5, 0x78
	v_or_b32_e32 v4, 0x800000, v3
	v_cndmask_b32_e32 v2, v2, v5, vcc
	v_cndmask_b32_e32 v50, v4, v3, vcc
	v_add_u32_e32 v3, 20, v2
	v_lshlrev_b64 v[3:4], v3, -1
	v_add_u32_e32 v5, 19, v2
	v_lshlrev_b64 v[5:6], v5, 1
	v_bfi_b32 v4, v4, 0, 0
	v_bfi_b32 v3, v3, 0, v50
	v_lshrrev_b64 v[14:15], v2, v[50:51]
	v_cmp_eq_u64_e64 s[28:29], v[3:4], v[5:6]
	v_mov_b32_e32 v4, v14
	v_mov_b32_e32 v5, v15
	s_and_saveexec_b64 s[48:49], s[28:29]
; %bb.8812:                             ;   in Loop: Header=BB6_8433 Depth=4
	v_bfe_u32 v3, v14, 20, 1
	v_add_co_u32_e64 v3, s[28:29], v14, v3
	v_add_co_u32_e64 v4, s[28:29], -1, v3
; %bb.8813:                             ;   in Loop: Header=BB6_8433 Depth=4
	s_or_b64 exec, exec, s[48:49]
	v_add_u32_e32 v1, 0xffffff81, v1
	v_mov_b32_e32 v3, 0xffffff82
	v_cndmask_b32_e32 v1, v1, v3, vcc
	v_lshrrev_b32_e32 v3, 23, v14
	v_add3_u32 v3, v2, v1, v3
	v_add_u32_e32 v2, 6, v3
	v_and_b32_e32 v1, 0xfffff, v4
	v_add_u32_e32 v50, v1, v14
	v_cmp_ne_u32_e32 vcc, 0, v2
                                        ; implicit-def: $vgpr14_vgpr15
                                        ; implicit-def: $vgpr1
	s_and_saveexec_b64 s[28:29], vcc
	s_xor_b64 s[28:29], exec, s[28:29]
; %bb.8814:                             ;   in Loop: Header=BB6_8433 Depth=4
	v_cmp_lt_u64_e32 vcc, s[88:89], v[50:51]
	v_add_u32_e32 v1, 7, v3
	v_cndmask_b32_e32 v1, v2, v1, vcc
	v_cndmask_b32_e64 v2, 0, 1, vcc
	v_lshrrev_b64 v[14:15], v2, v[50:51]
; %bb.8815:                             ;   in Loop: Header=BB6_8433 Depth=4
	s_andn2_saveexec_b64 s[28:29], s[28:29]
; %bb.8816:                             ;   in Loop: Header=BB6_8433 Depth=4
	v_mov_b32_e32 v14, v50
	v_bfe_u32 v1, v50, 23, 1
	v_mov_b32_e32 v15, v51
; %bb.8817:                             ;   in Loop: Header=BB6_8433 Depth=4
	s_or_b64 exec, exec, s[28:29]
	v_lshrrev_b64 v[2:3], 20, v[14:15]
	v_cmp_gt_i32_e32 vcc, 16, v1
	v_cndmask_b32_e32 v15, 0, v3, vcc
	v_cndmask_b32_e32 v14, 7, v2, vcc
	v_cmp_ne_u64_e32 vcc, 0, v[14:15]
	v_cmp_ne_u32_e64 s[28:29], 0, v1
	s_or_b64 s[28:29], s[28:29], vcc
                                        ; implicit-def: $vgpr39
	s_and_saveexec_b64 vcc, s[28:29]
	s_xor_b64 s[28:29], exec, vcc
; %bb.8818:                             ;   in Loop: Header=BB6_8433 Depth=4
	v_min_i32_e32 v1, 15, v1
	v_lshl_or_b32 v0, v1, 3, v0
	v_and_or_b32 v39, v14, 7, v0
                                        ; implicit-def: $vgpr0
; %bb.8819:                             ;   in Loop: Header=BB6_8433 Depth=4
	s_andn2_saveexec_b64 s[28:29], s[28:29]
; %bb.8820:                             ;   in Loop: Header=BB6_8433 Depth=4
	v_mov_b32_e32 v39, v0
; %bb.8821:                             ;   in Loop: Header=BB6_8433 Depth=4
	s_or_b64 exec, exec, s[28:29]
.LBB6_8822:                             ;   in Loop: Header=BB6_8433 Depth=4
	s_or_b64 exec, exec, s[38:39]
                                        ; implicit-def: $vgpr0
.LBB6_8823:                             ;   in Loop: Header=BB6_8433 Depth=4
	s_andn2_saveexec_b64 s[28:29], s[36:37]
; %bb.8824:                             ;   in Loop: Header=BB6_8433 Depth=4
	v_or_b32_e32 v39, 0x7e, v0
; %bb.8825:                             ;   in Loop: Header=BB6_8433 Depth=4
	s_or_b64 exec, exec, s[28:29]
                                        ; implicit-def: $vgpr1
.LBB6_8826:                             ;   in Loop: Header=BB6_8433 Depth=4
	s_andn2_saveexec_b64 s[28:29], s[34:35]
; %bb.8827:                             ;   in Loop: Header=BB6_8433 Depth=4
	v_or_b32_sdwa v39, v1, s86 dst_sel:DWORD dst_unused:UNUSED_PAD src0_sel:BYTE_3 src1_sel:DWORD
; %bb.8828:                             ;   in Loop: Header=BB6_8433 Depth=4
	s_or_b64 exec, exec, s[28:29]
	flat_load_ubyte v0, v[8:9] offset:960 glc slc
	v_mov_b32_e32 v1, 0
	s_waitcnt vmcnt(0) lgkmcnt(0)
	v_cmp_ne_u16_e32 vcc, 0, v0
	s_and_saveexec_b64 s[28:29], vcc
	s_cbranch_execz .LBB6_8834
; %bb.8829:                             ;   in Loop: Header=BB6_8433 Depth=4
	v_cmp_ne_u16_e32 vcc, s96, v0
	v_bfrev_b32_e32 v1, 1
	s_and_saveexec_b64 s[34:35], vcc
	s_cbranch_execz .LBB6_8833
; %bb.8830:                             ;   in Loop: Header=BB6_8433 Depth=4
	v_and_b32_e32 v14, 0xffff, v0
	v_and_b32_e32 v2, 0x7f, v14
	v_cmp_ne_u32_e32 vcc, s86, v2
	v_mov_b32_e32 v1, 0x7f800001
	s_and_saveexec_b64 s[36:37], vcc
	s_cbranch_execz .LBB6_8832
; %bb.8831:                             ;   in Loop: Header=BB6_8433 Depth=4
	v_and_b32_e32 v3, 7, v14
	v_ffbh_u32_e32 v1, v3
	v_min_u32_e32 v5, 32, v1
	v_subrev_u32_e32 v1, 28, v5
	v_lshrrev_b32_e32 v4, 3, v2
	v_cmp_gt_u32_e32 vcc, 8, v2
	v_lshlrev_b64 v[1:2], v1, v[14:15]
	v_sub_u32_e32 v2, 29, v5
	v_and_b32_e32 v1, 7, v1
	v_cndmask_b32_e32 v2, v4, v2, vcc
	v_cndmask_b32_e32 v1, v3, v1, vcc
	v_lshlrev_b32_e32 v0, 24, v0
	v_bfrev_b32_e32 v3, 60
	v_lshlrev_b32_e32 v1, 20, v1
	v_and_b32_e32 v0, 0x80000000, v0
	v_lshl_add_u32 v2, v2, 23, v3
	v_or3_b32 v1, v0, v2, v1
.LBB6_8832:                             ;   in Loop: Header=BB6_8433 Depth=4
	s_or_b64 exec, exec, s[36:37]
.LBB6_8833:                             ;   in Loop: Header=BB6_8433 Depth=4
	s_or_b64 exec, exec, s[34:35]
.LBB6_8834:                             ;   in Loop: Header=BB6_8433 Depth=4
	s_or_b64 exec, exec, s[28:29]
	v_mul_f32_e32 v1, s9, v1
	v_and_b32_e32 v50, 0x7f800000, v1
	v_cmp_ne_u64_e32 vcc, s[76:77], v[50:51]
                                        ; implicit-def: $vgpr38
	s_and_saveexec_b64 s[28:29], vcc
	s_xor_b64 s[34:35], exec, s[28:29]
	s_cbranch_execz .LBB6_8852
; %bb.8835:                             ;   in Loop: Header=BB6_8433 Depth=4
	v_and_b32_e32 v50, 0x7fffffff, v1
	v_cmp_gt_u64_e32 vcc, s[78:79], v[50:51]
	v_and_b32_sdwa v0, v1, s96 dst_sel:DWORD dst_unused:UNUSED_PAD src0_sel:BYTE_3 src1_sel:DWORD
                                        ; implicit-def: $vgpr38
	s_and_saveexec_b64 s[28:29], vcc
	s_xor_b64 s[36:37], exec, s[28:29]
	s_cbranch_execz .LBB6_8849
; %bb.8836:                             ;   in Loop: Header=BB6_8433 Depth=4
	v_cmp_ne_u32_e32 vcc, 0, v1
	v_mov_b32_e32 v38, 0
	s_and_saveexec_b64 s[38:39], vcc
	s_cbranch_execz .LBB6_8848
; %bb.8837:                             ;   in Loop: Header=BB6_8433 Depth=4
	v_and_b32_e32 v3, 0x7fffff, v1
	v_bfe_u32 v1, v1, 23, 8
	v_cmp_gt_u32_e64 s[28:29], s97, v1
	v_sub_u32_e32 v2, 0x79, v1
	v_cmp_eq_u32_e32 vcc, 0, v1
	v_cndmask_b32_e64 v2, 0, v2, s[28:29]
	v_mov_b32_e32 v5, 0x78
	v_or_b32_e32 v4, 0x800000, v3
	v_cndmask_b32_e32 v2, v2, v5, vcc
	v_cndmask_b32_e32 v50, v4, v3, vcc
	v_add_u32_e32 v3, 20, v2
	v_lshlrev_b64 v[3:4], v3, -1
	v_add_u32_e32 v5, 19, v2
	v_lshlrev_b64 v[5:6], v5, 1
	v_bfi_b32 v4, v4, 0, 0
	v_bfi_b32 v3, v3, 0, v50
	v_lshrrev_b64 v[14:15], v2, v[50:51]
	v_cmp_eq_u64_e64 s[28:29], v[3:4], v[5:6]
	v_mov_b32_e32 v4, v14
	v_mov_b32_e32 v5, v15
	s_and_saveexec_b64 s[48:49], s[28:29]
; %bb.8838:                             ;   in Loop: Header=BB6_8433 Depth=4
	v_bfe_u32 v3, v14, 20, 1
	v_add_co_u32_e64 v3, s[28:29], v14, v3
	v_add_co_u32_e64 v4, s[28:29], -1, v3
; %bb.8839:                             ;   in Loop: Header=BB6_8433 Depth=4
	s_or_b64 exec, exec, s[48:49]
	v_add_u32_e32 v1, 0xffffff81, v1
	v_mov_b32_e32 v3, 0xffffff82
	v_cndmask_b32_e32 v1, v1, v3, vcc
	v_lshrrev_b32_e32 v3, 23, v14
	v_add3_u32 v3, v2, v1, v3
	v_add_u32_e32 v2, 6, v3
	v_and_b32_e32 v1, 0xfffff, v4
	v_add_u32_e32 v50, v1, v14
	v_cmp_ne_u32_e32 vcc, 0, v2
                                        ; implicit-def: $vgpr14_vgpr15
                                        ; implicit-def: $vgpr1
	s_and_saveexec_b64 s[28:29], vcc
	s_xor_b64 s[28:29], exec, s[28:29]
; %bb.8840:                             ;   in Loop: Header=BB6_8433 Depth=4
	v_cmp_lt_u64_e32 vcc, s[88:89], v[50:51]
	v_add_u32_e32 v1, 7, v3
	v_cndmask_b32_e32 v1, v2, v1, vcc
	v_cndmask_b32_e64 v2, 0, 1, vcc
	v_lshrrev_b64 v[14:15], v2, v[50:51]
; %bb.8841:                             ;   in Loop: Header=BB6_8433 Depth=4
	s_andn2_saveexec_b64 s[28:29], s[28:29]
; %bb.8842:                             ;   in Loop: Header=BB6_8433 Depth=4
	v_mov_b32_e32 v14, v50
	v_bfe_u32 v1, v50, 23, 1
	v_mov_b32_e32 v15, v51
; %bb.8843:                             ;   in Loop: Header=BB6_8433 Depth=4
	s_or_b64 exec, exec, s[28:29]
	v_lshrrev_b64 v[2:3], 20, v[14:15]
	v_cmp_gt_i32_e32 vcc, 16, v1
	v_cndmask_b32_e32 v15, 0, v3, vcc
	v_cndmask_b32_e32 v14, 7, v2, vcc
	v_cmp_ne_u64_e32 vcc, 0, v[14:15]
	v_cmp_ne_u32_e64 s[28:29], 0, v1
	s_or_b64 s[28:29], s[28:29], vcc
                                        ; implicit-def: $vgpr38
	s_and_saveexec_b64 vcc, s[28:29]
	s_xor_b64 s[28:29], exec, vcc
; %bb.8844:                             ;   in Loop: Header=BB6_8433 Depth=4
	v_min_i32_e32 v1, 15, v1
	v_lshl_or_b32 v0, v1, 3, v0
	v_and_or_b32 v38, v14, 7, v0
                                        ; implicit-def: $vgpr0
; %bb.8845:                             ;   in Loop: Header=BB6_8433 Depth=4
	s_andn2_saveexec_b64 s[28:29], s[28:29]
; %bb.8846:                             ;   in Loop: Header=BB6_8433 Depth=4
	v_mov_b32_e32 v38, v0
; %bb.8847:                             ;   in Loop: Header=BB6_8433 Depth=4
	s_or_b64 exec, exec, s[28:29]
.LBB6_8848:                             ;   in Loop: Header=BB6_8433 Depth=4
	s_or_b64 exec, exec, s[38:39]
                                        ; implicit-def: $vgpr0
.LBB6_8849:                             ;   in Loop: Header=BB6_8433 Depth=4
	s_andn2_saveexec_b64 s[28:29], s[36:37]
; %bb.8850:                             ;   in Loop: Header=BB6_8433 Depth=4
	v_or_b32_e32 v38, 0x7e, v0
; %bb.8851:                             ;   in Loop: Header=BB6_8433 Depth=4
	s_or_b64 exec, exec, s[28:29]
                                        ; implicit-def: $vgpr1
.LBB6_8852:                             ;   in Loop: Header=BB6_8433 Depth=4
	s_andn2_saveexec_b64 s[28:29], s[34:35]
; %bb.8853:                             ;   in Loop: Header=BB6_8433 Depth=4
	v_or_b32_sdwa v38, v1, s86 dst_sel:DWORD dst_unused:UNUSED_PAD src0_sel:BYTE_3 src1_sel:DWORD
; %bb.8854:                             ;   in Loop: Header=BB6_8433 Depth=4
	s_or_b64 exec, exec, s[28:29]
	flat_load_ubyte v0, v[8:9] offset:1024 glc slc
	v_mov_b32_e32 v1, 0
	s_waitcnt vmcnt(0) lgkmcnt(0)
	v_cmp_ne_u16_e32 vcc, 0, v0
	s_and_saveexec_b64 s[28:29], vcc
	s_cbranch_execz .LBB6_8860
; %bb.8855:                             ;   in Loop: Header=BB6_8433 Depth=4
	v_cmp_ne_u16_e32 vcc, s96, v0
	v_bfrev_b32_e32 v1, 1
	s_and_saveexec_b64 s[34:35], vcc
	s_cbranch_execz .LBB6_8859
; %bb.8856:                             ;   in Loop: Header=BB6_8433 Depth=4
	v_and_b32_e32 v14, 0xffff, v0
	v_and_b32_e32 v2, 0x7f, v14
	v_cmp_ne_u32_e32 vcc, s86, v2
	v_mov_b32_e32 v1, 0x7f800001
	s_and_saveexec_b64 s[36:37], vcc
	s_cbranch_execz .LBB6_8858
; %bb.8857:                             ;   in Loop: Header=BB6_8433 Depth=4
	v_and_b32_e32 v3, 7, v14
	v_ffbh_u32_e32 v1, v3
	v_min_u32_e32 v5, 32, v1
	v_subrev_u32_e32 v1, 28, v5
	v_lshrrev_b32_e32 v4, 3, v2
	v_cmp_gt_u32_e32 vcc, 8, v2
	v_lshlrev_b64 v[1:2], v1, v[14:15]
	v_sub_u32_e32 v2, 29, v5
	v_and_b32_e32 v1, 7, v1
	v_cndmask_b32_e32 v2, v4, v2, vcc
	v_cndmask_b32_e32 v1, v3, v1, vcc
	v_lshlrev_b32_e32 v0, 24, v0
	v_bfrev_b32_e32 v3, 60
	v_lshlrev_b32_e32 v1, 20, v1
	v_and_b32_e32 v0, 0x80000000, v0
	v_lshl_add_u32 v2, v2, 23, v3
	v_or3_b32 v1, v0, v2, v1
.LBB6_8858:                             ;   in Loop: Header=BB6_8433 Depth=4
	s_or_b64 exec, exec, s[36:37]
.LBB6_8859:                             ;   in Loop: Header=BB6_8433 Depth=4
	s_or_b64 exec, exec, s[34:35]
.LBB6_8860:                             ;   in Loop: Header=BB6_8433 Depth=4
	s_or_b64 exec, exec, s[28:29]
	v_mul_f32_e32 v1, s9, v1
	v_and_b32_e32 v50, 0x7f800000, v1
	v_cmp_ne_u64_e32 vcc, s[76:77], v[50:51]
                                        ; implicit-def: $vgpr37
	s_and_saveexec_b64 s[28:29], vcc
	s_xor_b64 s[34:35], exec, s[28:29]
	s_cbranch_execz .LBB6_8878
; %bb.8861:                             ;   in Loop: Header=BB6_8433 Depth=4
	v_and_b32_e32 v50, 0x7fffffff, v1
	v_cmp_gt_u64_e32 vcc, s[78:79], v[50:51]
	v_and_b32_sdwa v0, v1, s96 dst_sel:DWORD dst_unused:UNUSED_PAD src0_sel:BYTE_3 src1_sel:DWORD
                                        ; implicit-def: $vgpr37
	s_and_saveexec_b64 s[28:29], vcc
	s_xor_b64 s[36:37], exec, s[28:29]
	s_cbranch_execz .LBB6_8875
; %bb.8862:                             ;   in Loop: Header=BB6_8433 Depth=4
	v_cmp_ne_u32_e32 vcc, 0, v1
	v_mov_b32_e32 v37, 0
	s_and_saveexec_b64 s[38:39], vcc
	s_cbranch_execz .LBB6_8874
; %bb.8863:                             ;   in Loop: Header=BB6_8433 Depth=4
	v_and_b32_e32 v3, 0x7fffff, v1
	v_bfe_u32 v1, v1, 23, 8
	v_cmp_gt_u32_e64 s[28:29], s97, v1
	v_sub_u32_e32 v2, 0x79, v1
	v_cmp_eq_u32_e32 vcc, 0, v1
	v_cndmask_b32_e64 v2, 0, v2, s[28:29]
	v_mov_b32_e32 v5, 0x78
	v_or_b32_e32 v4, 0x800000, v3
	v_cndmask_b32_e32 v2, v2, v5, vcc
	v_cndmask_b32_e32 v50, v4, v3, vcc
	v_add_u32_e32 v3, 20, v2
	v_lshlrev_b64 v[3:4], v3, -1
	v_add_u32_e32 v5, 19, v2
	v_lshlrev_b64 v[5:6], v5, 1
	v_bfi_b32 v4, v4, 0, 0
	v_bfi_b32 v3, v3, 0, v50
	v_lshrrev_b64 v[14:15], v2, v[50:51]
	v_cmp_eq_u64_e64 s[28:29], v[3:4], v[5:6]
	v_mov_b32_e32 v4, v14
	v_mov_b32_e32 v5, v15
	s_and_saveexec_b64 s[48:49], s[28:29]
; %bb.8864:                             ;   in Loop: Header=BB6_8433 Depth=4
	v_bfe_u32 v3, v14, 20, 1
	v_add_co_u32_e64 v3, s[28:29], v14, v3
	v_add_co_u32_e64 v4, s[28:29], -1, v3
; %bb.8865:                             ;   in Loop: Header=BB6_8433 Depth=4
	s_or_b64 exec, exec, s[48:49]
	v_add_u32_e32 v1, 0xffffff81, v1
	v_mov_b32_e32 v3, 0xffffff82
	v_cndmask_b32_e32 v1, v1, v3, vcc
	v_lshrrev_b32_e32 v3, 23, v14
	v_add3_u32 v3, v2, v1, v3
	v_add_u32_e32 v2, 6, v3
	v_and_b32_e32 v1, 0xfffff, v4
	v_add_u32_e32 v50, v1, v14
	v_cmp_ne_u32_e32 vcc, 0, v2
                                        ; implicit-def: $vgpr14_vgpr15
                                        ; implicit-def: $vgpr1
	s_and_saveexec_b64 s[28:29], vcc
	s_xor_b64 s[28:29], exec, s[28:29]
; %bb.8866:                             ;   in Loop: Header=BB6_8433 Depth=4
	v_cmp_lt_u64_e32 vcc, s[88:89], v[50:51]
	v_add_u32_e32 v1, 7, v3
	v_cndmask_b32_e32 v1, v2, v1, vcc
	v_cndmask_b32_e64 v2, 0, 1, vcc
	v_lshrrev_b64 v[14:15], v2, v[50:51]
; %bb.8867:                             ;   in Loop: Header=BB6_8433 Depth=4
	s_andn2_saveexec_b64 s[28:29], s[28:29]
; %bb.8868:                             ;   in Loop: Header=BB6_8433 Depth=4
	v_mov_b32_e32 v14, v50
	v_bfe_u32 v1, v50, 23, 1
	v_mov_b32_e32 v15, v51
; %bb.8869:                             ;   in Loop: Header=BB6_8433 Depth=4
	s_or_b64 exec, exec, s[28:29]
	v_lshrrev_b64 v[2:3], 20, v[14:15]
	v_cmp_gt_i32_e32 vcc, 16, v1
	v_cndmask_b32_e32 v15, 0, v3, vcc
	v_cndmask_b32_e32 v14, 7, v2, vcc
	v_cmp_ne_u64_e32 vcc, 0, v[14:15]
	v_cmp_ne_u32_e64 s[28:29], 0, v1
	s_or_b64 s[28:29], s[28:29], vcc
                                        ; implicit-def: $vgpr37
	s_and_saveexec_b64 vcc, s[28:29]
	s_xor_b64 s[28:29], exec, vcc
; %bb.8870:                             ;   in Loop: Header=BB6_8433 Depth=4
	v_min_i32_e32 v1, 15, v1
	v_lshl_or_b32 v0, v1, 3, v0
	v_and_or_b32 v37, v14, 7, v0
                                        ; implicit-def: $vgpr0
; %bb.8871:                             ;   in Loop: Header=BB6_8433 Depth=4
	s_andn2_saveexec_b64 s[28:29], s[28:29]
; %bb.8872:                             ;   in Loop: Header=BB6_8433 Depth=4
	v_mov_b32_e32 v37, v0
; %bb.8873:                             ;   in Loop: Header=BB6_8433 Depth=4
	s_or_b64 exec, exec, s[28:29]
.LBB6_8874:                             ;   in Loop: Header=BB6_8433 Depth=4
	s_or_b64 exec, exec, s[38:39]
                                        ; implicit-def: $vgpr0
.LBB6_8875:                             ;   in Loop: Header=BB6_8433 Depth=4
	s_andn2_saveexec_b64 s[28:29], s[36:37]
; %bb.8876:                             ;   in Loop: Header=BB6_8433 Depth=4
	v_or_b32_e32 v37, 0x7e, v0
; %bb.8877:                             ;   in Loop: Header=BB6_8433 Depth=4
	s_or_b64 exec, exec, s[28:29]
                                        ; implicit-def: $vgpr1
.LBB6_8878:                             ;   in Loop: Header=BB6_8433 Depth=4
	s_andn2_saveexec_b64 s[28:29], s[34:35]
; %bb.8879:                             ;   in Loop: Header=BB6_8433 Depth=4
	v_or_b32_sdwa v37, v1, s86 dst_sel:DWORD dst_unused:UNUSED_PAD src0_sel:BYTE_3 src1_sel:DWORD
; %bb.8880:                             ;   in Loop: Header=BB6_8433 Depth=4
	s_or_b64 exec, exec, s[28:29]
	flat_load_ubyte v0, v[8:9] offset:1088 glc slc
	v_mov_b32_e32 v1, 0
	s_waitcnt vmcnt(0) lgkmcnt(0)
	v_cmp_ne_u16_e32 vcc, 0, v0
	s_and_saveexec_b64 s[28:29], vcc
	s_cbranch_execz .LBB6_8886
; %bb.8881:                             ;   in Loop: Header=BB6_8433 Depth=4
	v_cmp_ne_u16_e32 vcc, s96, v0
	v_bfrev_b32_e32 v1, 1
	s_and_saveexec_b64 s[34:35], vcc
	s_cbranch_execz .LBB6_8885
; %bb.8882:                             ;   in Loop: Header=BB6_8433 Depth=4
	v_and_b32_e32 v14, 0xffff, v0
	v_and_b32_e32 v2, 0x7f, v14
	v_cmp_ne_u32_e32 vcc, s86, v2
	v_mov_b32_e32 v1, 0x7f800001
	s_and_saveexec_b64 s[36:37], vcc
	s_cbranch_execz .LBB6_8884
; %bb.8883:                             ;   in Loop: Header=BB6_8433 Depth=4
	v_and_b32_e32 v3, 7, v14
	v_ffbh_u32_e32 v1, v3
	v_min_u32_e32 v5, 32, v1
	v_subrev_u32_e32 v1, 28, v5
	v_lshrrev_b32_e32 v4, 3, v2
	v_cmp_gt_u32_e32 vcc, 8, v2
	v_lshlrev_b64 v[1:2], v1, v[14:15]
	v_sub_u32_e32 v2, 29, v5
	v_and_b32_e32 v1, 7, v1
	v_cndmask_b32_e32 v2, v4, v2, vcc
	v_cndmask_b32_e32 v1, v3, v1, vcc
	v_lshlrev_b32_e32 v0, 24, v0
	v_bfrev_b32_e32 v3, 60
	v_lshlrev_b32_e32 v1, 20, v1
	v_and_b32_e32 v0, 0x80000000, v0
	v_lshl_add_u32 v2, v2, 23, v3
	v_or3_b32 v1, v0, v2, v1
.LBB6_8884:                             ;   in Loop: Header=BB6_8433 Depth=4
	s_or_b64 exec, exec, s[36:37]
.LBB6_8885:                             ;   in Loop: Header=BB6_8433 Depth=4
	s_or_b64 exec, exec, s[34:35]
.LBB6_8886:                             ;   in Loop: Header=BB6_8433 Depth=4
	s_or_b64 exec, exec, s[28:29]
	v_mul_f32_e32 v1, s9, v1
	v_and_b32_e32 v50, 0x7f800000, v1
	v_cmp_ne_u64_e32 vcc, s[76:77], v[50:51]
                                        ; implicit-def: $vgpr36
	s_and_saveexec_b64 s[28:29], vcc
	s_xor_b64 s[34:35], exec, s[28:29]
	s_cbranch_execz .LBB6_8904
; %bb.8887:                             ;   in Loop: Header=BB6_8433 Depth=4
	v_and_b32_e32 v50, 0x7fffffff, v1
	v_cmp_gt_u64_e32 vcc, s[78:79], v[50:51]
	v_and_b32_sdwa v0, v1, s96 dst_sel:DWORD dst_unused:UNUSED_PAD src0_sel:BYTE_3 src1_sel:DWORD
                                        ; implicit-def: $vgpr36
	s_and_saveexec_b64 s[28:29], vcc
	s_xor_b64 s[36:37], exec, s[28:29]
	s_cbranch_execz .LBB6_8901
; %bb.8888:                             ;   in Loop: Header=BB6_8433 Depth=4
	v_cmp_ne_u32_e32 vcc, 0, v1
	v_mov_b32_e32 v36, 0
	s_and_saveexec_b64 s[38:39], vcc
	s_cbranch_execz .LBB6_8900
; %bb.8889:                             ;   in Loop: Header=BB6_8433 Depth=4
	v_and_b32_e32 v3, 0x7fffff, v1
	v_bfe_u32 v1, v1, 23, 8
	v_cmp_gt_u32_e64 s[28:29], s97, v1
	v_sub_u32_e32 v2, 0x79, v1
	v_cmp_eq_u32_e32 vcc, 0, v1
	v_cndmask_b32_e64 v2, 0, v2, s[28:29]
	v_mov_b32_e32 v5, 0x78
	v_or_b32_e32 v4, 0x800000, v3
	v_cndmask_b32_e32 v2, v2, v5, vcc
	v_cndmask_b32_e32 v50, v4, v3, vcc
	v_add_u32_e32 v3, 20, v2
	v_lshlrev_b64 v[3:4], v3, -1
	v_add_u32_e32 v5, 19, v2
	v_lshlrev_b64 v[5:6], v5, 1
	v_bfi_b32 v4, v4, 0, 0
	v_bfi_b32 v3, v3, 0, v50
	v_lshrrev_b64 v[14:15], v2, v[50:51]
	v_cmp_eq_u64_e64 s[28:29], v[3:4], v[5:6]
	v_mov_b32_e32 v4, v14
	v_mov_b32_e32 v5, v15
	s_and_saveexec_b64 s[48:49], s[28:29]
; %bb.8890:                             ;   in Loop: Header=BB6_8433 Depth=4
	v_bfe_u32 v3, v14, 20, 1
	v_add_co_u32_e64 v3, s[28:29], v14, v3
	v_add_co_u32_e64 v4, s[28:29], -1, v3
; %bb.8891:                             ;   in Loop: Header=BB6_8433 Depth=4
	s_or_b64 exec, exec, s[48:49]
	v_add_u32_e32 v1, 0xffffff81, v1
	v_mov_b32_e32 v3, 0xffffff82
	v_cndmask_b32_e32 v1, v1, v3, vcc
	v_lshrrev_b32_e32 v3, 23, v14
	v_add3_u32 v3, v2, v1, v3
	v_add_u32_e32 v2, 6, v3
	v_and_b32_e32 v1, 0xfffff, v4
	v_add_u32_e32 v50, v1, v14
	v_cmp_ne_u32_e32 vcc, 0, v2
                                        ; implicit-def: $vgpr14_vgpr15
                                        ; implicit-def: $vgpr1
	s_and_saveexec_b64 s[28:29], vcc
	s_xor_b64 s[28:29], exec, s[28:29]
; %bb.8892:                             ;   in Loop: Header=BB6_8433 Depth=4
	v_cmp_lt_u64_e32 vcc, s[88:89], v[50:51]
	v_add_u32_e32 v1, 7, v3
	v_cndmask_b32_e32 v1, v2, v1, vcc
	v_cndmask_b32_e64 v2, 0, 1, vcc
	v_lshrrev_b64 v[14:15], v2, v[50:51]
; %bb.8893:                             ;   in Loop: Header=BB6_8433 Depth=4
	s_andn2_saveexec_b64 s[28:29], s[28:29]
; %bb.8894:                             ;   in Loop: Header=BB6_8433 Depth=4
	v_mov_b32_e32 v14, v50
	v_bfe_u32 v1, v50, 23, 1
	v_mov_b32_e32 v15, v51
; %bb.8895:                             ;   in Loop: Header=BB6_8433 Depth=4
	s_or_b64 exec, exec, s[28:29]
	v_lshrrev_b64 v[2:3], 20, v[14:15]
	v_cmp_gt_i32_e32 vcc, 16, v1
	v_cndmask_b32_e32 v15, 0, v3, vcc
	v_cndmask_b32_e32 v14, 7, v2, vcc
	v_cmp_ne_u64_e32 vcc, 0, v[14:15]
	v_cmp_ne_u32_e64 s[28:29], 0, v1
	s_or_b64 s[28:29], s[28:29], vcc
                                        ; implicit-def: $vgpr36
	s_and_saveexec_b64 vcc, s[28:29]
	s_xor_b64 s[28:29], exec, vcc
; %bb.8896:                             ;   in Loop: Header=BB6_8433 Depth=4
	v_min_i32_e32 v1, 15, v1
	v_lshl_or_b32 v0, v1, 3, v0
	v_and_or_b32 v36, v14, 7, v0
                                        ; implicit-def: $vgpr0
; %bb.8897:                             ;   in Loop: Header=BB6_8433 Depth=4
	s_andn2_saveexec_b64 s[28:29], s[28:29]
; %bb.8898:                             ;   in Loop: Header=BB6_8433 Depth=4
	v_mov_b32_e32 v36, v0
; %bb.8899:                             ;   in Loop: Header=BB6_8433 Depth=4
	s_or_b64 exec, exec, s[28:29]
.LBB6_8900:                             ;   in Loop: Header=BB6_8433 Depth=4
	s_or_b64 exec, exec, s[38:39]
                                        ; implicit-def: $vgpr0
.LBB6_8901:                             ;   in Loop: Header=BB6_8433 Depth=4
	s_andn2_saveexec_b64 s[28:29], s[36:37]
; %bb.8902:                             ;   in Loop: Header=BB6_8433 Depth=4
	v_or_b32_e32 v36, 0x7e, v0
; %bb.8903:                             ;   in Loop: Header=BB6_8433 Depth=4
	s_or_b64 exec, exec, s[28:29]
                                        ; implicit-def: $vgpr1
.LBB6_8904:                             ;   in Loop: Header=BB6_8433 Depth=4
	s_andn2_saveexec_b64 s[28:29], s[34:35]
; %bb.8905:                             ;   in Loop: Header=BB6_8433 Depth=4
	v_or_b32_sdwa v36, v1, s86 dst_sel:DWORD dst_unused:UNUSED_PAD src0_sel:BYTE_3 src1_sel:DWORD
; %bb.8906:                             ;   in Loop: Header=BB6_8433 Depth=4
	s_or_b64 exec, exec, s[28:29]
	flat_load_ubyte v0, v[8:9] offset:1152 glc slc
	v_mov_b32_e32 v1, 0
	s_waitcnt vmcnt(0) lgkmcnt(0)
	v_cmp_ne_u16_e32 vcc, 0, v0
	s_and_saveexec_b64 s[28:29], vcc
	s_cbranch_execz .LBB6_8912
; %bb.8907:                             ;   in Loop: Header=BB6_8433 Depth=4
	v_cmp_ne_u16_e32 vcc, s96, v0
	v_bfrev_b32_e32 v1, 1
	s_and_saveexec_b64 s[34:35], vcc
	s_cbranch_execz .LBB6_8911
; %bb.8908:                             ;   in Loop: Header=BB6_8433 Depth=4
	v_and_b32_e32 v14, 0xffff, v0
	v_and_b32_e32 v2, 0x7f, v14
	v_cmp_ne_u32_e32 vcc, s86, v2
	v_mov_b32_e32 v1, 0x7f800001
	s_and_saveexec_b64 s[36:37], vcc
	s_cbranch_execz .LBB6_8910
; %bb.8909:                             ;   in Loop: Header=BB6_8433 Depth=4
	v_and_b32_e32 v3, 7, v14
	v_ffbh_u32_e32 v1, v3
	v_min_u32_e32 v5, 32, v1
	v_subrev_u32_e32 v1, 28, v5
	v_lshrrev_b32_e32 v4, 3, v2
	v_cmp_gt_u32_e32 vcc, 8, v2
	v_lshlrev_b64 v[1:2], v1, v[14:15]
	v_sub_u32_e32 v2, 29, v5
	v_and_b32_e32 v1, 7, v1
	v_cndmask_b32_e32 v2, v4, v2, vcc
	v_cndmask_b32_e32 v1, v3, v1, vcc
	v_lshlrev_b32_e32 v0, 24, v0
	v_bfrev_b32_e32 v3, 60
	v_lshlrev_b32_e32 v1, 20, v1
	v_and_b32_e32 v0, 0x80000000, v0
	v_lshl_add_u32 v2, v2, 23, v3
	v_or3_b32 v1, v0, v2, v1
.LBB6_8910:                             ;   in Loop: Header=BB6_8433 Depth=4
	s_or_b64 exec, exec, s[36:37]
.LBB6_8911:                             ;   in Loop: Header=BB6_8433 Depth=4
	s_or_b64 exec, exec, s[34:35]
.LBB6_8912:                             ;   in Loop: Header=BB6_8433 Depth=4
	s_or_b64 exec, exec, s[28:29]
	v_mul_f32_e32 v1, s9, v1
	v_and_b32_e32 v50, 0x7f800000, v1
	v_cmp_ne_u64_e32 vcc, s[76:77], v[50:51]
                                        ; implicit-def: $vgpr35
	s_and_saveexec_b64 s[28:29], vcc
	s_xor_b64 s[34:35], exec, s[28:29]
	s_cbranch_execz .LBB6_8930
; %bb.8913:                             ;   in Loop: Header=BB6_8433 Depth=4
	v_and_b32_e32 v50, 0x7fffffff, v1
	v_cmp_gt_u64_e32 vcc, s[78:79], v[50:51]
	v_and_b32_sdwa v0, v1, s96 dst_sel:DWORD dst_unused:UNUSED_PAD src0_sel:BYTE_3 src1_sel:DWORD
                                        ; implicit-def: $vgpr35
	s_and_saveexec_b64 s[28:29], vcc
	s_xor_b64 s[36:37], exec, s[28:29]
	s_cbranch_execz .LBB6_8927
; %bb.8914:                             ;   in Loop: Header=BB6_8433 Depth=4
	v_cmp_ne_u32_e32 vcc, 0, v1
	v_mov_b32_e32 v35, 0
	s_and_saveexec_b64 s[38:39], vcc
	s_cbranch_execz .LBB6_8926
; %bb.8915:                             ;   in Loop: Header=BB6_8433 Depth=4
	v_and_b32_e32 v3, 0x7fffff, v1
	v_bfe_u32 v1, v1, 23, 8
	v_cmp_gt_u32_e64 s[28:29], s97, v1
	v_sub_u32_e32 v2, 0x79, v1
	v_cmp_eq_u32_e32 vcc, 0, v1
	v_cndmask_b32_e64 v2, 0, v2, s[28:29]
	v_mov_b32_e32 v5, 0x78
	v_or_b32_e32 v4, 0x800000, v3
	v_cndmask_b32_e32 v2, v2, v5, vcc
	v_cndmask_b32_e32 v50, v4, v3, vcc
	v_add_u32_e32 v3, 20, v2
	v_lshlrev_b64 v[3:4], v3, -1
	v_add_u32_e32 v5, 19, v2
	v_lshlrev_b64 v[5:6], v5, 1
	v_bfi_b32 v4, v4, 0, 0
	v_bfi_b32 v3, v3, 0, v50
	v_lshrrev_b64 v[14:15], v2, v[50:51]
	v_cmp_eq_u64_e64 s[28:29], v[3:4], v[5:6]
	v_mov_b32_e32 v4, v14
	v_mov_b32_e32 v5, v15
	s_and_saveexec_b64 s[48:49], s[28:29]
; %bb.8916:                             ;   in Loop: Header=BB6_8433 Depth=4
	v_bfe_u32 v3, v14, 20, 1
	v_add_co_u32_e64 v3, s[28:29], v14, v3
	v_add_co_u32_e64 v4, s[28:29], -1, v3
; %bb.8917:                             ;   in Loop: Header=BB6_8433 Depth=4
	s_or_b64 exec, exec, s[48:49]
	v_add_u32_e32 v1, 0xffffff81, v1
	v_mov_b32_e32 v3, 0xffffff82
	v_cndmask_b32_e32 v1, v1, v3, vcc
	v_lshrrev_b32_e32 v3, 23, v14
	v_add3_u32 v3, v2, v1, v3
	v_add_u32_e32 v2, 6, v3
	v_and_b32_e32 v1, 0xfffff, v4
	v_add_u32_e32 v50, v1, v14
	v_cmp_ne_u32_e32 vcc, 0, v2
                                        ; implicit-def: $vgpr14_vgpr15
                                        ; implicit-def: $vgpr1
	s_and_saveexec_b64 s[28:29], vcc
	s_xor_b64 s[28:29], exec, s[28:29]
; %bb.8918:                             ;   in Loop: Header=BB6_8433 Depth=4
	v_cmp_lt_u64_e32 vcc, s[88:89], v[50:51]
	v_add_u32_e32 v1, 7, v3
	v_cndmask_b32_e32 v1, v2, v1, vcc
	v_cndmask_b32_e64 v2, 0, 1, vcc
	v_lshrrev_b64 v[14:15], v2, v[50:51]
; %bb.8919:                             ;   in Loop: Header=BB6_8433 Depth=4
	s_andn2_saveexec_b64 s[28:29], s[28:29]
; %bb.8920:                             ;   in Loop: Header=BB6_8433 Depth=4
	v_mov_b32_e32 v14, v50
	v_bfe_u32 v1, v50, 23, 1
	v_mov_b32_e32 v15, v51
; %bb.8921:                             ;   in Loop: Header=BB6_8433 Depth=4
	s_or_b64 exec, exec, s[28:29]
	v_lshrrev_b64 v[2:3], 20, v[14:15]
	v_cmp_gt_i32_e32 vcc, 16, v1
	v_cndmask_b32_e32 v15, 0, v3, vcc
	v_cndmask_b32_e32 v14, 7, v2, vcc
	v_cmp_ne_u64_e32 vcc, 0, v[14:15]
	v_cmp_ne_u32_e64 s[28:29], 0, v1
	s_or_b64 s[28:29], s[28:29], vcc
                                        ; implicit-def: $vgpr35
	s_and_saveexec_b64 vcc, s[28:29]
	s_xor_b64 s[28:29], exec, vcc
; %bb.8922:                             ;   in Loop: Header=BB6_8433 Depth=4
	v_min_i32_e32 v1, 15, v1
	v_lshl_or_b32 v0, v1, 3, v0
	v_and_or_b32 v35, v14, 7, v0
                                        ; implicit-def: $vgpr0
; %bb.8923:                             ;   in Loop: Header=BB6_8433 Depth=4
	s_andn2_saveexec_b64 s[28:29], s[28:29]
; %bb.8924:                             ;   in Loop: Header=BB6_8433 Depth=4
	v_mov_b32_e32 v35, v0
; %bb.8925:                             ;   in Loop: Header=BB6_8433 Depth=4
	s_or_b64 exec, exec, s[28:29]
.LBB6_8926:                             ;   in Loop: Header=BB6_8433 Depth=4
	s_or_b64 exec, exec, s[38:39]
                                        ; implicit-def: $vgpr0
.LBB6_8927:                             ;   in Loop: Header=BB6_8433 Depth=4
	s_andn2_saveexec_b64 s[28:29], s[36:37]
; %bb.8928:                             ;   in Loop: Header=BB6_8433 Depth=4
	v_or_b32_e32 v35, 0x7e, v0
; %bb.8929:                             ;   in Loop: Header=BB6_8433 Depth=4
	s_or_b64 exec, exec, s[28:29]
                                        ; implicit-def: $vgpr1
.LBB6_8930:                             ;   in Loop: Header=BB6_8433 Depth=4
	s_andn2_saveexec_b64 s[28:29], s[34:35]
; %bb.8931:                             ;   in Loop: Header=BB6_8433 Depth=4
	v_or_b32_sdwa v35, v1, s86 dst_sel:DWORD dst_unused:UNUSED_PAD src0_sel:BYTE_3 src1_sel:DWORD
; %bb.8932:                             ;   in Loop: Header=BB6_8433 Depth=4
	s_or_b64 exec, exec, s[28:29]
	flat_load_ubyte v0, v[8:9] offset:1216 glc slc
	v_mov_b32_e32 v1, 0
	s_waitcnt vmcnt(0) lgkmcnt(0)
	v_cmp_ne_u16_e32 vcc, 0, v0
	s_and_saveexec_b64 s[28:29], vcc
	s_cbranch_execz .LBB6_8938
; %bb.8933:                             ;   in Loop: Header=BB6_8433 Depth=4
	v_cmp_ne_u16_e32 vcc, s96, v0
	v_bfrev_b32_e32 v1, 1
	s_and_saveexec_b64 s[34:35], vcc
	s_cbranch_execz .LBB6_8937
; %bb.8934:                             ;   in Loop: Header=BB6_8433 Depth=4
	v_and_b32_e32 v14, 0xffff, v0
	v_and_b32_e32 v2, 0x7f, v14
	v_cmp_ne_u32_e32 vcc, s86, v2
	v_mov_b32_e32 v1, 0x7f800001
	s_and_saveexec_b64 s[36:37], vcc
	s_cbranch_execz .LBB6_8936
; %bb.8935:                             ;   in Loop: Header=BB6_8433 Depth=4
	v_and_b32_e32 v3, 7, v14
	v_ffbh_u32_e32 v1, v3
	v_min_u32_e32 v5, 32, v1
	v_subrev_u32_e32 v1, 28, v5
	v_lshrrev_b32_e32 v4, 3, v2
	v_cmp_gt_u32_e32 vcc, 8, v2
	v_lshlrev_b64 v[1:2], v1, v[14:15]
	v_sub_u32_e32 v2, 29, v5
	v_and_b32_e32 v1, 7, v1
	v_cndmask_b32_e32 v2, v4, v2, vcc
	v_cndmask_b32_e32 v1, v3, v1, vcc
	v_lshlrev_b32_e32 v0, 24, v0
	v_bfrev_b32_e32 v3, 60
	v_lshlrev_b32_e32 v1, 20, v1
	v_and_b32_e32 v0, 0x80000000, v0
	v_lshl_add_u32 v2, v2, 23, v3
	v_or3_b32 v1, v0, v2, v1
.LBB6_8936:                             ;   in Loop: Header=BB6_8433 Depth=4
	s_or_b64 exec, exec, s[36:37]
.LBB6_8937:                             ;   in Loop: Header=BB6_8433 Depth=4
	s_or_b64 exec, exec, s[34:35]
.LBB6_8938:                             ;   in Loop: Header=BB6_8433 Depth=4
	s_or_b64 exec, exec, s[28:29]
	v_mul_f32_e32 v1, s9, v1
	v_and_b32_e32 v50, 0x7f800000, v1
	v_cmp_ne_u64_e32 vcc, s[76:77], v[50:51]
                                        ; implicit-def: $vgpr32
	s_and_saveexec_b64 s[28:29], vcc
	s_xor_b64 s[34:35], exec, s[28:29]
	s_cbranch_execz .LBB6_8956
; %bb.8939:                             ;   in Loop: Header=BB6_8433 Depth=4
	v_and_b32_e32 v50, 0x7fffffff, v1
	v_cmp_gt_u64_e32 vcc, s[78:79], v[50:51]
	v_and_b32_sdwa v0, v1, s96 dst_sel:DWORD dst_unused:UNUSED_PAD src0_sel:BYTE_3 src1_sel:DWORD
                                        ; implicit-def: $vgpr32
	s_and_saveexec_b64 s[28:29], vcc
	s_xor_b64 s[36:37], exec, s[28:29]
	s_cbranch_execz .LBB6_8953
; %bb.8940:                             ;   in Loop: Header=BB6_8433 Depth=4
	v_cmp_ne_u32_e32 vcc, 0, v1
	v_mov_b32_e32 v32, 0
	s_and_saveexec_b64 s[38:39], vcc
	s_cbranch_execz .LBB6_8952
; %bb.8941:                             ;   in Loop: Header=BB6_8433 Depth=4
	v_and_b32_e32 v3, 0x7fffff, v1
	v_bfe_u32 v1, v1, 23, 8
	v_cmp_gt_u32_e64 s[28:29], s97, v1
	v_sub_u32_e32 v2, 0x79, v1
	v_cmp_eq_u32_e32 vcc, 0, v1
	v_cndmask_b32_e64 v2, 0, v2, s[28:29]
	v_mov_b32_e32 v5, 0x78
	v_or_b32_e32 v4, 0x800000, v3
	v_cndmask_b32_e32 v2, v2, v5, vcc
	v_cndmask_b32_e32 v50, v4, v3, vcc
	v_add_u32_e32 v3, 20, v2
	v_lshlrev_b64 v[3:4], v3, -1
	v_add_u32_e32 v5, 19, v2
	v_lshlrev_b64 v[5:6], v5, 1
	v_bfi_b32 v4, v4, 0, 0
	v_bfi_b32 v3, v3, 0, v50
	v_lshrrev_b64 v[14:15], v2, v[50:51]
	v_cmp_eq_u64_e64 s[28:29], v[3:4], v[5:6]
	v_mov_b32_e32 v4, v14
	v_mov_b32_e32 v5, v15
	s_and_saveexec_b64 s[48:49], s[28:29]
; %bb.8942:                             ;   in Loop: Header=BB6_8433 Depth=4
	v_bfe_u32 v3, v14, 20, 1
	v_add_co_u32_e64 v3, s[28:29], v14, v3
	v_add_co_u32_e64 v4, s[28:29], -1, v3
; %bb.8943:                             ;   in Loop: Header=BB6_8433 Depth=4
	s_or_b64 exec, exec, s[48:49]
	v_add_u32_e32 v1, 0xffffff81, v1
	v_mov_b32_e32 v3, 0xffffff82
	v_cndmask_b32_e32 v1, v1, v3, vcc
	v_lshrrev_b32_e32 v3, 23, v14
	v_add3_u32 v3, v2, v1, v3
	v_add_u32_e32 v2, 6, v3
	v_and_b32_e32 v1, 0xfffff, v4
	v_add_u32_e32 v50, v1, v14
	v_cmp_ne_u32_e32 vcc, 0, v2
                                        ; implicit-def: $vgpr14_vgpr15
                                        ; implicit-def: $vgpr1
	s_and_saveexec_b64 s[28:29], vcc
	s_xor_b64 s[28:29], exec, s[28:29]
; %bb.8944:                             ;   in Loop: Header=BB6_8433 Depth=4
	v_cmp_lt_u64_e32 vcc, s[88:89], v[50:51]
	v_add_u32_e32 v1, 7, v3
	v_cndmask_b32_e32 v1, v2, v1, vcc
	v_cndmask_b32_e64 v2, 0, 1, vcc
	v_lshrrev_b64 v[14:15], v2, v[50:51]
; %bb.8945:                             ;   in Loop: Header=BB6_8433 Depth=4
	s_andn2_saveexec_b64 s[28:29], s[28:29]
; %bb.8946:                             ;   in Loop: Header=BB6_8433 Depth=4
	v_mov_b32_e32 v14, v50
	v_bfe_u32 v1, v50, 23, 1
	v_mov_b32_e32 v15, v51
; %bb.8947:                             ;   in Loop: Header=BB6_8433 Depth=4
	s_or_b64 exec, exec, s[28:29]
	v_lshrrev_b64 v[2:3], 20, v[14:15]
	v_cmp_gt_i32_e32 vcc, 16, v1
	v_cndmask_b32_e32 v15, 0, v3, vcc
	v_cndmask_b32_e32 v14, 7, v2, vcc
	v_cmp_ne_u64_e32 vcc, 0, v[14:15]
	v_cmp_ne_u32_e64 s[28:29], 0, v1
	s_or_b64 s[28:29], s[28:29], vcc
                                        ; implicit-def: $vgpr32
	s_and_saveexec_b64 vcc, s[28:29]
	s_xor_b64 s[28:29], exec, vcc
; %bb.8948:                             ;   in Loop: Header=BB6_8433 Depth=4
	v_min_i32_e32 v1, 15, v1
	v_lshl_or_b32 v0, v1, 3, v0
	v_and_or_b32 v32, v14, 7, v0
                                        ; implicit-def: $vgpr0
; %bb.8949:                             ;   in Loop: Header=BB6_8433 Depth=4
	s_andn2_saveexec_b64 s[28:29], s[28:29]
; %bb.8950:                             ;   in Loop: Header=BB6_8433 Depth=4
	v_mov_b32_e32 v32, v0
; %bb.8951:                             ;   in Loop: Header=BB6_8433 Depth=4
	s_or_b64 exec, exec, s[28:29]
.LBB6_8952:                             ;   in Loop: Header=BB6_8433 Depth=4
	s_or_b64 exec, exec, s[38:39]
                                        ; implicit-def: $vgpr0
.LBB6_8953:                             ;   in Loop: Header=BB6_8433 Depth=4
	s_andn2_saveexec_b64 s[28:29], s[36:37]
; %bb.8954:                             ;   in Loop: Header=BB6_8433 Depth=4
	v_or_b32_e32 v32, 0x7e, v0
; %bb.8955:                             ;   in Loop: Header=BB6_8433 Depth=4
	s_or_b64 exec, exec, s[28:29]
                                        ; implicit-def: $vgpr1
.LBB6_8956:                             ;   in Loop: Header=BB6_8433 Depth=4
	s_andn2_saveexec_b64 s[28:29], s[34:35]
; %bb.8957:                             ;   in Loop: Header=BB6_8433 Depth=4
	v_or_b32_sdwa v32, v1, s86 dst_sel:DWORD dst_unused:UNUSED_PAD src0_sel:BYTE_3 src1_sel:DWORD
; %bb.8958:                             ;   in Loop: Header=BB6_8433 Depth=4
	s_or_b64 exec, exec, s[28:29]
	flat_load_ubyte v0, v[8:9] offset:1280 glc slc
	v_mov_b32_e32 v1, 0
	s_waitcnt vmcnt(0) lgkmcnt(0)
	v_cmp_ne_u16_e32 vcc, 0, v0
	s_and_saveexec_b64 s[28:29], vcc
	s_cbranch_execz .LBB6_8964
; %bb.8959:                             ;   in Loop: Header=BB6_8433 Depth=4
	v_cmp_ne_u16_e32 vcc, s96, v0
	v_bfrev_b32_e32 v1, 1
	s_and_saveexec_b64 s[34:35], vcc
	s_cbranch_execz .LBB6_8963
; %bb.8960:                             ;   in Loop: Header=BB6_8433 Depth=4
	v_and_b32_e32 v14, 0xffff, v0
	v_and_b32_e32 v2, 0x7f, v14
	v_cmp_ne_u32_e32 vcc, s86, v2
	v_mov_b32_e32 v1, 0x7f800001
	s_and_saveexec_b64 s[36:37], vcc
	s_cbranch_execz .LBB6_8962
; %bb.8961:                             ;   in Loop: Header=BB6_8433 Depth=4
	v_and_b32_e32 v3, 7, v14
	v_ffbh_u32_e32 v1, v3
	v_min_u32_e32 v5, 32, v1
	v_subrev_u32_e32 v1, 28, v5
	v_lshrrev_b32_e32 v4, 3, v2
	v_cmp_gt_u32_e32 vcc, 8, v2
	v_lshlrev_b64 v[1:2], v1, v[14:15]
	v_sub_u32_e32 v2, 29, v5
	v_and_b32_e32 v1, 7, v1
	v_cndmask_b32_e32 v2, v4, v2, vcc
	v_cndmask_b32_e32 v1, v3, v1, vcc
	v_lshlrev_b32_e32 v0, 24, v0
	v_bfrev_b32_e32 v3, 60
	v_lshlrev_b32_e32 v1, 20, v1
	v_and_b32_e32 v0, 0x80000000, v0
	v_lshl_add_u32 v2, v2, 23, v3
	v_or3_b32 v1, v0, v2, v1
.LBB6_8962:                             ;   in Loop: Header=BB6_8433 Depth=4
	s_or_b64 exec, exec, s[36:37]
.LBB6_8963:                             ;   in Loop: Header=BB6_8433 Depth=4
	s_or_b64 exec, exec, s[34:35]
.LBB6_8964:                             ;   in Loop: Header=BB6_8433 Depth=4
	s_or_b64 exec, exec, s[28:29]
	v_mul_f32_e32 v1, s9, v1
	v_and_b32_e32 v50, 0x7f800000, v1
	v_cmp_ne_u64_e32 vcc, s[76:77], v[50:51]
                                        ; implicit-def: $vgpr0
                                        ; kill: killed $vgpr0
	s_and_saveexec_b64 s[28:29], vcc
	s_xor_b64 s[34:35], exec, s[28:29]
	s_cbranch_execz .LBB6_8982
; %bb.8965:                             ;   in Loop: Header=BB6_8433 Depth=4
	v_and_b32_e32 v50, 0x7fffffff, v1
	v_cmp_gt_u64_e32 vcc, s[78:79], v[50:51]
	v_and_b32_sdwa v0, v1, s96 dst_sel:DWORD dst_unused:UNUSED_PAD src0_sel:BYTE_3 src1_sel:DWORD
                                        ; implicit-def: $vgpr2
                                        ; kill: killed $vgpr2
	s_and_saveexec_b64 s[28:29], vcc
	s_xor_b64 s[36:37], exec, s[28:29]
	s_cbranch_execz .LBB6_8979
; %bb.8966:                             ;   in Loop: Header=BB6_8433 Depth=4
	v_cmp_ne_u32_e32 vcc, 0, v1
	v_mov_b32_e32 v2, 0
	buffer_store_dword v2, off, s[0:3], s33 offset:140 ; 4-byte Folded Spill
	s_and_saveexec_b64 s[38:39], vcc
	s_cbranch_execz .LBB6_8978
; %bb.8967:                             ;   in Loop: Header=BB6_8433 Depth=4
	v_and_b32_e32 v3, 0x7fffff, v1
	v_bfe_u32 v1, v1, 23, 8
	v_cmp_gt_u32_e64 s[28:29], s97, v1
	v_sub_u32_e32 v2, 0x79, v1
	v_cmp_eq_u32_e32 vcc, 0, v1
	v_cndmask_b32_e64 v2, 0, v2, s[28:29]
	v_mov_b32_e32 v5, 0x78
	v_or_b32_e32 v4, 0x800000, v3
	v_cndmask_b32_e32 v2, v2, v5, vcc
	v_cndmask_b32_e32 v50, v4, v3, vcc
	v_add_u32_e32 v3, 20, v2
	v_lshlrev_b64 v[3:4], v3, -1
	v_add_u32_e32 v5, 19, v2
	v_lshlrev_b64 v[5:6], v5, 1
	v_bfi_b32 v4, v4, 0, 0
	v_bfi_b32 v3, v3, 0, v50
	v_lshrrev_b64 v[14:15], v2, v[50:51]
	v_cmp_eq_u64_e64 s[28:29], v[3:4], v[5:6]
	v_mov_b32_e32 v4, v14
	v_mov_b32_e32 v5, v15
	s_and_saveexec_b64 s[48:49], s[28:29]
; %bb.8968:                             ;   in Loop: Header=BB6_8433 Depth=4
	v_bfe_u32 v3, v14, 20, 1
	v_add_co_u32_e64 v3, s[28:29], v14, v3
	v_add_co_u32_e64 v4, s[28:29], -1, v3
; %bb.8969:                             ;   in Loop: Header=BB6_8433 Depth=4
	s_or_b64 exec, exec, s[48:49]
	v_add_u32_e32 v1, 0xffffff81, v1
	v_mov_b32_e32 v3, 0xffffff82
	v_cndmask_b32_e32 v1, v1, v3, vcc
	v_lshrrev_b32_e32 v3, 23, v14
	v_add3_u32 v3, v2, v1, v3
	v_add_u32_e32 v2, 6, v3
	v_and_b32_e32 v1, 0xfffff, v4
	v_add_u32_e32 v50, v1, v14
	v_cmp_ne_u32_e32 vcc, 0, v2
                                        ; implicit-def: $vgpr14_vgpr15
                                        ; implicit-def: $vgpr1
	s_and_saveexec_b64 s[28:29], vcc
	s_xor_b64 s[28:29], exec, s[28:29]
; %bb.8970:                             ;   in Loop: Header=BB6_8433 Depth=4
	v_cmp_lt_u64_e32 vcc, s[88:89], v[50:51]
	v_add_u32_e32 v1, 7, v3
	v_cndmask_b32_e32 v1, v2, v1, vcc
	v_cndmask_b32_e64 v2, 0, 1, vcc
	v_lshrrev_b64 v[14:15], v2, v[50:51]
; %bb.8971:                             ;   in Loop: Header=BB6_8433 Depth=4
	s_andn2_saveexec_b64 s[28:29], s[28:29]
; %bb.8972:                             ;   in Loop: Header=BB6_8433 Depth=4
	v_mov_b32_e32 v14, v50
	v_bfe_u32 v1, v50, 23, 1
	v_mov_b32_e32 v15, v51
; %bb.8973:                             ;   in Loop: Header=BB6_8433 Depth=4
	s_or_b64 exec, exec, s[28:29]
	v_lshrrev_b64 v[2:3], 20, v[14:15]
	v_cmp_gt_i32_e32 vcc, 16, v1
	v_cndmask_b32_e32 v15, 0, v3, vcc
	v_cndmask_b32_e32 v14, 7, v2, vcc
	v_cmp_ne_u64_e32 vcc, 0, v[14:15]
	v_cmp_ne_u32_e64 s[28:29], 0, v1
	s_or_b64 s[28:29], s[28:29], vcc
                                        ; implicit-def: $vgpr2
                                        ; kill: killed $vgpr2
	s_and_saveexec_b64 vcc, s[28:29]
	s_xor_b64 s[28:29], exec, vcc
	s_cbranch_execz .LBB6_8975
; %bb.8974:                             ;   in Loop: Header=BB6_8433 Depth=4
	v_min_i32_e32 v1, 15, v1
	v_lshl_or_b32 v0, v1, 3, v0
	v_and_or_b32 v0, v14, 7, v0
	buffer_store_dword v0, off, s[0:3], s33 offset:140 ; 4-byte Folded Spill
                                        ; implicit-def: $vgpr0
.LBB6_8975:                             ;   in Loop: Header=BB6_8433 Depth=4
	s_andn2_saveexec_b64 s[28:29], s[28:29]
	s_cbranch_execz .LBB6_8977
; %bb.8976:                             ;   in Loop: Header=BB6_8433 Depth=4
	buffer_store_dword v0, off, s[0:3], s33 offset:140 ; 4-byte Folded Spill
.LBB6_8977:                             ;   in Loop: Header=BB6_8433 Depth=4
	s_or_b64 exec, exec, s[28:29]
.LBB6_8978:                             ;   in Loop: Header=BB6_8433 Depth=4
	s_or_b64 exec, exec, s[38:39]
                                        ; implicit-def: $vgpr0
.LBB6_8979:                             ;   in Loop: Header=BB6_8433 Depth=4
	s_andn2_saveexec_b64 s[28:29], s[36:37]
	s_cbranch_execz .LBB6_8981
; %bb.8980:                             ;   in Loop: Header=BB6_8433 Depth=4
	v_or_b32_e32 v0, 0x7e, v0
	buffer_store_dword v0, off, s[0:3], s33 offset:140 ; 4-byte Folded Spill
.LBB6_8981:                             ;   in Loop: Header=BB6_8433 Depth=4
	s_or_b64 exec, exec, s[28:29]
                                        ; implicit-def: $vgpr1
.LBB6_8982:                             ;   in Loop: Header=BB6_8433 Depth=4
	s_andn2_saveexec_b64 s[28:29], s[34:35]
	s_cbranch_execz .LBB6_8984
; %bb.8983:                             ;   in Loop: Header=BB6_8433 Depth=4
	v_or_b32_sdwa v0, v1, s86 dst_sel:DWORD dst_unused:UNUSED_PAD src0_sel:BYTE_3 src1_sel:DWORD
	buffer_store_dword v0, off, s[0:3], s33 offset:140 ; 4-byte Folded Spill
.LBB6_8984:                             ;   in Loop: Header=BB6_8433 Depth=4
	s_or_b64 exec, exec, s[28:29]
	flat_load_ubyte v0, v[8:9] offset:1344 glc slc
	v_mov_b32_e32 v1, 0
	s_waitcnt vmcnt(0) lgkmcnt(0)
	v_cmp_ne_u16_e32 vcc, 0, v0
	s_and_saveexec_b64 s[28:29], vcc
	s_cbranch_execz .LBB6_8990
; %bb.8985:                             ;   in Loop: Header=BB6_8433 Depth=4
	v_cmp_ne_u16_e32 vcc, s96, v0
	v_bfrev_b32_e32 v1, 1
	s_and_saveexec_b64 s[34:35], vcc
	s_cbranch_execz .LBB6_8989
; %bb.8986:                             ;   in Loop: Header=BB6_8433 Depth=4
	v_and_b32_e32 v14, 0xffff, v0
	v_and_b32_e32 v2, 0x7f, v14
	v_cmp_ne_u32_e32 vcc, s86, v2
	v_mov_b32_e32 v1, 0x7f800001
	s_and_saveexec_b64 s[36:37], vcc
	s_cbranch_execz .LBB6_8988
; %bb.8987:                             ;   in Loop: Header=BB6_8433 Depth=4
	v_and_b32_e32 v3, 7, v14
	v_ffbh_u32_e32 v1, v3
	v_min_u32_e32 v5, 32, v1
	v_subrev_u32_e32 v1, 28, v5
	v_lshrrev_b32_e32 v4, 3, v2
	v_cmp_gt_u32_e32 vcc, 8, v2
	v_lshlrev_b64 v[1:2], v1, v[14:15]
	v_sub_u32_e32 v2, 29, v5
	v_and_b32_e32 v1, 7, v1
	v_cndmask_b32_e32 v2, v4, v2, vcc
	v_cndmask_b32_e32 v1, v3, v1, vcc
	v_lshlrev_b32_e32 v0, 24, v0
	v_bfrev_b32_e32 v3, 60
	v_lshlrev_b32_e32 v1, 20, v1
	v_and_b32_e32 v0, 0x80000000, v0
	v_lshl_add_u32 v2, v2, 23, v3
	v_or3_b32 v1, v0, v2, v1
.LBB6_8988:                             ;   in Loop: Header=BB6_8433 Depth=4
	s_or_b64 exec, exec, s[36:37]
.LBB6_8989:                             ;   in Loop: Header=BB6_8433 Depth=4
	s_or_b64 exec, exec, s[34:35]
.LBB6_8990:                             ;   in Loop: Header=BB6_8433 Depth=4
	s_or_b64 exec, exec, s[28:29]
	v_mul_f32_e32 v1, s9, v1
	v_and_b32_e32 v50, 0x7f800000, v1
	v_cmp_ne_u64_e32 vcc, s[76:77], v[50:51]
                                        ; implicit-def: $vgpr0
                                        ; kill: killed $vgpr0
	s_and_saveexec_b64 s[28:29], vcc
	s_xor_b64 s[34:35], exec, s[28:29]
	s_cbranch_execz .LBB6_9008
; %bb.8991:                             ;   in Loop: Header=BB6_8433 Depth=4
	v_and_b32_e32 v50, 0x7fffffff, v1
	v_cmp_gt_u64_e32 vcc, s[78:79], v[50:51]
	v_and_b32_sdwa v0, v1, s96 dst_sel:DWORD dst_unused:UNUSED_PAD src0_sel:BYTE_3 src1_sel:DWORD
                                        ; implicit-def: $vgpr2
                                        ; kill: killed $vgpr2
	s_and_saveexec_b64 s[28:29], vcc
	s_xor_b64 s[36:37], exec, s[28:29]
	s_cbranch_execz .LBB6_9005
; %bb.8992:                             ;   in Loop: Header=BB6_8433 Depth=4
	v_cmp_ne_u32_e32 vcc, 0, v1
	v_mov_b32_e32 v2, 0
	buffer_store_dword v2, off, s[0:3], s33 offset:136 ; 4-byte Folded Spill
	s_and_saveexec_b64 s[38:39], vcc
	s_cbranch_execz .LBB6_9004
; %bb.8993:                             ;   in Loop: Header=BB6_8433 Depth=4
	v_and_b32_e32 v3, 0x7fffff, v1
	v_bfe_u32 v1, v1, 23, 8
	v_cmp_gt_u32_e64 s[28:29], s97, v1
	v_sub_u32_e32 v2, 0x79, v1
	v_cmp_eq_u32_e32 vcc, 0, v1
	v_cndmask_b32_e64 v2, 0, v2, s[28:29]
	v_mov_b32_e32 v5, 0x78
	v_or_b32_e32 v4, 0x800000, v3
	v_cndmask_b32_e32 v2, v2, v5, vcc
	v_cndmask_b32_e32 v50, v4, v3, vcc
	v_add_u32_e32 v3, 20, v2
	v_lshlrev_b64 v[3:4], v3, -1
	v_add_u32_e32 v5, 19, v2
	v_lshlrev_b64 v[5:6], v5, 1
	v_bfi_b32 v4, v4, 0, 0
	v_bfi_b32 v3, v3, 0, v50
	v_lshrrev_b64 v[14:15], v2, v[50:51]
	v_cmp_eq_u64_e64 s[28:29], v[3:4], v[5:6]
	v_mov_b32_e32 v4, v14
	v_mov_b32_e32 v5, v15
	s_and_saveexec_b64 s[48:49], s[28:29]
; %bb.8994:                             ;   in Loop: Header=BB6_8433 Depth=4
	v_bfe_u32 v3, v14, 20, 1
	v_add_co_u32_e64 v3, s[28:29], v14, v3
	v_add_co_u32_e64 v4, s[28:29], -1, v3
; %bb.8995:                             ;   in Loop: Header=BB6_8433 Depth=4
	s_or_b64 exec, exec, s[48:49]
	v_add_u32_e32 v1, 0xffffff81, v1
	v_mov_b32_e32 v3, 0xffffff82
	v_cndmask_b32_e32 v1, v1, v3, vcc
	v_lshrrev_b32_e32 v3, 23, v14
	v_add3_u32 v3, v2, v1, v3
	v_add_u32_e32 v2, 6, v3
	v_and_b32_e32 v1, 0xfffff, v4
	v_add_u32_e32 v50, v1, v14
	v_cmp_ne_u32_e32 vcc, 0, v2
                                        ; implicit-def: $vgpr14_vgpr15
                                        ; implicit-def: $vgpr1
	s_and_saveexec_b64 s[28:29], vcc
	s_xor_b64 s[28:29], exec, s[28:29]
; %bb.8996:                             ;   in Loop: Header=BB6_8433 Depth=4
	v_cmp_lt_u64_e32 vcc, s[88:89], v[50:51]
	v_add_u32_e32 v1, 7, v3
	v_cndmask_b32_e32 v1, v2, v1, vcc
	v_cndmask_b32_e64 v2, 0, 1, vcc
	v_lshrrev_b64 v[14:15], v2, v[50:51]
; %bb.8997:                             ;   in Loop: Header=BB6_8433 Depth=4
	s_andn2_saveexec_b64 s[28:29], s[28:29]
; %bb.8998:                             ;   in Loop: Header=BB6_8433 Depth=4
	v_mov_b32_e32 v14, v50
	v_bfe_u32 v1, v50, 23, 1
	v_mov_b32_e32 v15, v51
; %bb.8999:                             ;   in Loop: Header=BB6_8433 Depth=4
	s_or_b64 exec, exec, s[28:29]
	v_lshrrev_b64 v[2:3], 20, v[14:15]
	v_cmp_gt_i32_e32 vcc, 16, v1
	v_cndmask_b32_e32 v15, 0, v3, vcc
	v_cndmask_b32_e32 v14, 7, v2, vcc
	v_cmp_ne_u64_e32 vcc, 0, v[14:15]
	v_cmp_ne_u32_e64 s[28:29], 0, v1
	s_or_b64 s[28:29], s[28:29], vcc
                                        ; implicit-def: $vgpr2
                                        ; kill: killed $vgpr2
	s_and_saveexec_b64 vcc, s[28:29]
	s_xor_b64 s[28:29], exec, vcc
	s_cbranch_execz .LBB6_9001
; %bb.9000:                             ;   in Loop: Header=BB6_8433 Depth=4
	v_min_i32_e32 v1, 15, v1
	v_lshl_or_b32 v0, v1, 3, v0
	v_and_or_b32 v0, v14, 7, v0
	buffer_store_dword v0, off, s[0:3], s33 offset:136 ; 4-byte Folded Spill
                                        ; implicit-def: $vgpr0
.LBB6_9001:                             ;   in Loop: Header=BB6_8433 Depth=4
	s_andn2_saveexec_b64 s[28:29], s[28:29]
	s_cbranch_execz .LBB6_9003
; %bb.9002:                             ;   in Loop: Header=BB6_8433 Depth=4
	buffer_store_dword v0, off, s[0:3], s33 offset:136 ; 4-byte Folded Spill
.LBB6_9003:                             ;   in Loop: Header=BB6_8433 Depth=4
	s_or_b64 exec, exec, s[28:29]
.LBB6_9004:                             ;   in Loop: Header=BB6_8433 Depth=4
	s_or_b64 exec, exec, s[38:39]
                                        ; implicit-def: $vgpr0
.LBB6_9005:                             ;   in Loop: Header=BB6_8433 Depth=4
	s_andn2_saveexec_b64 s[28:29], s[36:37]
	s_cbranch_execz .LBB6_9007
; %bb.9006:                             ;   in Loop: Header=BB6_8433 Depth=4
	v_or_b32_e32 v0, 0x7e, v0
	buffer_store_dword v0, off, s[0:3], s33 offset:136 ; 4-byte Folded Spill
.LBB6_9007:                             ;   in Loop: Header=BB6_8433 Depth=4
	s_or_b64 exec, exec, s[28:29]
                                        ; implicit-def: $vgpr1
.LBB6_9008:                             ;   in Loop: Header=BB6_8433 Depth=4
	s_andn2_saveexec_b64 s[28:29], s[34:35]
	s_cbranch_execz .LBB6_9010
; %bb.9009:                             ;   in Loop: Header=BB6_8433 Depth=4
	v_or_b32_sdwa v0, v1, s86 dst_sel:DWORD dst_unused:UNUSED_PAD src0_sel:BYTE_3 src1_sel:DWORD
	buffer_store_dword v0, off, s[0:3], s33 offset:136 ; 4-byte Folded Spill
.LBB6_9010:                             ;   in Loop: Header=BB6_8433 Depth=4
	s_or_b64 exec, exec, s[28:29]
	flat_load_ubyte v0, v[8:9] offset:1408 glc slc
	v_mov_b32_e32 v1, 0
	s_waitcnt vmcnt(0) lgkmcnt(0)
	v_cmp_ne_u16_e32 vcc, 0, v0
	s_and_saveexec_b64 s[28:29], vcc
	s_cbranch_execz .LBB6_9016
; %bb.9011:                             ;   in Loop: Header=BB6_8433 Depth=4
	v_cmp_ne_u16_e32 vcc, s96, v0
	v_bfrev_b32_e32 v1, 1
	s_and_saveexec_b64 s[34:35], vcc
	s_cbranch_execz .LBB6_9015
; %bb.9012:                             ;   in Loop: Header=BB6_8433 Depth=4
	v_and_b32_e32 v14, 0xffff, v0
	v_and_b32_e32 v2, 0x7f, v14
	v_cmp_ne_u32_e32 vcc, s86, v2
	v_mov_b32_e32 v1, 0x7f800001
	s_and_saveexec_b64 s[36:37], vcc
	s_cbranch_execz .LBB6_9014
; %bb.9013:                             ;   in Loop: Header=BB6_8433 Depth=4
	v_and_b32_e32 v3, 7, v14
	v_ffbh_u32_e32 v1, v3
	v_min_u32_e32 v5, 32, v1
	v_subrev_u32_e32 v1, 28, v5
	v_lshrrev_b32_e32 v4, 3, v2
	v_cmp_gt_u32_e32 vcc, 8, v2
	v_lshlrev_b64 v[1:2], v1, v[14:15]
	v_sub_u32_e32 v2, 29, v5
	v_and_b32_e32 v1, 7, v1
	v_cndmask_b32_e32 v2, v4, v2, vcc
	v_cndmask_b32_e32 v1, v3, v1, vcc
	v_lshlrev_b32_e32 v0, 24, v0
	v_bfrev_b32_e32 v3, 60
	v_lshlrev_b32_e32 v1, 20, v1
	v_and_b32_e32 v0, 0x80000000, v0
	v_lshl_add_u32 v2, v2, 23, v3
	v_or3_b32 v1, v0, v2, v1
.LBB6_9014:                             ;   in Loop: Header=BB6_8433 Depth=4
	s_or_b64 exec, exec, s[36:37]
.LBB6_9015:                             ;   in Loop: Header=BB6_8433 Depth=4
	s_or_b64 exec, exec, s[34:35]
.LBB6_9016:                             ;   in Loop: Header=BB6_8433 Depth=4
	s_or_b64 exec, exec, s[28:29]
	v_mul_f32_e32 v1, s9, v1
	v_and_b32_e32 v50, 0x7f800000, v1
	v_cmp_ne_u64_e32 vcc, s[76:77], v[50:51]
                                        ; implicit-def: $vgpr0
                                        ; kill: killed $vgpr0
	s_and_saveexec_b64 s[28:29], vcc
	s_xor_b64 s[34:35], exec, s[28:29]
	s_cbranch_execz .LBB6_9034
; %bb.9017:                             ;   in Loop: Header=BB6_8433 Depth=4
	v_and_b32_e32 v50, 0x7fffffff, v1
	v_cmp_gt_u64_e32 vcc, s[78:79], v[50:51]
	v_and_b32_sdwa v0, v1, s96 dst_sel:DWORD dst_unused:UNUSED_PAD src0_sel:BYTE_3 src1_sel:DWORD
                                        ; implicit-def: $vgpr2
                                        ; kill: killed $vgpr2
	s_and_saveexec_b64 s[28:29], vcc
	s_xor_b64 s[36:37], exec, s[28:29]
	s_cbranch_execz .LBB6_9031
; %bb.9018:                             ;   in Loop: Header=BB6_8433 Depth=4
	v_cmp_ne_u32_e32 vcc, 0, v1
	v_mov_b32_e32 v2, 0
	buffer_store_dword v2, off, s[0:3], s33 offset:132 ; 4-byte Folded Spill
	s_and_saveexec_b64 s[38:39], vcc
	s_cbranch_execz .LBB6_9030
; %bb.9019:                             ;   in Loop: Header=BB6_8433 Depth=4
	v_and_b32_e32 v3, 0x7fffff, v1
	v_bfe_u32 v1, v1, 23, 8
	v_cmp_gt_u32_e64 s[28:29], s97, v1
	v_sub_u32_e32 v2, 0x79, v1
	v_cmp_eq_u32_e32 vcc, 0, v1
	v_cndmask_b32_e64 v2, 0, v2, s[28:29]
	v_mov_b32_e32 v5, 0x78
	v_or_b32_e32 v4, 0x800000, v3
	v_cndmask_b32_e32 v2, v2, v5, vcc
	v_cndmask_b32_e32 v50, v4, v3, vcc
	v_add_u32_e32 v3, 20, v2
	v_lshlrev_b64 v[3:4], v3, -1
	v_add_u32_e32 v5, 19, v2
	v_lshlrev_b64 v[5:6], v5, 1
	v_bfi_b32 v4, v4, 0, 0
	v_bfi_b32 v3, v3, 0, v50
	v_lshrrev_b64 v[14:15], v2, v[50:51]
	v_cmp_eq_u64_e64 s[28:29], v[3:4], v[5:6]
	v_mov_b32_e32 v4, v14
	v_mov_b32_e32 v5, v15
	s_and_saveexec_b64 s[48:49], s[28:29]
; %bb.9020:                             ;   in Loop: Header=BB6_8433 Depth=4
	v_bfe_u32 v3, v14, 20, 1
	v_add_co_u32_e64 v3, s[28:29], v14, v3
	v_add_co_u32_e64 v4, s[28:29], -1, v3
; %bb.9021:                             ;   in Loop: Header=BB6_8433 Depth=4
	s_or_b64 exec, exec, s[48:49]
	v_add_u32_e32 v1, 0xffffff81, v1
	v_mov_b32_e32 v3, 0xffffff82
	v_cndmask_b32_e32 v1, v1, v3, vcc
	v_lshrrev_b32_e32 v3, 23, v14
	v_add3_u32 v3, v2, v1, v3
	v_add_u32_e32 v2, 6, v3
	v_and_b32_e32 v1, 0xfffff, v4
	v_add_u32_e32 v50, v1, v14
	v_cmp_ne_u32_e32 vcc, 0, v2
                                        ; implicit-def: $vgpr14_vgpr15
                                        ; implicit-def: $vgpr1
	s_and_saveexec_b64 s[28:29], vcc
	s_xor_b64 s[28:29], exec, s[28:29]
; %bb.9022:                             ;   in Loop: Header=BB6_8433 Depth=4
	v_cmp_lt_u64_e32 vcc, s[88:89], v[50:51]
	v_add_u32_e32 v1, 7, v3
	v_cndmask_b32_e32 v1, v2, v1, vcc
	v_cndmask_b32_e64 v2, 0, 1, vcc
	v_lshrrev_b64 v[14:15], v2, v[50:51]
; %bb.9023:                             ;   in Loop: Header=BB6_8433 Depth=4
	s_andn2_saveexec_b64 s[28:29], s[28:29]
; %bb.9024:                             ;   in Loop: Header=BB6_8433 Depth=4
	v_mov_b32_e32 v14, v50
	v_bfe_u32 v1, v50, 23, 1
	v_mov_b32_e32 v15, v51
; %bb.9025:                             ;   in Loop: Header=BB6_8433 Depth=4
	s_or_b64 exec, exec, s[28:29]
	v_lshrrev_b64 v[2:3], 20, v[14:15]
	v_cmp_gt_i32_e32 vcc, 16, v1
	v_cndmask_b32_e32 v15, 0, v3, vcc
	v_cndmask_b32_e32 v14, 7, v2, vcc
	v_cmp_ne_u64_e32 vcc, 0, v[14:15]
	v_cmp_ne_u32_e64 s[28:29], 0, v1
	s_or_b64 s[28:29], s[28:29], vcc
                                        ; implicit-def: $vgpr2
                                        ; kill: killed $vgpr2
	s_and_saveexec_b64 vcc, s[28:29]
	s_xor_b64 s[28:29], exec, vcc
	s_cbranch_execz .LBB6_9027
; %bb.9026:                             ;   in Loop: Header=BB6_8433 Depth=4
	v_min_i32_e32 v1, 15, v1
	v_lshl_or_b32 v0, v1, 3, v0
	v_and_or_b32 v0, v14, 7, v0
	buffer_store_dword v0, off, s[0:3], s33 offset:132 ; 4-byte Folded Spill
                                        ; implicit-def: $vgpr0
.LBB6_9027:                             ;   in Loop: Header=BB6_8433 Depth=4
	s_andn2_saveexec_b64 s[28:29], s[28:29]
	s_cbranch_execz .LBB6_9029
; %bb.9028:                             ;   in Loop: Header=BB6_8433 Depth=4
	buffer_store_dword v0, off, s[0:3], s33 offset:132 ; 4-byte Folded Spill
.LBB6_9029:                             ;   in Loop: Header=BB6_8433 Depth=4
	s_or_b64 exec, exec, s[28:29]
.LBB6_9030:                             ;   in Loop: Header=BB6_8433 Depth=4
	s_or_b64 exec, exec, s[38:39]
                                        ; implicit-def: $vgpr0
.LBB6_9031:                             ;   in Loop: Header=BB6_8433 Depth=4
	s_andn2_saveexec_b64 s[28:29], s[36:37]
	s_cbranch_execz .LBB6_9033
; %bb.9032:                             ;   in Loop: Header=BB6_8433 Depth=4
	v_or_b32_e32 v0, 0x7e, v0
	buffer_store_dword v0, off, s[0:3], s33 offset:132 ; 4-byte Folded Spill
.LBB6_9033:                             ;   in Loop: Header=BB6_8433 Depth=4
	s_or_b64 exec, exec, s[28:29]
                                        ; implicit-def: $vgpr1
.LBB6_9034:                             ;   in Loop: Header=BB6_8433 Depth=4
	s_andn2_saveexec_b64 s[28:29], s[34:35]
	s_cbranch_execz .LBB6_9036
; %bb.9035:                             ;   in Loop: Header=BB6_8433 Depth=4
	v_or_b32_sdwa v0, v1, s86 dst_sel:DWORD dst_unused:UNUSED_PAD src0_sel:BYTE_3 src1_sel:DWORD
	buffer_store_dword v0, off, s[0:3], s33 offset:132 ; 4-byte Folded Spill
.LBB6_9036:                             ;   in Loop: Header=BB6_8433 Depth=4
	s_or_b64 exec, exec, s[28:29]
	flat_load_ubyte v0, v[8:9] offset:1472 glc slc
	v_mov_b32_e32 v1, 0
	s_waitcnt vmcnt(0) lgkmcnt(0)
	v_cmp_ne_u16_e32 vcc, 0, v0
	s_and_saveexec_b64 s[28:29], vcc
	s_cbranch_execz .LBB6_9042
; %bb.9037:                             ;   in Loop: Header=BB6_8433 Depth=4
	v_cmp_ne_u16_e32 vcc, s96, v0
	v_bfrev_b32_e32 v1, 1
	s_and_saveexec_b64 s[34:35], vcc
	s_cbranch_execz .LBB6_9041
; %bb.9038:                             ;   in Loop: Header=BB6_8433 Depth=4
	v_and_b32_e32 v14, 0xffff, v0
	v_and_b32_e32 v2, 0x7f, v14
	v_cmp_ne_u32_e32 vcc, s86, v2
	v_mov_b32_e32 v1, 0x7f800001
	s_and_saveexec_b64 s[36:37], vcc
	s_cbranch_execz .LBB6_9040
; %bb.9039:                             ;   in Loop: Header=BB6_8433 Depth=4
	v_and_b32_e32 v3, 7, v14
	v_ffbh_u32_e32 v1, v3
	v_min_u32_e32 v5, 32, v1
	v_subrev_u32_e32 v1, 28, v5
	v_lshrrev_b32_e32 v4, 3, v2
	v_cmp_gt_u32_e32 vcc, 8, v2
	v_lshlrev_b64 v[1:2], v1, v[14:15]
	v_sub_u32_e32 v2, 29, v5
	v_and_b32_e32 v1, 7, v1
	v_cndmask_b32_e32 v2, v4, v2, vcc
	v_cndmask_b32_e32 v1, v3, v1, vcc
	v_lshlrev_b32_e32 v0, 24, v0
	v_bfrev_b32_e32 v3, 60
	v_lshlrev_b32_e32 v1, 20, v1
	v_and_b32_e32 v0, 0x80000000, v0
	v_lshl_add_u32 v2, v2, 23, v3
	v_or3_b32 v1, v0, v2, v1
.LBB6_9040:                             ;   in Loop: Header=BB6_8433 Depth=4
	s_or_b64 exec, exec, s[36:37]
.LBB6_9041:                             ;   in Loop: Header=BB6_8433 Depth=4
	s_or_b64 exec, exec, s[34:35]
.LBB6_9042:                             ;   in Loop: Header=BB6_8433 Depth=4
	s_or_b64 exec, exec, s[28:29]
	v_mul_f32_e32 v1, s9, v1
	v_and_b32_e32 v50, 0x7f800000, v1
	v_cmp_ne_u64_e32 vcc, s[76:77], v[50:51]
                                        ; implicit-def: $vgpr0
                                        ; kill: killed $vgpr0
	s_and_saveexec_b64 s[28:29], vcc
	s_xor_b64 s[34:35], exec, s[28:29]
	s_cbranch_execz .LBB6_9060
; %bb.9043:                             ;   in Loop: Header=BB6_8433 Depth=4
	v_and_b32_e32 v50, 0x7fffffff, v1
	v_cmp_gt_u64_e32 vcc, s[78:79], v[50:51]
	v_and_b32_sdwa v0, v1, s96 dst_sel:DWORD dst_unused:UNUSED_PAD src0_sel:BYTE_3 src1_sel:DWORD
                                        ; implicit-def: $vgpr2
                                        ; kill: killed $vgpr2
	s_and_saveexec_b64 s[28:29], vcc
	s_xor_b64 s[36:37], exec, s[28:29]
	s_cbranch_execz .LBB6_9057
; %bb.9044:                             ;   in Loop: Header=BB6_8433 Depth=4
	v_cmp_ne_u32_e32 vcc, 0, v1
	v_mov_b32_e32 v2, 0
	buffer_store_dword v2, off, s[0:3], s33 offset:128 ; 4-byte Folded Spill
	s_and_saveexec_b64 s[38:39], vcc
	s_cbranch_execz .LBB6_9056
; %bb.9045:                             ;   in Loop: Header=BB6_8433 Depth=4
	v_and_b32_e32 v3, 0x7fffff, v1
	v_bfe_u32 v1, v1, 23, 8
	v_cmp_gt_u32_e64 s[28:29], s97, v1
	v_sub_u32_e32 v2, 0x79, v1
	v_cmp_eq_u32_e32 vcc, 0, v1
	v_cndmask_b32_e64 v2, 0, v2, s[28:29]
	v_mov_b32_e32 v5, 0x78
	v_or_b32_e32 v4, 0x800000, v3
	v_cndmask_b32_e32 v2, v2, v5, vcc
	v_cndmask_b32_e32 v50, v4, v3, vcc
	v_add_u32_e32 v3, 20, v2
	v_lshlrev_b64 v[3:4], v3, -1
	v_add_u32_e32 v5, 19, v2
	v_lshlrev_b64 v[5:6], v5, 1
	v_bfi_b32 v4, v4, 0, 0
	v_bfi_b32 v3, v3, 0, v50
	v_lshrrev_b64 v[14:15], v2, v[50:51]
	v_cmp_eq_u64_e64 s[28:29], v[3:4], v[5:6]
	v_mov_b32_e32 v4, v14
	v_mov_b32_e32 v5, v15
	s_and_saveexec_b64 s[48:49], s[28:29]
; %bb.9046:                             ;   in Loop: Header=BB6_8433 Depth=4
	v_bfe_u32 v3, v14, 20, 1
	v_add_co_u32_e64 v3, s[28:29], v14, v3
	v_add_co_u32_e64 v4, s[28:29], -1, v3
; %bb.9047:                             ;   in Loop: Header=BB6_8433 Depth=4
	s_or_b64 exec, exec, s[48:49]
	v_add_u32_e32 v1, 0xffffff81, v1
	v_mov_b32_e32 v3, 0xffffff82
	v_cndmask_b32_e32 v1, v1, v3, vcc
	v_lshrrev_b32_e32 v3, 23, v14
	v_add3_u32 v3, v2, v1, v3
	v_add_u32_e32 v2, 6, v3
	v_and_b32_e32 v1, 0xfffff, v4
	v_add_u32_e32 v50, v1, v14
	v_cmp_ne_u32_e32 vcc, 0, v2
                                        ; implicit-def: $vgpr14_vgpr15
                                        ; implicit-def: $vgpr1
	s_and_saveexec_b64 s[28:29], vcc
	s_xor_b64 s[28:29], exec, s[28:29]
; %bb.9048:                             ;   in Loop: Header=BB6_8433 Depth=4
	v_cmp_lt_u64_e32 vcc, s[88:89], v[50:51]
	v_add_u32_e32 v1, 7, v3
	v_cndmask_b32_e32 v1, v2, v1, vcc
	v_cndmask_b32_e64 v2, 0, 1, vcc
	v_lshrrev_b64 v[14:15], v2, v[50:51]
; %bb.9049:                             ;   in Loop: Header=BB6_8433 Depth=4
	s_andn2_saveexec_b64 s[28:29], s[28:29]
; %bb.9050:                             ;   in Loop: Header=BB6_8433 Depth=4
	v_mov_b32_e32 v14, v50
	v_bfe_u32 v1, v50, 23, 1
	v_mov_b32_e32 v15, v51
; %bb.9051:                             ;   in Loop: Header=BB6_8433 Depth=4
	s_or_b64 exec, exec, s[28:29]
	v_lshrrev_b64 v[2:3], 20, v[14:15]
	v_cmp_gt_i32_e32 vcc, 16, v1
	v_cndmask_b32_e32 v15, 0, v3, vcc
	v_cndmask_b32_e32 v14, 7, v2, vcc
	v_cmp_ne_u64_e32 vcc, 0, v[14:15]
	v_cmp_ne_u32_e64 s[28:29], 0, v1
	s_or_b64 s[28:29], s[28:29], vcc
                                        ; implicit-def: $vgpr2
                                        ; kill: killed $vgpr2
	s_and_saveexec_b64 vcc, s[28:29]
	s_xor_b64 s[28:29], exec, vcc
	s_cbranch_execz .LBB6_9053
; %bb.9052:                             ;   in Loop: Header=BB6_8433 Depth=4
	v_min_i32_e32 v1, 15, v1
	v_lshl_or_b32 v0, v1, 3, v0
	v_and_or_b32 v0, v14, 7, v0
	buffer_store_dword v0, off, s[0:3], s33 offset:128 ; 4-byte Folded Spill
                                        ; implicit-def: $vgpr0
.LBB6_9053:                             ;   in Loop: Header=BB6_8433 Depth=4
	s_andn2_saveexec_b64 s[28:29], s[28:29]
	s_cbranch_execz .LBB6_9055
; %bb.9054:                             ;   in Loop: Header=BB6_8433 Depth=4
	buffer_store_dword v0, off, s[0:3], s33 offset:128 ; 4-byte Folded Spill
.LBB6_9055:                             ;   in Loop: Header=BB6_8433 Depth=4
	s_or_b64 exec, exec, s[28:29]
.LBB6_9056:                             ;   in Loop: Header=BB6_8433 Depth=4
	s_or_b64 exec, exec, s[38:39]
                                        ; implicit-def: $vgpr0
.LBB6_9057:                             ;   in Loop: Header=BB6_8433 Depth=4
	s_andn2_saveexec_b64 s[28:29], s[36:37]
	s_cbranch_execz .LBB6_9059
; %bb.9058:                             ;   in Loop: Header=BB6_8433 Depth=4
	v_or_b32_e32 v0, 0x7e, v0
	buffer_store_dword v0, off, s[0:3], s33 offset:128 ; 4-byte Folded Spill
.LBB6_9059:                             ;   in Loop: Header=BB6_8433 Depth=4
	s_or_b64 exec, exec, s[28:29]
                                        ; implicit-def: $vgpr1
.LBB6_9060:                             ;   in Loop: Header=BB6_8433 Depth=4
	s_andn2_saveexec_b64 s[28:29], s[34:35]
	s_cbranch_execz .LBB6_9062
; %bb.9061:                             ;   in Loop: Header=BB6_8433 Depth=4
	v_or_b32_sdwa v0, v1, s86 dst_sel:DWORD dst_unused:UNUSED_PAD src0_sel:BYTE_3 src1_sel:DWORD
	buffer_store_dword v0, off, s[0:3], s33 offset:128 ; 4-byte Folded Spill
.LBB6_9062:                             ;   in Loop: Header=BB6_8433 Depth=4
	s_or_b64 exec, exec, s[28:29]
	flat_load_ubyte v0, v[8:9] offset:1536 glc slc
	v_mov_b32_e32 v1, 0
	s_waitcnt vmcnt(0) lgkmcnt(0)
	v_cmp_ne_u16_e32 vcc, 0, v0
	s_and_saveexec_b64 s[28:29], vcc
	s_cbranch_execz .LBB6_9068
; %bb.9063:                             ;   in Loop: Header=BB6_8433 Depth=4
	v_cmp_ne_u16_e32 vcc, s96, v0
	v_bfrev_b32_e32 v1, 1
	s_and_saveexec_b64 s[34:35], vcc
	s_cbranch_execz .LBB6_9067
; %bb.9064:                             ;   in Loop: Header=BB6_8433 Depth=4
	v_and_b32_e32 v14, 0xffff, v0
	v_and_b32_e32 v2, 0x7f, v14
	v_cmp_ne_u32_e32 vcc, s86, v2
	v_mov_b32_e32 v1, 0x7f800001
	s_and_saveexec_b64 s[36:37], vcc
	s_cbranch_execz .LBB6_9066
; %bb.9065:                             ;   in Loop: Header=BB6_8433 Depth=4
	v_and_b32_e32 v3, 7, v14
	v_ffbh_u32_e32 v1, v3
	v_min_u32_e32 v5, 32, v1
	v_subrev_u32_e32 v1, 28, v5
	v_lshrrev_b32_e32 v4, 3, v2
	v_cmp_gt_u32_e32 vcc, 8, v2
	v_lshlrev_b64 v[1:2], v1, v[14:15]
	v_sub_u32_e32 v2, 29, v5
	v_and_b32_e32 v1, 7, v1
	v_cndmask_b32_e32 v2, v4, v2, vcc
	v_cndmask_b32_e32 v1, v3, v1, vcc
	v_lshlrev_b32_e32 v0, 24, v0
	v_bfrev_b32_e32 v3, 60
	v_lshlrev_b32_e32 v1, 20, v1
	v_and_b32_e32 v0, 0x80000000, v0
	v_lshl_add_u32 v2, v2, 23, v3
	v_or3_b32 v1, v0, v2, v1
.LBB6_9066:                             ;   in Loop: Header=BB6_8433 Depth=4
	s_or_b64 exec, exec, s[36:37]
.LBB6_9067:                             ;   in Loop: Header=BB6_8433 Depth=4
	s_or_b64 exec, exec, s[34:35]
.LBB6_9068:                             ;   in Loop: Header=BB6_8433 Depth=4
	s_or_b64 exec, exec, s[28:29]
	v_mul_f32_e32 v1, s9, v1
	v_and_b32_e32 v50, 0x7f800000, v1
	v_cmp_ne_u64_e32 vcc, s[76:77], v[50:51]
                                        ; implicit-def: $vgpr0
                                        ; kill: killed $vgpr0
	s_and_saveexec_b64 s[28:29], vcc
	s_xor_b64 s[34:35], exec, s[28:29]
	s_cbranch_execz .LBB6_9086
; %bb.9069:                             ;   in Loop: Header=BB6_8433 Depth=4
	v_and_b32_e32 v50, 0x7fffffff, v1
	v_cmp_gt_u64_e32 vcc, s[78:79], v[50:51]
	v_and_b32_sdwa v0, v1, s96 dst_sel:DWORD dst_unused:UNUSED_PAD src0_sel:BYTE_3 src1_sel:DWORD
                                        ; implicit-def: $vgpr2
                                        ; kill: killed $vgpr2
	s_and_saveexec_b64 s[28:29], vcc
	s_xor_b64 s[36:37], exec, s[28:29]
	s_cbranch_execz .LBB6_9083
; %bb.9070:                             ;   in Loop: Header=BB6_8433 Depth=4
	v_cmp_ne_u32_e32 vcc, 0, v1
	v_mov_b32_e32 v2, 0
	buffer_store_dword v2, off, s[0:3], s33 offset:124 ; 4-byte Folded Spill
	s_and_saveexec_b64 s[38:39], vcc
	s_cbranch_execz .LBB6_9082
; %bb.9071:                             ;   in Loop: Header=BB6_8433 Depth=4
	v_and_b32_e32 v3, 0x7fffff, v1
	v_bfe_u32 v1, v1, 23, 8
	v_cmp_gt_u32_e64 s[28:29], s97, v1
	v_sub_u32_e32 v2, 0x79, v1
	v_cmp_eq_u32_e32 vcc, 0, v1
	v_cndmask_b32_e64 v2, 0, v2, s[28:29]
	v_mov_b32_e32 v5, 0x78
	v_or_b32_e32 v4, 0x800000, v3
	v_cndmask_b32_e32 v2, v2, v5, vcc
	v_cndmask_b32_e32 v50, v4, v3, vcc
	v_add_u32_e32 v3, 20, v2
	v_lshlrev_b64 v[3:4], v3, -1
	v_add_u32_e32 v5, 19, v2
	v_lshlrev_b64 v[5:6], v5, 1
	v_bfi_b32 v4, v4, 0, 0
	v_bfi_b32 v3, v3, 0, v50
	v_lshrrev_b64 v[14:15], v2, v[50:51]
	v_cmp_eq_u64_e64 s[28:29], v[3:4], v[5:6]
	v_mov_b32_e32 v4, v14
	v_mov_b32_e32 v5, v15
	s_and_saveexec_b64 s[48:49], s[28:29]
; %bb.9072:                             ;   in Loop: Header=BB6_8433 Depth=4
	v_bfe_u32 v3, v14, 20, 1
	v_add_co_u32_e64 v3, s[28:29], v14, v3
	v_add_co_u32_e64 v4, s[28:29], -1, v3
; %bb.9073:                             ;   in Loop: Header=BB6_8433 Depth=4
	s_or_b64 exec, exec, s[48:49]
	v_add_u32_e32 v1, 0xffffff81, v1
	v_mov_b32_e32 v3, 0xffffff82
	v_cndmask_b32_e32 v1, v1, v3, vcc
	v_lshrrev_b32_e32 v3, 23, v14
	v_add3_u32 v3, v2, v1, v3
	v_add_u32_e32 v2, 6, v3
	v_and_b32_e32 v1, 0xfffff, v4
	v_add_u32_e32 v50, v1, v14
	v_cmp_ne_u32_e32 vcc, 0, v2
                                        ; implicit-def: $vgpr14_vgpr15
                                        ; implicit-def: $vgpr1
	s_and_saveexec_b64 s[28:29], vcc
	s_xor_b64 s[28:29], exec, s[28:29]
; %bb.9074:                             ;   in Loop: Header=BB6_8433 Depth=4
	v_cmp_lt_u64_e32 vcc, s[88:89], v[50:51]
	v_add_u32_e32 v1, 7, v3
	v_cndmask_b32_e32 v1, v2, v1, vcc
	v_cndmask_b32_e64 v2, 0, 1, vcc
	v_lshrrev_b64 v[14:15], v2, v[50:51]
; %bb.9075:                             ;   in Loop: Header=BB6_8433 Depth=4
	s_andn2_saveexec_b64 s[28:29], s[28:29]
; %bb.9076:                             ;   in Loop: Header=BB6_8433 Depth=4
	v_mov_b32_e32 v14, v50
	v_bfe_u32 v1, v50, 23, 1
	v_mov_b32_e32 v15, v51
; %bb.9077:                             ;   in Loop: Header=BB6_8433 Depth=4
	s_or_b64 exec, exec, s[28:29]
	v_lshrrev_b64 v[2:3], 20, v[14:15]
	v_cmp_gt_i32_e32 vcc, 16, v1
	v_cndmask_b32_e32 v15, 0, v3, vcc
	v_cndmask_b32_e32 v14, 7, v2, vcc
	v_cmp_ne_u64_e32 vcc, 0, v[14:15]
	v_cmp_ne_u32_e64 s[28:29], 0, v1
	s_or_b64 s[28:29], s[28:29], vcc
                                        ; implicit-def: $vgpr2
                                        ; kill: killed $vgpr2
	s_and_saveexec_b64 vcc, s[28:29]
	s_xor_b64 s[28:29], exec, vcc
	s_cbranch_execz .LBB6_9079
; %bb.9078:                             ;   in Loop: Header=BB6_8433 Depth=4
	v_min_i32_e32 v1, 15, v1
	v_lshl_or_b32 v0, v1, 3, v0
	v_and_or_b32 v0, v14, 7, v0
	buffer_store_dword v0, off, s[0:3], s33 offset:124 ; 4-byte Folded Spill
                                        ; implicit-def: $vgpr0
.LBB6_9079:                             ;   in Loop: Header=BB6_8433 Depth=4
	s_andn2_saveexec_b64 s[28:29], s[28:29]
	s_cbranch_execz .LBB6_9081
; %bb.9080:                             ;   in Loop: Header=BB6_8433 Depth=4
	buffer_store_dword v0, off, s[0:3], s33 offset:124 ; 4-byte Folded Spill
.LBB6_9081:                             ;   in Loop: Header=BB6_8433 Depth=4
	s_or_b64 exec, exec, s[28:29]
.LBB6_9082:                             ;   in Loop: Header=BB6_8433 Depth=4
	s_or_b64 exec, exec, s[38:39]
                                        ; implicit-def: $vgpr0
.LBB6_9083:                             ;   in Loop: Header=BB6_8433 Depth=4
	s_andn2_saveexec_b64 s[28:29], s[36:37]
	s_cbranch_execz .LBB6_9085
; %bb.9084:                             ;   in Loop: Header=BB6_8433 Depth=4
	v_or_b32_e32 v0, 0x7e, v0
	buffer_store_dword v0, off, s[0:3], s33 offset:124 ; 4-byte Folded Spill
.LBB6_9085:                             ;   in Loop: Header=BB6_8433 Depth=4
	s_or_b64 exec, exec, s[28:29]
                                        ; implicit-def: $vgpr1
.LBB6_9086:                             ;   in Loop: Header=BB6_8433 Depth=4
	s_andn2_saveexec_b64 s[28:29], s[34:35]
	s_cbranch_execz .LBB6_9088
; %bb.9087:                             ;   in Loop: Header=BB6_8433 Depth=4
	v_or_b32_sdwa v0, v1, s86 dst_sel:DWORD dst_unused:UNUSED_PAD src0_sel:BYTE_3 src1_sel:DWORD
	buffer_store_dword v0, off, s[0:3], s33 offset:124 ; 4-byte Folded Spill
.LBB6_9088:                             ;   in Loop: Header=BB6_8433 Depth=4
	s_or_b64 exec, exec, s[28:29]
	flat_load_ubyte v0, v[8:9] offset:1600 glc slc
	v_mov_b32_e32 v1, 0
	s_waitcnt vmcnt(0) lgkmcnt(0)
	v_cmp_ne_u16_e32 vcc, 0, v0
	s_and_saveexec_b64 s[28:29], vcc
	s_cbranch_execz .LBB6_9094
; %bb.9089:                             ;   in Loop: Header=BB6_8433 Depth=4
	v_cmp_ne_u16_e32 vcc, s96, v0
	v_bfrev_b32_e32 v1, 1
	s_and_saveexec_b64 s[34:35], vcc
	s_cbranch_execz .LBB6_9093
; %bb.9090:                             ;   in Loop: Header=BB6_8433 Depth=4
	v_and_b32_e32 v14, 0xffff, v0
	v_and_b32_e32 v2, 0x7f, v14
	v_cmp_ne_u32_e32 vcc, s86, v2
	v_mov_b32_e32 v1, 0x7f800001
	s_and_saveexec_b64 s[36:37], vcc
	s_cbranch_execz .LBB6_9092
; %bb.9091:                             ;   in Loop: Header=BB6_8433 Depth=4
	v_and_b32_e32 v3, 7, v14
	v_ffbh_u32_e32 v1, v3
	v_min_u32_e32 v5, 32, v1
	v_subrev_u32_e32 v1, 28, v5
	v_lshrrev_b32_e32 v4, 3, v2
	v_cmp_gt_u32_e32 vcc, 8, v2
	v_lshlrev_b64 v[1:2], v1, v[14:15]
	v_sub_u32_e32 v2, 29, v5
	v_and_b32_e32 v1, 7, v1
	v_cndmask_b32_e32 v2, v4, v2, vcc
	v_cndmask_b32_e32 v1, v3, v1, vcc
	v_lshlrev_b32_e32 v0, 24, v0
	v_bfrev_b32_e32 v3, 60
	v_lshlrev_b32_e32 v1, 20, v1
	v_and_b32_e32 v0, 0x80000000, v0
	v_lshl_add_u32 v2, v2, 23, v3
	v_or3_b32 v1, v0, v2, v1
.LBB6_9092:                             ;   in Loop: Header=BB6_8433 Depth=4
	s_or_b64 exec, exec, s[36:37]
.LBB6_9093:                             ;   in Loop: Header=BB6_8433 Depth=4
	s_or_b64 exec, exec, s[34:35]
.LBB6_9094:                             ;   in Loop: Header=BB6_8433 Depth=4
	s_or_b64 exec, exec, s[28:29]
	v_mul_f32_e32 v1, s9, v1
	v_and_b32_e32 v50, 0x7f800000, v1
	v_cmp_ne_u64_e32 vcc, s[76:77], v[50:51]
                                        ; implicit-def: $vgpr0
                                        ; kill: killed $vgpr0
	s_and_saveexec_b64 s[28:29], vcc
	s_xor_b64 s[34:35], exec, s[28:29]
	s_cbranch_execz .LBB6_9112
; %bb.9095:                             ;   in Loop: Header=BB6_8433 Depth=4
	v_and_b32_e32 v50, 0x7fffffff, v1
	v_cmp_gt_u64_e32 vcc, s[78:79], v[50:51]
	v_and_b32_sdwa v0, v1, s96 dst_sel:DWORD dst_unused:UNUSED_PAD src0_sel:BYTE_3 src1_sel:DWORD
                                        ; implicit-def: $vgpr2
                                        ; kill: killed $vgpr2
	s_and_saveexec_b64 s[28:29], vcc
	s_xor_b64 s[36:37], exec, s[28:29]
	s_cbranch_execz .LBB6_9109
; %bb.9096:                             ;   in Loop: Header=BB6_8433 Depth=4
	v_cmp_ne_u32_e32 vcc, 0, v1
	v_mov_b32_e32 v2, 0
	buffer_store_dword v2, off, s[0:3], s33 offset:120 ; 4-byte Folded Spill
	s_and_saveexec_b64 s[38:39], vcc
	s_cbranch_execz .LBB6_9108
; %bb.9097:                             ;   in Loop: Header=BB6_8433 Depth=4
	v_and_b32_e32 v3, 0x7fffff, v1
	v_bfe_u32 v1, v1, 23, 8
	v_cmp_gt_u32_e64 s[28:29], s97, v1
	v_sub_u32_e32 v2, 0x79, v1
	v_cmp_eq_u32_e32 vcc, 0, v1
	v_cndmask_b32_e64 v2, 0, v2, s[28:29]
	v_mov_b32_e32 v5, 0x78
	v_or_b32_e32 v4, 0x800000, v3
	v_cndmask_b32_e32 v2, v2, v5, vcc
	v_cndmask_b32_e32 v50, v4, v3, vcc
	v_add_u32_e32 v3, 20, v2
	v_lshlrev_b64 v[3:4], v3, -1
	v_add_u32_e32 v5, 19, v2
	v_lshlrev_b64 v[5:6], v5, 1
	v_bfi_b32 v4, v4, 0, 0
	v_bfi_b32 v3, v3, 0, v50
	v_lshrrev_b64 v[14:15], v2, v[50:51]
	v_cmp_eq_u64_e64 s[28:29], v[3:4], v[5:6]
	v_mov_b32_e32 v4, v14
	v_mov_b32_e32 v5, v15
	s_and_saveexec_b64 s[48:49], s[28:29]
; %bb.9098:                             ;   in Loop: Header=BB6_8433 Depth=4
	v_bfe_u32 v3, v14, 20, 1
	v_add_co_u32_e64 v3, s[28:29], v14, v3
	v_add_co_u32_e64 v4, s[28:29], -1, v3
; %bb.9099:                             ;   in Loop: Header=BB6_8433 Depth=4
	s_or_b64 exec, exec, s[48:49]
	v_add_u32_e32 v1, 0xffffff81, v1
	v_mov_b32_e32 v3, 0xffffff82
	v_cndmask_b32_e32 v1, v1, v3, vcc
	v_lshrrev_b32_e32 v3, 23, v14
	v_add3_u32 v3, v2, v1, v3
	v_add_u32_e32 v2, 6, v3
	v_and_b32_e32 v1, 0xfffff, v4
	v_add_u32_e32 v50, v1, v14
	v_cmp_ne_u32_e32 vcc, 0, v2
                                        ; implicit-def: $vgpr14_vgpr15
                                        ; implicit-def: $vgpr1
	s_and_saveexec_b64 s[28:29], vcc
	s_xor_b64 s[28:29], exec, s[28:29]
; %bb.9100:                             ;   in Loop: Header=BB6_8433 Depth=4
	v_cmp_lt_u64_e32 vcc, s[88:89], v[50:51]
	v_add_u32_e32 v1, 7, v3
	v_cndmask_b32_e32 v1, v2, v1, vcc
	v_cndmask_b32_e64 v2, 0, 1, vcc
	v_lshrrev_b64 v[14:15], v2, v[50:51]
; %bb.9101:                             ;   in Loop: Header=BB6_8433 Depth=4
	s_andn2_saveexec_b64 s[28:29], s[28:29]
; %bb.9102:                             ;   in Loop: Header=BB6_8433 Depth=4
	v_mov_b32_e32 v14, v50
	v_bfe_u32 v1, v50, 23, 1
	v_mov_b32_e32 v15, v51
; %bb.9103:                             ;   in Loop: Header=BB6_8433 Depth=4
	s_or_b64 exec, exec, s[28:29]
	v_lshrrev_b64 v[2:3], 20, v[14:15]
	v_cmp_gt_i32_e32 vcc, 16, v1
	v_cndmask_b32_e32 v15, 0, v3, vcc
	v_cndmask_b32_e32 v14, 7, v2, vcc
	v_cmp_ne_u64_e32 vcc, 0, v[14:15]
	v_cmp_ne_u32_e64 s[28:29], 0, v1
	s_or_b64 s[28:29], s[28:29], vcc
                                        ; implicit-def: $vgpr2
                                        ; kill: killed $vgpr2
	s_and_saveexec_b64 vcc, s[28:29]
	s_xor_b64 s[28:29], exec, vcc
	s_cbranch_execz .LBB6_9105
; %bb.9104:                             ;   in Loop: Header=BB6_8433 Depth=4
	v_min_i32_e32 v1, 15, v1
	v_lshl_or_b32 v0, v1, 3, v0
	v_and_or_b32 v0, v14, 7, v0
	buffer_store_dword v0, off, s[0:3], s33 offset:120 ; 4-byte Folded Spill
                                        ; implicit-def: $vgpr0
.LBB6_9105:                             ;   in Loop: Header=BB6_8433 Depth=4
	s_andn2_saveexec_b64 s[28:29], s[28:29]
	s_cbranch_execz .LBB6_9107
; %bb.9106:                             ;   in Loop: Header=BB6_8433 Depth=4
	buffer_store_dword v0, off, s[0:3], s33 offset:120 ; 4-byte Folded Spill
.LBB6_9107:                             ;   in Loop: Header=BB6_8433 Depth=4
	s_or_b64 exec, exec, s[28:29]
.LBB6_9108:                             ;   in Loop: Header=BB6_8433 Depth=4
	s_or_b64 exec, exec, s[38:39]
                                        ; implicit-def: $vgpr0
.LBB6_9109:                             ;   in Loop: Header=BB6_8433 Depth=4
	s_andn2_saveexec_b64 s[28:29], s[36:37]
	s_cbranch_execz .LBB6_9111
; %bb.9110:                             ;   in Loop: Header=BB6_8433 Depth=4
	v_or_b32_e32 v0, 0x7e, v0
	buffer_store_dword v0, off, s[0:3], s33 offset:120 ; 4-byte Folded Spill
.LBB6_9111:                             ;   in Loop: Header=BB6_8433 Depth=4
	s_or_b64 exec, exec, s[28:29]
                                        ; implicit-def: $vgpr1
.LBB6_9112:                             ;   in Loop: Header=BB6_8433 Depth=4
	s_andn2_saveexec_b64 s[28:29], s[34:35]
	s_cbranch_execz .LBB6_9114
; %bb.9113:                             ;   in Loop: Header=BB6_8433 Depth=4
	v_or_b32_sdwa v0, v1, s86 dst_sel:DWORD dst_unused:UNUSED_PAD src0_sel:BYTE_3 src1_sel:DWORD
	buffer_store_dword v0, off, s[0:3], s33 offset:120 ; 4-byte Folded Spill
.LBB6_9114:                             ;   in Loop: Header=BB6_8433 Depth=4
	s_or_b64 exec, exec, s[28:29]
	flat_load_ubyte v0, v[8:9] offset:1664 glc slc
	v_mov_b32_e32 v1, 0
	s_waitcnt vmcnt(0) lgkmcnt(0)
	v_cmp_ne_u16_e32 vcc, 0, v0
	s_and_saveexec_b64 s[28:29], vcc
	s_cbranch_execz .LBB6_9120
; %bb.9115:                             ;   in Loop: Header=BB6_8433 Depth=4
	v_cmp_ne_u16_e32 vcc, s96, v0
	v_bfrev_b32_e32 v1, 1
	s_and_saveexec_b64 s[34:35], vcc
	s_cbranch_execz .LBB6_9119
; %bb.9116:                             ;   in Loop: Header=BB6_8433 Depth=4
	v_and_b32_e32 v14, 0xffff, v0
	v_and_b32_e32 v2, 0x7f, v14
	v_cmp_ne_u32_e32 vcc, s86, v2
	v_mov_b32_e32 v1, 0x7f800001
	s_and_saveexec_b64 s[36:37], vcc
	s_cbranch_execz .LBB6_9118
; %bb.9117:                             ;   in Loop: Header=BB6_8433 Depth=4
	v_and_b32_e32 v3, 7, v14
	v_ffbh_u32_e32 v1, v3
	v_min_u32_e32 v5, 32, v1
	v_subrev_u32_e32 v1, 28, v5
	v_lshrrev_b32_e32 v4, 3, v2
	v_cmp_gt_u32_e32 vcc, 8, v2
	v_lshlrev_b64 v[1:2], v1, v[14:15]
	v_sub_u32_e32 v2, 29, v5
	v_and_b32_e32 v1, 7, v1
	v_cndmask_b32_e32 v2, v4, v2, vcc
	v_cndmask_b32_e32 v1, v3, v1, vcc
	v_lshlrev_b32_e32 v0, 24, v0
	v_bfrev_b32_e32 v3, 60
	v_lshlrev_b32_e32 v1, 20, v1
	v_and_b32_e32 v0, 0x80000000, v0
	v_lshl_add_u32 v2, v2, 23, v3
	v_or3_b32 v1, v0, v2, v1
.LBB6_9118:                             ;   in Loop: Header=BB6_8433 Depth=4
	s_or_b64 exec, exec, s[36:37]
.LBB6_9119:                             ;   in Loop: Header=BB6_8433 Depth=4
	s_or_b64 exec, exec, s[34:35]
.LBB6_9120:                             ;   in Loop: Header=BB6_8433 Depth=4
	s_or_b64 exec, exec, s[28:29]
	v_mul_f32_e32 v1, s9, v1
	v_and_b32_e32 v50, 0x7f800000, v1
	v_cmp_ne_u64_e32 vcc, s[76:77], v[50:51]
                                        ; implicit-def: $vgpr0
                                        ; kill: killed $vgpr0
	s_and_saveexec_b64 s[28:29], vcc
	s_xor_b64 s[34:35], exec, s[28:29]
	s_cbranch_execz .LBB6_9138
; %bb.9121:                             ;   in Loop: Header=BB6_8433 Depth=4
	v_and_b32_e32 v50, 0x7fffffff, v1
	v_cmp_gt_u64_e32 vcc, s[78:79], v[50:51]
	v_and_b32_sdwa v0, v1, s96 dst_sel:DWORD dst_unused:UNUSED_PAD src0_sel:BYTE_3 src1_sel:DWORD
                                        ; implicit-def: $vgpr2
                                        ; kill: killed $vgpr2
	s_and_saveexec_b64 s[28:29], vcc
	s_xor_b64 s[36:37], exec, s[28:29]
	s_cbranch_execz .LBB6_9135
; %bb.9122:                             ;   in Loop: Header=BB6_8433 Depth=4
	v_cmp_ne_u32_e32 vcc, 0, v1
	v_mov_b32_e32 v2, 0
	buffer_store_dword v2, off, s[0:3], s33 offset:116 ; 4-byte Folded Spill
	s_and_saveexec_b64 s[38:39], vcc
	s_cbranch_execz .LBB6_9134
; %bb.9123:                             ;   in Loop: Header=BB6_8433 Depth=4
	v_and_b32_e32 v3, 0x7fffff, v1
	v_bfe_u32 v1, v1, 23, 8
	v_cmp_gt_u32_e64 s[28:29], s97, v1
	v_sub_u32_e32 v2, 0x79, v1
	v_cmp_eq_u32_e32 vcc, 0, v1
	v_cndmask_b32_e64 v2, 0, v2, s[28:29]
	v_mov_b32_e32 v5, 0x78
	v_or_b32_e32 v4, 0x800000, v3
	v_cndmask_b32_e32 v2, v2, v5, vcc
	v_cndmask_b32_e32 v50, v4, v3, vcc
	v_add_u32_e32 v3, 20, v2
	v_lshlrev_b64 v[3:4], v3, -1
	v_add_u32_e32 v5, 19, v2
	v_lshlrev_b64 v[5:6], v5, 1
	v_bfi_b32 v4, v4, 0, 0
	v_bfi_b32 v3, v3, 0, v50
	v_lshrrev_b64 v[14:15], v2, v[50:51]
	v_cmp_eq_u64_e64 s[28:29], v[3:4], v[5:6]
	v_mov_b32_e32 v4, v14
	v_mov_b32_e32 v5, v15
	s_and_saveexec_b64 s[48:49], s[28:29]
; %bb.9124:                             ;   in Loop: Header=BB6_8433 Depth=4
	v_bfe_u32 v3, v14, 20, 1
	v_add_co_u32_e64 v3, s[28:29], v14, v3
	v_add_co_u32_e64 v4, s[28:29], -1, v3
; %bb.9125:                             ;   in Loop: Header=BB6_8433 Depth=4
	s_or_b64 exec, exec, s[48:49]
	v_add_u32_e32 v1, 0xffffff81, v1
	v_mov_b32_e32 v3, 0xffffff82
	v_cndmask_b32_e32 v1, v1, v3, vcc
	v_lshrrev_b32_e32 v3, 23, v14
	v_add3_u32 v3, v2, v1, v3
	v_add_u32_e32 v2, 6, v3
	v_and_b32_e32 v1, 0xfffff, v4
	v_add_u32_e32 v50, v1, v14
	v_cmp_ne_u32_e32 vcc, 0, v2
                                        ; implicit-def: $vgpr14_vgpr15
                                        ; implicit-def: $vgpr1
	s_and_saveexec_b64 s[28:29], vcc
	s_xor_b64 s[28:29], exec, s[28:29]
; %bb.9126:                             ;   in Loop: Header=BB6_8433 Depth=4
	v_cmp_lt_u64_e32 vcc, s[88:89], v[50:51]
	v_add_u32_e32 v1, 7, v3
	v_cndmask_b32_e32 v1, v2, v1, vcc
	v_cndmask_b32_e64 v2, 0, 1, vcc
	v_lshrrev_b64 v[14:15], v2, v[50:51]
; %bb.9127:                             ;   in Loop: Header=BB6_8433 Depth=4
	s_andn2_saveexec_b64 s[28:29], s[28:29]
; %bb.9128:                             ;   in Loop: Header=BB6_8433 Depth=4
	v_mov_b32_e32 v14, v50
	v_bfe_u32 v1, v50, 23, 1
	v_mov_b32_e32 v15, v51
; %bb.9129:                             ;   in Loop: Header=BB6_8433 Depth=4
	s_or_b64 exec, exec, s[28:29]
	v_lshrrev_b64 v[2:3], 20, v[14:15]
	v_cmp_gt_i32_e32 vcc, 16, v1
	v_cndmask_b32_e32 v15, 0, v3, vcc
	v_cndmask_b32_e32 v14, 7, v2, vcc
	v_cmp_ne_u64_e32 vcc, 0, v[14:15]
	v_cmp_ne_u32_e64 s[28:29], 0, v1
	s_or_b64 s[28:29], s[28:29], vcc
                                        ; implicit-def: $vgpr2
                                        ; kill: killed $vgpr2
	s_and_saveexec_b64 vcc, s[28:29]
	s_xor_b64 s[28:29], exec, vcc
	s_cbranch_execz .LBB6_9131
; %bb.9130:                             ;   in Loop: Header=BB6_8433 Depth=4
	v_min_i32_e32 v1, 15, v1
	v_lshl_or_b32 v0, v1, 3, v0
	v_and_or_b32 v0, v14, 7, v0
	buffer_store_dword v0, off, s[0:3], s33 offset:116 ; 4-byte Folded Spill
                                        ; implicit-def: $vgpr0
.LBB6_9131:                             ;   in Loop: Header=BB6_8433 Depth=4
	s_andn2_saveexec_b64 s[28:29], s[28:29]
	s_cbranch_execz .LBB6_9133
; %bb.9132:                             ;   in Loop: Header=BB6_8433 Depth=4
	buffer_store_dword v0, off, s[0:3], s33 offset:116 ; 4-byte Folded Spill
.LBB6_9133:                             ;   in Loop: Header=BB6_8433 Depth=4
	s_or_b64 exec, exec, s[28:29]
.LBB6_9134:                             ;   in Loop: Header=BB6_8433 Depth=4
	s_or_b64 exec, exec, s[38:39]
                                        ; implicit-def: $vgpr0
.LBB6_9135:                             ;   in Loop: Header=BB6_8433 Depth=4
	s_andn2_saveexec_b64 s[28:29], s[36:37]
	s_cbranch_execz .LBB6_9137
; %bb.9136:                             ;   in Loop: Header=BB6_8433 Depth=4
	v_or_b32_e32 v0, 0x7e, v0
	buffer_store_dword v0, off, s[0:3], s33 offset:116 ; 4-byte Folded Spill
.LBB6_9137:                             ;   in Loop: Header=BB6_8433 Depth=4
	s_or_b64 exec, exec, s[28:29]
                                        ; implicit-def: $vgpr1
.LBB6_9138:                             ;   in Loop: Header=BB6_8433 Depth=4
	s_andn2_saveexec_b64 s[28:29], s[34:35]
	s_cbranch_execz .LBB6_9140
; %bb.9139:                             ;   in Loop: Header=BB6_8433 Depth=4
	v_or_b32_sdwa v0, v1, s86 dst_sel:DWORD dst_unused:UNUSED_PAD src0_sel:BYTE_3 src1_sel:DWORD
	buffer_store_dword v0, off, s[0:3], s33 offset:116 ; 4-byte Folded Spill
.LBB6_9140:                             ;   in Loop: Header=BB6_8433 Depth=4
	s_or_b64 exec, exec, s[28:29]
	flat_load_ubyte v0, v[8:9] offset:1728 glc slc
	v_mov_b32_e32 v1, 0
	s_waitcnt vmcnt(0) lgkmcnt(0)
	v_cmp_ne_u16_e32 vcc, 0, v0
	s_and_saveexec_b64 s[28:29], vcc
	s_cbranch_execz .LBB6_9146
; %bb.9141:                             ;   in Loop: Header=BB6_8433 Depth=4
	v_cmp_ne_u16_e32 vcc, s96, v0
	v_bfrev_b32_e32 v1, 1
	s_and_saveexec_b64 s[34:35], vcc
	s_cbranch_execz .LBB6_9145
; %bb.9142:                             ;   in Loop: Header=BB6_8433 Depth=4
	v_and_b32_e32 v14, 0xffff, v0
	v_and_b32_e32 v2, 0x7f, v14
	v_cmp_ne_u32_e32 vcc, s86, v2
	v_mov_b32_e32 v1, 0x7f800001
	s_and_saveexec_b64 s[36:37], vcc
	s_cbranch_execz .LBB6_9144
; %bb.9143:                             ;   in Loop: Header=BB6_8433 Depth=4
	v_and_b32_e32 v3, 7, v14
	v_ffbh_u32_e32 v1, v3
	v_min_u32_e32 v5, 32, v1
	v_subrev_u32_e32 v1, 28, v5
	v_lshrrev_b32_e32 v4, 3, v2
	v_cmp_gt_u32_e32 vcc, 8, v2
	v_lshlrev_b64 v[1:2], v1, v[14:15]
	v_sub_u32_e32 v2, 29, v5
	v_and_b32_e32 v1, 7, v1
	v_cndmask_b32_e32 v2, v4, v2, vcc
	v_cndmask_b32_e32 v1, v3, v1, vcc
	v_lshlrev_b32_e32 v0, 24, v0
	v_bfrev_b32_e32 v3, 60
	v_lshlrev_b32_e32 v1, 20, v1
	v_and_b32_e32 v0, 0x80000000, v0
	v_lshl_add_u32 v2, v2, 23, v3
	v_or3_b32 v1, v0, v2, v1
.LBB6_9144:                             ;   in Loop: Header=BB6_8433 Depth=4
	s_or_b64 exec, exec, s[36:37]
.LBB6_9145:                             ;   in Loop: Header=BB6_8433 Depth=4
	s_or_b64 exec, exec, s[34:35]
.LBB6_9146:                             ;   in Loop: Header=BB6_8433 Depth=4
	s_or_b64 exec, exec, s[28:29]
	v_mul_f32_e32 v1, s9, v1
	v_and_b32_e32 v50, 0x7f800000, v1
	v_cmp_ne_u64_e32 vcc, s[76:77], v[50:51]
                                        ; implicit-def: $vgpr0
                                        ; kill: killed $vgpr0
	s_and_saveexec_b64 s[28:29], vcc
	s_xor_b64 s[34:35], exec, s[28:29]
	s_cbranch_execz .LBB6_9164
; %bb.9147:                             ;   in Loop: Header=BB6_8433 Depth=4
	v_and_b32_e32 v50, 0x7fffffff, v1
	v_cmp_gt_u64_e32 vcc, s[78:79], v[50:51]
	v_and_b32_sdwa v0, v1, s96 dst_sel:DWORD dst_unused:UNUSED_PAD src0_sel:BYTE_3 src1_sel:DWORD
                                        ; implicit-def: $vgpr2
                                        ; kill: killed $vgpr2
	s_and_saveexec_b64 s[28:29], vcc
	s_xor_b64 s[36:37], exec, s[28:29]
	s_cbranch_execz .LBB6_9161
; %bb.9148:                             ;   in Loop: Header=BB6_8433 Depth=4
	v_cmp_ne_u32_e32 vcc, 0, v1
	v_mov_b32_e32 v2, 0
	buffer_store_dword v2, off, s[0:3], s33 offset:112 ; 4-byte Folded Spill
	s_and_saveexec_b64 s[38:39], vcc
	s_cbranch_execz .LBB6_9160
; %bb.9149:                             ;   in Loop: Header=BB6_8433 Depth=4
	v_and_b32_e32 v3, 0x7fffff, v1
	v_bfe_u32 v1, v1, 23, 8
	v_cmp_gt_u32_e64 s[28:29], s97, v1
	v_sub_u32_e32 v2, 0x79, v1
	v_cmp_eq_u32_e32 vcc, 0, v1
	v_cndmask_b32_e64 v2, 0, v2, s[28:29]
	v_mov_b32_e32 v5, 0x78
	v_or_b32_e32 v4, 0x800000, v3
	v_cndmask_b32_e32 v2, v2, v5, vcc
	v_cndmask_b32_e32 v50, v4, v3, vcc
	v_add_u32_e32 v3, 20, v2
	v_lshlrev_b64 v[3:4], v3, -1
	v_add_u32_e32 v5, 19, v2
	v_lshlrev_b64 v[5:6], v5, 1
	v_bfi_b32 v4, v4, 0, 0
	v_bfi_b32 v3, v3, 0, v50
	v_lshrrev_b64 v[14:15], v2, v[50:51]
	v_cmp_eq_u64_e64 s[28:29], v[3:4], v[5:6]
	v_mov_b32_e32 v4, v14
	v_mov_b32_e32 v5, v15
	s_and_saveexec_b64 s[48:49], s[28:29]
; %bb.9150:                             ;   in Loop: Header=BB6_8433 Depth=4
	v_bfe_u32 v3, v14, 20, 1
	v_add_co_u32_e64 v3, s[28:29], v14, v3
	v_add_co_u32_e64 v4, s[28:29], -1, v3
; %bb.9151:                             ;   in Loop: Header=BB6_8433 Depth=4
	s_or_b64 exec, exec, s[48:49]
	v_add_u32_e32 v1, 0xffffff81, v1
	v_mov_b32_e32 v3, 0xffffff82
	v_cndmask_b32_e32 v1, v1, v3, vcc
	v_lshrrev_b32_e32 v3, 23, v14
	v_add3_u32 v3, v2, v1, v3
	v_add_u32_e32 v2, 6, v3
	v_and_b32_e32 v1, 0xfffff, v4
	v_add_u32_e32 v50, v1, v14
	v_cmp_ne_u32_e32 vcc, 0, v2
                                        ; implicit-def: $vgpr14_vgpr15
                                        ; implicit-def: $vgpr1
	s_and_saveexec_b64 s[28:29], vcc
	s_xor_b64 s[28:29], exec, s[28:29]
; %bb.9152:                             ;   in Loop: Header=BB6_8433 Depth=4
	v_cmp_lt_u64_e32 vcc, s[88:89], v[50:51]
	v_add_u32_e32 v1, 7, v3
	v_cndmask_b32_e32 v1, v2, v1, vcc
	v_cndmask_b32_e64 v2, 0, 1, vcc
	v_lshrrev_b64 v[14:15], v2, v[50:51]
; %bb.9153:                             ;   in Loop: Header=BB6_8433 Depth=4
	s_andn2_saveexec_b64 s[28:29], s[28:29]
; %bb.9154:                             ;   in Loop: Header=BB6_8433 Depth=4
	v_mov_b32_e32 v14, v50
	v_bfe_u32 v1, v50, 23, 1
	v_mov_b32_e32 v15, v51
; %bb.9155:                             ;   in Loop: Header=BB6_8433 Depth=4
	s_or_b64 exec, exec, s[28:29]
	v_lshrrev_b64 v[2:3], 20, v[14:15]
	v_cmp_gt_i32_e32 vcc, 16, v1
	v_cndmask_b32_e32 v15, 0, v3, vcc
	v_cndmask_b32_e32 v14, 7, v2, vcc
	v_cmp_ne_u64_e32 vcc, 0, v[14:15]
	v_cmp_ne_u32_e64 s[28:29], 0, v1
	s_or_b64 s[28:29], s[28:29], vcc
                                        ; implicit-def: $vgpr2
                                        ; kill: killed $vgpr2
	s_and_saveexec_b64 vcc, s[28:29]
	s_xor_b64 s[28:29], exec, vcc
	s_cbranch_execz .LBB6_9157
; %bb.9156:                             ;   in Loop: Header=BB6_8433 Depth=4
	v_min_i32_e32 v1, 15, v1
	v_lshl_or_b32 v0, v1, 3, v0
	v_and_or_b32 v0, v14, 7, v0
	buffer_store_dword v0, off, s[0:3], s33 offset:112 ; 4-byte Folded Spill
                                        ; implicit-def: $vgpr0
.LBB6_9157:                             ;   in Loop: Header=BB6_8433 Depth=4
	s_andn2_saveexec_b64 s[28:29], s[28:29]
	s_cbranch_execz .LBB6_9159
; %bb.9158:                             ;   in Loop: Header=BB6_8433 Depth=4
	buffer_store_dword v0, off, s[0:3], s33 offset:112 ; 4-byte Folded Spill
.LBB6_9159:                             ;   in Loop: Header=BB6_8433 Depth=4
	s_or_b64 exec, exec, s[28:29]
.LBB6_9160:                             ;   in Loop: Header=BB6_8433 Depth=4
	s_or_b64 exec, exec, s[38:39]
                                        ; implicit-def: $vgpr0
.LBB6_9161:                             ;   in Loop: Header=BB6_8433 Depth=4
	s_andn2_saveexec_b64 s[28:29], s[36:37]
	s_cbranch_execz .LBB6_9163
; %bb.9162:                             ;   in Loop: Header=BB6_8433 Depth=4
	v_or_b32_e32 v0, 0x7e, v0
	buffer_store_dword v0, off, s[0:3], s33 offset:112 ; 4-byte Folded Spill
.LBB6_9163:                             ;   in Loop: Header=BB6_8433 Depth=4
	s_or_b64 exec, exec, s[28:29]
                                        ; implicit-def: $vgpr1
.LBB6_9164:                             ;   in Loop: Header=BB6_8433 Depth=4
	s_andn2_saveexec_b64 s[28:29], s[34:35]
	s_cbranch_execz .LBB6_9166
; %bb.9165:                             ;   in Loop: Header=BB6_8433 Depth=4
	v_or_b32_sdwa v0, v1, s86 dst_sel:DWORD dst_unused:UNUSED_PAD src0_sel:BYTE_3 src1_sel:DWORD
	buffer_store_dword v0, off, s[0:3], s33 offset:112 ; 4-byte Folded Spill
.LBB6_9166:                             ;   in Loop: Header=BB6_8433 Depth=4
	s_or_b64 exec, exec, s[28:29]
	flat_load_ubyte v0, v[8:9] offset:1792 glc slc
	v_mov_b32_e32 v1, 0
	s_waitcnt vmcnt(0) lgkmcnt(0)
	v_cmp_ne_u16_e32 vcc, 0, v0
	s_and_saveexec_b64 s[28:29], vcc
	s_cbranch_execz .LBB6_9172
; %bb.9167:                             ;   in Loop: Header=BB6_8433 Depth=4
	v_cmp_ne_u16_e32 vcc, s96, v0
	v_bfrev_b32_e32 v1, 1
	s_and_saveexec_b64 s[34:35], vcc
	s_cbranch_execz .LBB6_9171
; %bb.9168:                             ;   in Loop: Header=BB6_8433 Depth=4
	v_and_b32_e32 v14, 0xffff, v0
	v_and_b32_e32 v2, 0x7f, v14
	v_cmp_ne_u32_e32 vcc, s86, v2
	v_mov_b32_e32 v1, 0x7f800001
	s_and_saveexec_b64 s[36:37], vcc
	s_cbranch_execz .LBB6_9170
; %bb.9169:                             ;   in Loop: Header=BB6_8433 Depth=4
	v_and_b32_e32 v3, 7, v14
	v_ffbh_u32_e32 v1, v3
	v_min_u32_e32 v5, 32, v1
	v_subrev_u32_e32 v1, 28, v5
	v_lshrrev_b32_e32 v4, 3, v2
	v_cmp_gt_u32_e32 vcc, 8, v2
	v_lshlrev_b64 v[1:2], v1, v[14:15]
	v_sub_u32_e32 v2, 29, v5
	v_and_b32_e32 v1, 7, v1
	v_cndmask_b32_e32 v2, v4, v2, vcc
	v_cndmask_b32_e32 v1, v3, v1, vcc
	v_lshlrev_b32_e32 v0, 24, v0
	v_bfrev_b32_e32 v3, 60
	v_lshlrev_b32_e32 v1, 20, v1
	v_and_b32_e32 v0, 0x80000000, v0
	v_lshl_add_u32 v2, v2, 23, v3
	v_or3_b32 v1, v0, v2, v1
.LBB6_9170:                             ;   in Loop: Header=BB6_8433 Depth=4
	s_or_b64 exec, exec, s[36:37]
.LBB6_9171:                             ;   in Loop: Header=BB6_8433 Depth=4
	s_or_b64 exec, exec, s[34:35]
.LBB6_9172:                             ;   in Loop: Header=BB6_8433 Depth=4
	s_or_b64 exec, exec, s[28:29]
	v_mul_f32_e32 v1, s9, v1
	v_and_b32_e32 v50, 0x7f800000, v1
	v_cmp_ne_u64_e32 vcc, s[76:77], v[50:51]
                                        ; implicit-def: $vgpr0
                                        ; kill: killed $vgpr0
	s_and_saveexec_b64 s[28:29], vcc
	s_xor_b64 s[34:35], exec, s[28:29]
	s_cbranch_execz .LBB6_9190
; %bb.9173:                             ;   in Loop: Header=BB6_8433 Depth=4
	v_and_b32_e32 v50, 0x7fffffff, v1
	v_cmp_gt_u64_e32 vcc, s[78:79], v[50:51]
	v_and_b32_sdwa v0, v1, s96 dst_sel:DWORD dst_unused:UNUSED_PAD src0_sel:BYTE_3 src1_sel:DWORD
                                        ; implicit-def: $vgpr2
                                        ; kill: killed $vgpr2
	s_and_saveexec_b64 s[28:29], vcc
	s_xor_b64 s[36:37], exec, s[28:29]
	s_cbranch_execz .LBB6_9187
; %bb.9174:                             ;   in Loop: Header=BB6_8433 Depth=4
	v_cmp_ne_u32_e32 vcc, 0, v1
	v_mov_b32_e32 v2, 0
	buffer_store_dword v2, off, s[0:3], s33 offset:108 ; 4-byte Folded Spill
	s_and_saveexec_b64 s[38:39], vcc
	s_cbranch_execz .LBB6_9186
; %bb.9175:                             ;   in Loop: Header=BB6_8433 Depth=4
	v_and_b32_e32 v3, 0x7fffff, v1
	v_bfe_u32 v1, v1, 23, 8
	v_cmp_gt_u32_e64 s[28:29], s97, v1
	v_sub_u32_e32 v2, 0x79, v1
	v_cmp_eq_u32_e32 vcc, 0, v1
	v_cndmask_b32_e64 v2, 0, v2, s[28:29]
	v_mov_b32_e32 v5, 0x78
	v_or_b32_e32 v4, 0x800000, v3
	v_cndmask_b32_e32 v2, v2, v5, vcc
	v_cndmask_b32_e32 v50, v4, v3, vcc
	v_add_u32_e32 v3, 20, v2
	v_lshlrev_b64 v[3:4], v3, -1
	v_add_u32_e32 v5, 19, v2
	v_lshlrev_b64 v[5:6], v5, 1
	v_bfi_b32 v4, v4, 0, 0
	v_bfi_b32 v3, v3, 0, v50
	v_lshrrev_b64 v[14:15], v2, v[50:51]
	v_cmp_eq_u64_e64 s[28:29], v[3:4], v[5:6]
	v_mov_b32_e32 v4, v14
	v_mov_b32_e32 v5, v15
	s_and_saveexec_b64 s[48:49], s[28:29]
; %bb.9176:                             ;   in Loop: Header=BB6_8433 Depth=4
	v_bfe_u32 v3, v14, 20, 1
	v_add_co_u32_e64 v3, s[28:29], v14, v3
	v_add_co_u32_e64 v4, s[28:29], -1, v3
; %bb.9177:                             ;   in Loop: Header=BB6_8433 Depth=4
	s_or_b64 exec, exec, s[48:49]
	v_add_u32_e32 v1, 0xffffff81, v1
	v_mov_b32_e32 v3, 0xffffff82
	v_cndmask_b32_e32 v1, v1, v3, vcc
	v_lshrrev_b32_e32 v3, 23, v14
	v_add3_u32 v3, v2, v1, v3
	v_add_u32_e32 v2, 6, v3
	v_and_b32_e32 v1, 0xfffff, v4
	v_add_u32_e32 v50, v1, v14
	v_cmp_ne_u32_e32 vcc, 0, v2
                                        ; implicit-def: $vgpr14_vgpr15
                                        ; implicit-def: $vgpr1
	s_and_saveexec_b64 s[28:29], vcc
	s_xor_b64 s[28:29], exec, s[28:29]
; %bb.9178:                             ;   in Loop: Header=BB6_8433 Depth=4
	v_cmp_lt_u64_e32 vcc, s[88:89], v[50:51]
	v_add_u32_e32 v1, 7, v3
	v_cndmask_b32_e32 v1, v2, v1, vcc
	v_cndmask_b32_e64 v2, 0, 1, vcc
	v_lshrrev_b64 v[14:15], v2, v[50:51]
; %bb.9179:                             ;   in Loop: Header=BB6_8433 Depth=4
	s_andn2_saveexec_b64 s[28:29], s[28:29]
; %bb.9180:                             ;   in Loop: Header=BB6_8433 Depth=4
	v_mov_b32_e32 v14, v50
	v_bfe_u32 v1, v50, 23, 1
	v_mov_b32_e32 v15, v51
; %bb.9181:                             ;   in Loop: Header=BB6_8433 Depth=4
	s_or_b64 exec, exec, s[28:29]
	v_lshrrev_b64 v[2:3], 20, v[14:15]
	v_cmp_gt_i32_e32 vcc, 16, v1
	v_cndmask_b32_e32 v15, 0, v3, vcc
	v_cndmask_b32_e32 v14, 7, v2, vcc
	v_cmp_ne_u64_e32 vcc, 0, v[14:15]
	v_cmp_ne_u32_e64 s[28:29], 0, v1
	s_or_b64 s[28:29], s[28:29], vcc
                                        ; implicit-def: $vgpr2
                                        ; kill: killed $vgpr2
	s_and_saveexec_b64 vcc, s[28:29]
	s_xor_b64 s[28:29], exec, vcc
	s_cbranch_execz .LBB6_9183
; %bb.9182:                             ;   in Loop: Header=BB6_8433 Depth=4
	v_min_i32_e32 v1, 15, v1
	v_lshl_or_b32 v0, v1, 3, v0
	v_and_or_b32 v0, v14, 7, v0
	buffer_store_dword v0, off, s[0:3], s33 offset:108 ; 4-byte Folded Spill
                                        ; implicit-def: $vgpr0
.LBB6_9183:                             ;   in Loop: Header=BB6_8433 Depth=4
	s_andn2_saveexec_b64 s[28:29], s[28:29]
	s_cbranch_execz .LBB6_9185
; %bb.9184:                             ;   in Loop: Header=BB6_8433 Depth=4
	buffer_store_dword v0, off, s[0:3], s33 offset:108 ; 4-byte Folded Spill
.LBB6_9185:                             ;   in Loop: Header=BB6_8433 Depth=4
	s_or_b64 exec, exec, s[28:29]
.LBB6_9186:                             ;   in Loop: Header=BB6_8433 Depth=4
	s_or_b64 exec, exec, s[38:39]
                                        ; implicit-def: $vgpr0
.LBB6_9187:                             ;   in Loop: Header=BB6_8433 Depth=4
	s_andn2_saveexec_b64 s[28:29], s[36:37]
	s_cbranch_execz .LBB6_9189
; %bb.9188:                             ;   in Loop: Header=BB6_8433 Depth=4
	v_or_b32_e32 v0, 0x7e, v0
	buffer_store_dword v0, off, s[0:3], s33 offset:108 ; 4-byte Folded Spill
.LBB6_9189:                             ;   in Loop: Header=BB6_8433 Depth=4
	s_or_b64 exec, exec, s[28:29]
                                        ; implicit-def: $vgpr1
.LBB6_9190:                             ;   in Loop: Header=BB6_8433 Depth=4
	s_andn2_saveexec_b64 s[28:29], s[34:35]
	s_cbranch_execz .LBB6_9192
; %bb.9191:                             ;   in Loop: Header=BB6_8433 Depth=4
	v_or_b32_sdwa v0, v1, s86 dst_sel:DWORD dst_unused:UNUSED_PAD src0_sel:BYTE_3 src1_sel:DWORD
	buffer_store_dword v0, off, s[0:3], s33 offset:108 ; 4-byte Folded Spill
.LBB6_9192:                             ;   in Loop: Header=BB6_8433 Depth=4
	s_or_b64 exec, exec, s[28:29]
	flat_load_ubyte v0, v[8:9] offset:1856 glc slc
	v_mov_b32_e32 v1, 0
	s_waitcnt vmcnt(0) lgkmcnt(0)
	v_cmp_ne_u16_e32 vcc, 0, v0
	s_and_saveexec_b64 s[28:29], vcc
	s_cbranch_execz .LBB6_9198
; %bb.9193:                             ;   in Loop: Header=BB6_8433 Depth=4
	v_cmp_ne_u16_e32 vcc, s96, v0
	v_bfrev_b32_e32 v1, 1
	s_and_saveexec_b64 s[34:35], vcc
	s_cbranch_execz .LBB6_9197
; %bb.9194:                             ;   in Loop: Header=BB6_8433 Depth=4
	v_and_b32_e32 v14, 0xffff, v0
	v_and_b32_e32 v2, 0x7f, v14
	v_cmp_ne_u32_e32 vcc, s86, v2
	v_mov_b32_e32 v1, 0x7f800001
	s_and_saveexec_b64 s[36:37], vcc
	s_cbranch_execz .LBB6_9196
; %bb.9195:                             ;   in Loop: Header=BB6_8433 Depth=4
	v_and_b32_e32 v3, 7, v14
	v_ffbh_u32_e32 v1, v3
	v_min_u32_e32 v5, 32, v1
	v_subrev_u32_e32 v1, 28, v5
	v_lshrrev_b32_e32 v4, 3, v2
	v_cmp_gt_u32_e32 vcc, 8, v2
	v_lshlrev_b64 v[1:2], v1, v[14:15]
	v_sub_u32_e32 v2, 29, v5
	v_and_b32_e32 v1, 7, v1
	v_cndmask_b32_e32 v2, v4, v2, vcc
	v_cndmask_b32_e32 v1, v3, v1, vcc
	v_lshlrev_b32_e32 v0, 24, v0
	v_bfrev_b32_e32 v3, 60
	v_lshlrev_b32_e32 v1, 20, v1
	v_and_b32_e32 v0, 0x80000000, v0
	v_lshl_add_u32 v2, v2, 23, v3
	v_or3_b32 v1, v0, v2, v1
.LBB6_9196:                             ;   in Loop: Header=BB6_8433 Depth=4
	s_or_b64 exec, exec, s[36:37]
.LBB6_9197:                             ;   in Loop: Header=BB6_8433 Depth=4
	s_or_b64 exec, exec, s[34:35]
.LBB6_9198:                             ;   in Loop: Header=BB6_8433 Depth=4
	s_or_b64 exec, exec, s[28:29]
	v_mul_f32_e32 v1, s9, v1
	v_and_b32_e32 v50, 0x7f800000, v1
	v_cmp_ne_u64_e32 vcc, s[76:77], v[50:51]
                                        ; implicit-def: $vgpr0
                                        ; kill: killed $vgpr0
	s_and_saveexec_b64 s[28:29], vcc
	s_xor_b64 s[34:35], exec, s[28:29]
	s_cbranch_execz .LBB6_9216
; %bb.9199:                             ;   in Loop: Header=BB6_8433 Depth=4
	v_and_b32_e32 v50, 0x7fffffff, v1
	v_cmp_gt_u64_e32 vcc, s[78:79], v[50:51]
	v_and_b32_sdwa v0, v1, s96 dst_sel:DWORD dst_unused:UNUSED_PAD src0_sel:BYTE_3 src1_sel:DWORD
                                        ; implicit-def: $vgpr2
                                        ; kill: killed $vgpr2
	s_and_saveexec_b64 s[28:29], vcc
	s_xor_b64 s[36:37], exec, s[28:29]
	s_cbranch_execz .LBB6_9213
; %bb.9200:                             ;   in Loop: Header=BB6_8433 Depth=4
	v_cmp_ne_u32_e32 vcc, 0, v1
	v_mov_b32_e32 v2, 0
	buffer_store_dword v2, off, s[0:3], s33 offset:104 ; 4-byte Folded Spill
	s_and_saveexec_b64 s[38:39], vcc
	s_cbranch_execz .LBB6_9212
; %bb.9201:                             ;   in Loop: Header=BB6_8433 Depth=4
	v_and_b32_e32 v3, 0x7fffff, v1
	v_bfe_u32 v1, v1, 23, 8
	v_cmp_gt_u32_e64 s[28:29], s97, v1
	v_sub_u32_e32 v2, 0x79, v1
	v_cmp_eq_u32_e32 vcc, 0, v1
	v_cndmask_b32_e64 v2, 0, v2, s[28:29]
	v_mov_b32_e32 v5, 0x78
	v_or_b32_e32 v4, 0x800000, v3
	v_cndmask_b32_e32 v2, v2, v5, vcc
	v_cndmask_b32_e32 v50, v4, v3, vcc
	v_add_u32_e32 v3, 20, v2
	v_lshlrev_b64 v[3:4], v3, -1
	v_add_u32_e32 v5, 19, v2
	v_lshlrev_b64 v[5:6], v5, 1
	v_bfi_b32 v4, v4, 0, 0
	v_bfi_b32 v3, v3, 0, v50
	v_lshrrev_b64 v[14:15], v2, v[50:51]
	v_cmp_eq_u64_e64 s[28:29], v[3:4], v[5:6]
	v_mov_b32_e32 v4, v14
	v_mov_b32_e32 v5, v15
	s_and_saveexec_b64 s[48:49], s[28:29]
; %bb.9202:                             ;   in Loop: Header=BB6_8433 Depth=4
	v_bfe_u32 v3, v14, 20, 1
	v_add_co_u32_e64 v3, s[28:29], v14, v3
	v_add_co_u32_e64 v4, s[28:29], -1, v3
; %bb.9203:                             ;   in Loop: Header=BB6_8433 Depth=4
	s_or_b64 exec, exec, s[48:49]
	v_add_u32_e32 v1, 0xffffff81, v1
	v_mov_b32_e32 v3, 0xffffff82
	v_cndmask_b32_e32 v1, v1, v3, vcc
	v_lshrrev_b32_e32 v3, 23, v14
	v_add3_u32 v3, v2, v1, v3
	v_add_u32_e32 v2, 6, v3
	v_and_b32_e32 v1, 0xfffff, v4
	v_add_u32_e32 v50, v1, v14
	v_cmp_ne_u32_e32 vcc, 0, v2
                                        ; implicit-def: $vgpr14_vgpr15
                                        ; implicit-def: $vgpr1
	s_and_saveexec_b64 s[28:29], vcc
	s_xor_b64 s[28:29], exec, s[28:29]
; %bb.9204:                             ;   in Loop: Header=BB6_8433 Depth=4
	v_cmp_lt_u64_e32 vcc, s[88:89], v[50:51]
	v_add_u32_e32 v1, 7, v3
	v_cndmask_b32_e32 v1, v2, v1, vcc
	v_cndmask_b32_e64 v2, 0, 1, vcc
	v_lshrrev_b64 v[14:15], v2, v[50:51]
; %bb.9205:                             ;   in Loop: Header=BB6_8433 Depth=4
	s_andn2_saveexec_b64 s[28:29], s[28:29]
; %bb.9206:                             ;   in Loop: Header=BB6_8433 Depth=4
	v_mov_b32_e32 v14, v50
	v_bfe_u32 v1, v50, 23, 1
	v_mov_b32_e32 v15, v51
; %bb.9207:                             ;   in Loop: Header=BB6_8433 Depth=4
	s_or_b64 exec, exec, s[28:29]
	v_lshrrev_b64 v[2:3], 20, v[14:15]
	v_cmp_gt_i32_e32 vcc, 16, v1
	v_cndmask_b32_e32 v15, 0, v3, vcc
	v_cndmask_b32_e32 v14, 7, v2, vcc
	v_cmp_ne_u64_e32 vcc, 0, v[14:15]
	v_cmp_ne_u32_e64 s[28:29], 0, v1
	s_or_b64 s[28:29], s[28:29], vcc
                                        ; implicit-def: $vgpr2
                                        ; kill: killed $vgpr2
	s_and_saveexec_b64 vcc, s[28:29]
	s_xor_b64 s[28:29], exec, vcc
	s_cbranch_execz .LBB6_9209
; %bb.9208:                             ;   in Loop: Header=BB6_8433 Depth=4
	v_min_i32_e32 v1, 15, v1
	v_lshl_or_b32 v0, v1, 3, v0
	v_and_or_b32 v0, v14, 7, v0
	buffer_store_dword v0, off, s[0:3], s33 offset:104 ; 4-byte Folded Spill
                                        ; implicit-def: $vgpr0
.LBB6_9209:                             ;   in Loop: Header=BB6_8433 Depth=4
	s_andn2_saveexec_b64 s[28:29], s[28:29]
	s_cbranch_execz .LBB6_9211
; %bb.9210:                             ;   in Loop: Header=BB6_8433 Depth=4
	buffer_store_dword v0, off, s[0:3], s33 offset:104 ; 4-byte Folded Spill
.LBB6_9211:                             ;   in Loop: Header=BB6_8433 Depth=4
	s_or_b64 exec, exec, s[28:29]
.LBB6_9212:                             ;   in Loop: Header=BB6_8433 Depth=4
	s_or_b64 exec, exec, s[38:39]
                                        ; implicit-def: $vgpr0
.LBB6_9213:                             ;   in Loop: Header=BB6_8433 Depth=4
	s_andn2_saveexec_b64 s[28:29], s[36:37]
	s_cbranch_execz .LBB6_9215
; %bb.9214:                             ;   in Loop: Header=BB6_8433 Depth=4
	v_or_b32_e32 v0, 0x7e, v0
	buffer_store_dword v0, off, s[0:3], s33 offset:104 ; 4-byte Folded Spill
.LBB6_9215:                             ;   in Loop: Header=BB6_8433 Depth=4
	s_or_b64 exec, exec, s[28:29]
                                        ; implicit-def: $vgpr1
.LBB6_9216:                             ;   in Loop: Header=BB6_8433 Depth=4
	s_andn2_saveexec_b64 s[28:29], s[34:35]
	s_cbranch_execz .LBB6_9218
; %bb.9217:                             ;   in Loop: Header=BB6_8433 Depth=4
	v_or_b32_sdwa v0, v1, s86 dst_sel:DWORD dst_unused:UNUSED_PAD src0_sel:BYTE_3 src1_sel:DWORD
	buffer_store_dword v0, off, s[0:3], s33 offset:104 ; 4-byte Folded Spill
.LBB6_9218:                             ;   in Loop: Header=BB6_8433 Depth=4
	s_or_b64 exec, exec, s[28:29]
	flat_load_ubyte v0, v[8:9] offset:1920 glc slc
	v_mov_b32_e32 v1, 0
	s_waitcnt vmcnt(0) lgkmcnt(0)
	v_cmp_ne_u16_e32 vcc, 0, v0
	s_and_saveexec_b64 s[28:29], vcc
	s_cbranch_execz .LBB6_9224
; %bb.9219:                             ;   in Loop: Header=BB6_8433 Depth=4
	v_cmp_ne_u16_e32 vcc, s96, v0
	v_bfrev_b32_e32 v1, 1
	s_and_saveexec_b64 s[34:35], vcc
	s_cbranch_execz .LBB6_9223
; %bb.9220:                             ;   in Loop: Header=BB6_8433 Depth=4
	v_and_b32_e32 v14, 0xffff, v0
	v_and_b32_e32 v2, 0x7f, v14
	v_cmp_ne_u32_e32 vcc, s86, v2
	v_mov_b32_e32 v1, 0x7f800001
	s_and_saveexec_b64 s[36:37], vcc
	s_cbranch_execz .LBB6_9222
; %bb.9221:                             ;   in Loop: Header=BB6_8433 Depth=4
	v_and_b32_e32 v3, 7, v14
	v_ffbh_u32_e32 v1, v3
	v_min_u32_e32 v5, 32, v1
	v_subrev_u32_e32 v1, 28, v5
	v_lshrrev_b32_e32 v4, 3, v2
	v_cmp_gt_u32_e32 vcc, 8, v2
	v_lshlrev_b64 v[1:2], v1, v[14:15]
	v_sub_u32_e32 v2, 29, v5
	v_and_b32_e32 v1, 7, v1
	v_cndmask_b32_e32 v2, v4, v2, vcc
	v_cndmask_b32_e32 v1, v3, v1, vcc
	v_lshlrev_b32_e32 v0, 24, v0
	v_bfrev_b32_e32 v3, 60
	v_lshlrev_b32_e32 v1, 20, v1
	v_and_b32_e32 v0, 0x80000000, v0
	v_lshl_add_u32 v2, v2, 23, v3
	v_or3_b32 v1, v0, v2, v1
.LBB6_9222:                             ;   in Loop: Header=BB6_8433 Depth=4
	s_or_b64 exec, exec, s[36:37]
.LBB6_9223:                             ;   in Loop: Header=BB6_8433 Depth=4
	s_or_b64 exec, exec, s[34:35]
.LBB6_9224:                             ;   in Loop: Header=BB6_8433 Depth=4
	s_or_b64 exec, exec, s[28:29]
	v_mul_f32_e32 v1, s9, v1
	v_and_b32_e32 v50, 0x7f800000, v1
	v_cmp_ne_u64_e32 vcc, s[76:77], v[50:51]
                                        ; implicit-def: $vgpr0
                                        ; kill: killed $vgpr0
	s_and_saveexec_b64 s[28:29], vcc
	s_xor_b64 s[34:35], exec, s[28:29]
	s_cbranch_execz .LBB6_9242
; %bb.9225:                             ;   in Loop: Header=BB6_8433 Depth=4
	v_and_b32_e32 v50, 0x7fffffff, v1
	v_cmp_gt_u64_e32 vcc, s[78:79], v[50:51]
	v_and_b32_sdwa v0, v1, s96 dst_sel:DWORD dst_unused:UNUSED_PAD src0_sel:BYTE_3 src1_sel:DWORD
                                        ; implicit-def: $vgpr2
                                        ; kill: killed $vgpr2
	s_and_saveexec_b64 s[28:29], vcc
	s_xor_b64 s[36:37], exec, s[28:29]
	s_cbranch_execz .LBB6_9239
; %bb.9226:                             ;   in Loop: Header=BB6_8433 Depth=4
	v_cmp_ne_u32_e32 vcc, 0, v1
	v_mov_b32_e32 v2, 0
	buffer_store_dword v2, off, s[0:3], s33 offset:100 ; 4-byte Folded Spill
	s_and_saveexec_b64 s[38:39], vcc
	s_cbranch_execz .LBB6_9238
; %bb.9227:                             ;   in Loop: Header=BB6_8433 Depth=4
	v_and_b32_e32 v3, 0x7fffff, v1
	v_bfe_u32 v1, v1, 23, 8
	v_cmp_gt_u32_e64 s[28:29], s97, v1
	v_sub_u32_e32 v2, 0x79, v1
	v_cmp_eq_u32_e32 vcc, 0, v1
	v_cndmask_b32_e64 v2, 0, v2, s[28:29]
	v_mov_b32_e32 v5, 0x78
	v_or_b32_e32 v4, 0x800000, v3
	v_cndmask_b32_e32 v2, v2, v5, vcc
	v_cndmask_b32_e32 v50, v4, v3, vcc
	v_add_u32_e32 v3, 20, v2
	v_lshlrev_b64 v[3:4], v3, -1
	v_add_u32_e32 v5, 19, v2
	v_lshlrev_b64 v[5:6], v5, 1
	v_bfi_b32 v4, v4, 0, 0
	v_bfi_b32 v3, v3, 0, v50
	v_lshrrev_b64 v[14:15], v2, v[50:51]
	v_cmp_eq_u64_e64 s[28:29], v[3:4], v[5:6]
	v_mov_b32_e32 v4, v14
	v_mov_b32_e32 v5, v15
	s_and_saveexec_b64 s[48:49], s[28:29]
; %bb.9228:                             ;   in Loop: Header=BB6_8433 Depth=4
	v_bfe_u32 v3, v14, 20, 1
	v_add_co_u32_e64 v3, s[28:29], v14, v3
	v_add_co_u32_e64 v4, s[28:29], -1, v3
; %bb.9229:                             ;   in Loop: Header=BB6_8433 Depth=4
	s_or_b64 exec, exec, s[48:49]
	v_add_u32_e32 v1, 0xffffff81, v1
	v_mov_b32_e32 v3, 0xffffff82
	v_cndmask_b32_e32 v1, v1, v3, vcc
	v_lshrrev_b32_e32 v3, 23, v14
	v_add3_u32 v3, v2, v1, v3
	v_add_u32_e32 v2, 6, v3
	v_and_b32_e32 v1, 0xfffff, v4
	v_add_u32_e32 v50, v1, v14
	v_cmp_ne_u32_e32 vcc, 0, v2
                                        ; implicit-def: $vgpr14_vgpr15
                                        ; implicit-def: $vgpr1
	s_and_saveexec_b64 s[28:29], vcc
	s_xor_b64 s[28:29], exec, s[28:29]
; %bb.9230:                             ;   in Loop: Header=BB6_8433 Depth=4
	v_cmp_lt_u64_e32 vcc, s[88:89], v[50:51]
	v_add_u32_e32 v1, 7, v3
	v_cndmask_b32_e32 v1, v2, v1, vcc
	v_cndmask_b32_e64 v2, 0, 1, vcc
	v_lshrrev_b64 v[14:15], v2, v[50:51]
; %bb.9231:                             ;   in Loop: Header=BB6_8433 Depth=4
	s_andn2_saveexec_b64 s[28:29], s[28:29]
; %bb.9232:                             ;   in Loop: Header=BB6_8433 Depth=4
	v_mov_b32_e32 v14, v50
	v_bfe_u32 v1, v50, 23, 1
	v_mov_b32_e32 v15, v51
; %bb.9233:                             ;   in Loop: Header=BB6_8433 Depth=4
	s_or_b64 exec, exec, s[28:29]
	v_lshrrev_b64 v[2:3], 20, v[14:15]
	v_cmp_gt_i32_e32 vcc, 16, v1
	v_cndmask_b32_e32 v15, 0, v3, vcc
	v_cndmask_b32_e32 v14, 7, v2, vcc
	v_cmp_ne_u64_e32 vcc, 0, v[14:15]
	v_cmp_ne_u32_e64 s[28:29], 0, v1
	s_or_b64 s[28:29], s[28:29], vcc
                                        ; implicit-def: $vgpr2
                                        ; kill: killed $vgpr2
	s_and_saveexec_b64 vcc, s[28:29]
	s_xor_b64 s[28:29], exec, vcc
	s_cbranch_execz .LBB6_9235
; %bb.9234:                             ;   in Loop: Header=BB6_8433 Depth=4
	v_min_i32_e32 v1, 15, v1
	v_lshl_or_b32 v0, v1, 3, v0
	v_and_or_b32 v0, v14, 7, v0
	buffer_store_dword v0, off, s[0:3], s33 offset:100 ; 4-byte Folded Spill
                                        ; implicit-def: $vgpr0
.LBB6_9235:                             ;   in Loop: Header=BB6_8433 Depth=4
	s_andn2_saveexec_b64 s[28:29], s[28:29]
	s_cbranch_execz .LBB6_9237
; %bb.9236:                             ;   in Loop: Header=BB6_8433 Depth=4
	buffer_store_dword v0, off, s[0:3], s33 offset:100 ; 4-byte Folded Spill
.LBB6_9237:                             ;   in Loop: Header=BB6_8433 Depth=4
	s_or_b64 exec, exec, s[28:29]
.LBB6_9238:                             ;   in Loop: Header=BB6_8433 Depth=4
	s_or_b64 exec, exec, s[38:39]
                                        ; implicit-def: $vgpr0
.LBB6_9239:                             ;   in Loop: Header=BB6_8433 Depth=4
	s_andn2_saveexec_b64 s[28:29], s[36:37]
	s_cbranch_execz .LBB6_9241
; %bb.9240:                             ;   in Loop: Header=BB6_8433 Depth=4
	v_or_b32_e32 v0, 0x7e, v0
	buffer_store_dword v0, off, s[0:3], s33 offset:100 ; 4-byte Folded Spill
.LBB6_9241:                             ;   in Loop: Header=BB6_8433 Depth=4
	s_or_b64 exec, exec, s[28:29]
                                        ; implicit-def: $vgpr1
.LBB6_9242:                             ;   in Loop: Header=BB6_8433 Depth=4
	s_andn2_saveexec_b64 s[28:29], s[34:35]
	s_cbranch_execz .LBB6_9244
; %bb.9243:                             ;   in Loop: Header=BB6_8433 Depth=4
	v_or_b32_sdwa v0, v1, s86 dst_sel:DWORD dst_unused:UNUSED_PAD src0_sel:BYTE_3 src1_sel:DWORD
	buffer_store_dword v0, off, s[0:3], s33 offset:100 ; 4-byte Folded Spill
.LBB6_9244:                             ;   in Loop: Header=BB6_8433 Depth=4
	s_or_b64 exec, exec, s[28:29]
	flat_load_ubyte v0, v[8:9] offset:1984 glc slc
	v_mov_b32_e32 v1, 0
	s_waitcnt vmcnt(0) lgkmcnt(0)
	v_cmp_ne_u16_e32 vcc, 0, v0
	s_and_saveexec_b64 s[28:29], vcc
	s_cbranch_execz .LBB6_9250
; %bb.9245:                             ;   in Loop: Header=BB6_8433 Depth=4
	v_cmp_ne_u16_e32 vcc, s96, v0
	v_bfrev_b32_e32 v1, 1
	s_and_saveexec_b64 s[34:35], vcc
	s_cbranch_execz .LBB6_9249
; %bb.9246:                             ;   in Loop: Header=BB6_8433 Depth=4
	v_and_b32_e32 v14, 0xffff, v0
	v_and_b32_e32 v2, 0x7f, v14
	v_cmp_ne_u32_e32 vcc, s86, v2
	v_mov_b32_e32 v1, 0x7f800001
	s_and_saveexec_b64 s[36:37], vcc
	s_cbranch_execz .LBB6_9248
; %bb.9247:                             ;   in Loop: Header=BB6_8433 Depth=4
	v_and_b32_e32 v3, 7, v14
	v_ffbh_u32_e32 v1, v3
	v_min_u32_e32 v5, 32, v1
	v_subrev_u32_e32 v1, 28, v5
	v_lshrrev_b32_e32 v4, 3, v2
	v_cmp_gt_u32_e32 vcc, 8, v2
	v_lshlrev_b64 v[1:2], v1, v[14:15]
	v_sub_u32_e32 v2, 29, v5
	v_and_b32_e32 v1, 7, v1
	v_cndmask_b32_e32 v2, v4, v2, vcc
	v_cndmask_b32_e32 v1, v3, v1, vcc
	v_lshlrev_b32_e32 v0, 24, v0
	v_bfrev_b32_e32 v3, 60
	v_lshlrev_b32_e32 v1, 20, v1
	v_and_b32_e32 v0, 0x80000000, v0
	v_lshl_add_u32 v2, v2, 23, v3
	v_or3_b32 v1, v0, v2, v1
.LBB6_9248:                             ;   in Loop: Header=BB6_8433 Depth=4
	s_or_b64 exec, exec, s[36:37]
.LBB6_9249:                             ;   in Loop: Header=BB6_8433 Depth=4
	s_or_b64 exec, exec, s[34:35]
.LBB6_9250:                             ;   in Loop: Header=BB6_8433 Depth=4
	s_or_b64 exec, exec, s[28:29]
	v_mul_f32_e32 v1, s9, v1
	v_and_b32_e32 v50, 0x7f800000, v1
	v_cmp_ne_u64_e32 vcc, s[76:77], v[50:51]
                                        ; implicit-def: $vgpr0
                                        ; kill: killed $vgpr0
	s_and_saveexec_b64 s[28:29], vcc
	s_xor_b64 s[34:35], exec, s[28:29]
	s_cbranch_execz .LBB6_9268
; %bb.9251:                             ;   in Loop: Header=BB6_8433 Depth=4
	v_and_b32_e32 v50, 0x7fffffff, v1
	v_cmp_gt_u64_e32 vcc, s[78:79], v[50:51]
	v_and_b32_sdwa v0, v1, s96 dst_sel:DWORD dst_unused:UNUSED_PAD src0_sel:BYTE_3 src1_sel:DWORD
                                        ; implicit-def: $vgpr2
                                        ; kill: killed $vgpr2
	s_and_saveexec_b64 s[28:29], vcc
	s_xor_b64 s[36:37], exec, s[28:29]
	s_cbranch_execz .LBB6_9265
; %bb.9252:                             ;   in Loop: Header=BB6_8433 Depth=4
	v_cmp_ne_u32_e32 vcc, 0, v1
	v_mov_b32_e32 v2, 0
	buffer_store_dword v2, off, s[0:3], s33 offset:96 ; 4-byte Folded Spill
	s_and_saveexec_b64 s[38:39], vcc
	s_cbranch_execz .LBB6_9264
; %bb.9253:                             ;   in Loop: Header=BB6_8433 Depth=4
	v_and_b32_e32 v3, 0x7fffff, v1
	v_bfe_u32 v1, v1, 23, 8
	v_cmp_gt_u32_e64 s[28:29], s97, v1
	v_sub_u32_e32 v2, 0x79, v1
	v_cmp_eq_u32_e32 vcc, 0, v1
	v_cndmask_b32_e64 v2, 0, v2, s[28:29]
	v_mov_b32_e32 v5, 0x78
	v_or_b32_e32 v4, 0x800000, v3
	v_cndmask_b32_e32 v2, v2, v5, vcc
	v_cndmask_b32_e32 v50, v4, v3, vcc
	v_add_u32_e32 v3, 20, v2
	v_lshlrev_b64 v[3:4], v3, -1
	v_add_u32_e32 v5, 19, v2
	v_lshlrev_b64 v[5:6], v5, 1
	v_bfi_b32 v4, v4, 0, 0
	v_bfi_b32 v3, v3, 0, v50
	v_lshrrev_b64 v[14:15], v2, v[50:51]
	v_cmp_eq_u64_e64 s[28:29], v[3:4], v[5:6]
	v_mov_b32_e32 v4, v14
	v_mov_b32_e32 v5, v15
	s_and_saveexec_b64 s[48:49], s[28:29]
; %bb.9254:                             ;   in Loop: Header=BB6_8433 Depth=4
	v_bfe_u32 v3, v14, 20, 1
	v_add_co_u32_e64 v3, s[28:29], v14, v3
	v_add_co_u32_e64 v4, s[28:29], -1, v3
; %bb.9255:                             ;   in Loop: Header=BB6_8433 Depth=4
	s_or_b64 exec, exec, s[48:49]
	v_add_u32_e32 v1, 0xffffff81, v1
	v_mov_b32_e32 v3, 0xffffff82
	v_cndmask_b32_e32 v1, v1, v3, vcc
	v_lshrrev_b32_e32 v3, 23, v14
	v_add3_u32 v3, v2, v1, v3
	v_add_u32_e32 v2, 6, v3
	v_and_b32_e32 v1, 0xfffff, v4
	v_add_u32_e32 v50, v1, v14
	v_cmp_ne_u32_e32 vcc, 0, v2
                                        ; implicit-def: $vgpr14_vgpr15
                                        ; implicit-def: $vgpr1
	s_and_saveexec_b64 s[28:29], vcc
	s_xor_b64 s[28:29], exec, s[28:29]
; %bb.9256:                             ;   in Loop: Header=BB6_8433 Depth=4
	v_cmp_lt_u64_e32 vcc, s[88:89], v[50:51]
	v_add_u32_e32 v1, 7, v3
	v_cndmask_b32_e32 v1, v2, v1, vcc
	v_cndmask_b32_e64 v2, 0, 1, vcc
	v_lshrrev_b64 v[14:15], v2, v[50:51]
; %bb.9257:                             ;   in Loop: Header=BB6_8433 Depth=4
	s_andn2_saveexec_b64 s[28:29], s[28:29]
; %bb.9258:                             ;   in Loop: Header=BB6_8433 Depth=4
	v_mov_b32_e32 v14, v50
	v_bfe_u32 v1, v50, 23, 1
	v_mov_b32_e32 v15, v51
; %bb.9259:                             ;   in Loop: Header=BB6_8433 Depth=4
	s_or_b64 exec, exec, s[28:29]
	v_lshrrev_b64 v[2:3], 20, v[14:15]
	v_cmp_gt_i32_e32 vcc, 16, v1
	v_cndmask_b32_e32 v15, 0, v3, vcc
	v_cndmask_b32_e32 v14, 7, v2, vcc
	v_cmp_ne_u64_e32 vcc, 0, v[14:15]
	v_cmp_ne_u32_e64 s[28:29], 0, v1
	s_or_b64 s[28:29], s[28:29], vcc
                                        ; implicit-def: $vgpr2
                                        ; kill: killed $vgpr2
	s_and_saveexec_b64 vcc, s[28:29]
	s_xor_b64 s[28:29], exec, vcc
	s_cbranch_execz .LBB6_9261
; %bb.9260:                             ;   in Loop: Header=BB6_8433 Depth=4
	v_min_i32_e32 v1, 15, v1
	v_lshl_or_b32 v0, v1, 3, v0
	v_and_or_b32 v0, v14, 7, v0
	buffer_store_dword v0, off, s[0:3], s33 offset:96 ; 4-byte Folded Spill
                                        ; implicit-def: $vgpr0
.LBB6_9261:                             ;   in Loop: Header=BB6_8433 Depth=4
	s_andn2_saveexec_b64 s[28:29], s[28:29]
	s_cbranch_execz .LBB6_9263
; %bb.9262:                             ;   in Loop: Header=BB6_8433 Depth=4
	buffer_store_dword v0, off, s[0:3], s33 offset:96 ; 4-byte Folded Spill
.LBB6_9263:                             ;   in Loop: Header=BB6_8433 Depth=4
	s_or_b64 exec, exec, s[28:29]
.LBB6_9264:                             ;   in Loop: Header=BB6_8433 Depth=4
	s_or_b64 exec, exec, s[38:39]
                                        ; implicit-def: $vgpr0
.LBB6_9265:                             ;   in Loop: Header=BB6_8433 Depth=4
	s_andn2_saveexec_b64 s[28:29], s[36:37]
	s_cbranch_execz .LBB6_9267
; %bb.9266:                             ;   in Loop: Header=BB6_8433 Depth=4
	v_or_b32_e32 v0, 0x7e, v0
	buffer_store_dword v0, off, s[0:3], s33 offset:96 ; 4-byte Folded Spill
.LBB6_9267:                             ;   in Loop: Header=BB6_8433 Depth=4
	s_or_b64 exec, exec, s[28:29]
                                        ; implicit-def: $vgpr1
.LBB6_9268:                             ;   in Loop: Header=BB6_8433 Depth=4
	s_andn2_saveexec_b64 s[28:29], s[34:35]
	s_cbranch_execz .LBB6_9270
; %bb.9269:                             ;   in Loop: Header=BB6_8433 Depth=4
	v_or_b32_sdwa v0, v1, s86 dst_sel:DWORD dst_unused:UNUSED_PAD src0_sel:BYTE_3 src1_sel:DWORD
	buffer_store_dword v0, off, s[0:3], s33 offset:96 ; 4-byte Folded Spill
.LBB6_9270:                             ;   in Loop: Header=BB6_8433 Depth=4
	s_or_b64 exec, exec, s[28:29]
	flat_load_ubyte v4, v[10:11] glc slc
	flat_load_ubyte v29, v[10:11] offset:64 glc slc
	flat_load_ubyte v52, v[10:11] offset:128 glc slc
	;; [unrolled: 1-line block ×28, first 2 shown]
	v_and_b32_e32 v14, 0xff, v19
	v_cmp_ne_u16_e32 vcc, 0, v14
	v_mov_b32_e32 v15, 0
	s_waitcnt vmcnt(0) lgkmcnt(0)
	buffer_store_dword v5, off, s[0:3], s33 offset:156 ; 4-byte Folded Spill
	flat_load_ubyte v5, v[10:11] offset:1856 glc slc
	s_waitcnt vmcnt(0) lgkmcnt(0)
	buffer_store_dword v5, off, s[0:3], s33 offset:152 ; 4-byte Folded Spill
	flat_load_ubyte v5, v[10:11] offset:1920 glc slc
	s_waitcnt vmcnt(0) lgkmcnt(0)
	buffer_store_dword v5, off, s[0:3], s33 offset:148 ; 4-byte Folded Spill
	flat_load_ubyte v5, v[10:11] offset:1984 glc slc
	s_waitcnt vmcnt(0) lgkmcnt(0)
	buffer_store_dword v5, off, s[0:3], s33 offset:144 ; 4-byte Folded Spill
	v_mov_b32_e32 v5, 0
	s_and_saveexec_b64 s[28:29], vcc
	s_cbranch_execz .LBB6_9276
; %bb.9271:                             ;   in Loop: Header=BB6_8433 Depth=4
	v_cmp_ne_u16_e32 vcc, s96, v14
	v_bfrev_b32_e32 v15, 1
	s_and_saveexec_b64 s[34:35], vcc
	s_cbranch_execz .LBB6_9275
; %bb.9272:                             ;   in Loop: Header=BB6_8433 Depth=4
	v_and_b32_e32 v30, 0x7f, v19
	v_cmp_ne_u32_e32 vcc, s86, v30
	v_mov_b32_e32 v15, 0x7f800001
	s_and_saveexec_b64 s[36:37], vcc
	s_cbranch_execz .LBB6_9274
; %bb.9273:                             ;   in Loop: Header=BB6_8433 Depth=4
	v_and_b32_e32 v31, 7, v14
	v_ffbh_u32_e32 v15, v31
	v_lshrrev_b32_e32 v50, 3, v30
	v_cmp_gt_u32_e32 vcc, 8, v30
	v_min_u32_e32 v30, 32, v15
	v_subrev_u32_e32 v15, 28, v30
	v_lshlrev_b64 v[14:15], v15, v[14:15]
	v_sub_u32_e32 v15, 29, v30
	v_and_b32_e32 v14, 7, v14
	v_cndmask_b32_e32 v15, v50, v15, vcc
	v_cndmask_b32_e32 v14, v31, v14, vcc
	v_lshlrev_b32_e32 v19, 24, v19
	v_bfrev_b32_e32 v30, 60
	v_lshlrev_b32_e32 v14, 20, v14
	v_and_b32_e32 v19, 0x80000000, v19
	v_lshl_add_u32 v15, v15, 23, v30
	v_or3_b32 v15, v19, v15, v14
.LBB6_9274:                             ;   in Loop: Header=BB6_8433 Depth=4
	s_or_b64 exec, exec, s[36:37]
.LBB6_9275:                             ;   in Loop: Header=BB6_8433 Depth=4
	s_or_b64 exec, exec, s[34:35]
.LBB6_9276:                             ;   in Loop: Header=BB6_8433 Depth=4
	s_or_b64 exec, exec, s[28:29]
	v_and_b32_e32 v14, 0xff, v4
	v_cmp_ne_u16_e32 vcc, 0, v14
	s_and_saveexec_b64 s[28:29], vcc
	s_cbranch_execz .LBB6_9282
; %bb.9277:                             ;   in Loop: Header=BB6_8433 Depth=4
	v_cmp_ne_u16_e32 vcc, s96, v14
	v_bfrev_b32_e32 v5, 1
	s_and_saveexec_b64 s[34:35], vcc
	s_cbranch_execz .LBB6_9281
; %bb.9278:                             ;   in Loop: Header=BB6_8433 Depth=4
	v_and_b32_e32 v19, 0x7f, v4
	v_cmp_ne_u32_e32 vcc, s86, v19
	v_mov_b32_e32 v5, 0x7f800001
	s_and_saveexec_b64 s[36:37], vcc
	s_cbranch_execz .LBB6_9280
; %bb.9279:                             ;   in Loop: Header=BB6_8433 Depth=4
	v_and_b32_e32 v5, 7, v14
	v_lshrrev_b32_e32 v50, 3, v19
	v_cmp_gt_u32_e32 vcc, 8, v19
	v_ffbh_u32_e32 v19, v5
	v_min_u32_e32 v19, 32, v19
	v_subrev_u32_e32 v30, 28, v19
	v_lshlrev_b64 v[30:31], v30, v[14:15]
	v_sub_u32_e32 v14, 29, v19
	v_and_b32_e32 v19, 7, v30
	v_cndmask_b32_e32 v14, v50, v14, vcc
	v_cndmask_b32_e32 v5, v5, v19, vcc
	v_lshlrev_b32_e32 v4, 24, v4
	v_bfrev_b32_e32 v19, 60
	v_lshlrev_b32_e32 v5, 20, v5
	v_and_b32_e32 v4, 0x80000000, v4
	v_lshl_add_u32 v14, v14, 23, v19
	v_or3_b32 v5, v4, v14, v5
.LBB6_9280:                             ;   in Loop: Header=BB6_8433 Depth=4
	s_or_b64 exec, exec, s[36:37]
.LBB6_9281:                             ;   in Loop: Header=BB6_8433 Depth=4
	s_or_b64 exec, exec, s[34:35]
.LBB6_9282:                             ;   in Loop: Header=BB6_8433 Depth=4
	s_or_b64 exec, exec, s[28:29]
	v_add_f32_e32 v4, v15, v5
	v_and_b32_e32 v50, 0x7f800000, v4
	v_cmp_ne_u64_e32 vcc, s[76:77], v[50:51]
                                        ; implicit-def: $vgpr31
	s_and_saveexec_b64 s[28:29], vcc
	s_xor_b64 s[34:35], exec, s[28:29]
	s_cbranch_execz .LBB6_9300
; %bb.9283:                             ;   in Loop: Header=BB6_8433 Depth=4
	v_and_b32_e32 v50, 0x7fffffff, v4
	v_cmp_gt_u64_e32 vcc, s[78:79], v[50:51]
	v_and_b32_sdwa v19, v4, s96 dst_sel:DWORD dst_unused:UNUSED_PAD src0_sel:BYTE_3 src1_sel:DWORD
                                        ; implicit-def: $vgpr31
	s_and_saveexec_b64 s[28:29], vcc
	s_xor_b64 s[36:37], exec, s[28:29]
	s_cbranch_execz .LBB6_9297
; %bb.9284:                             ;   in Loop: Header=BB6_8433 Depth=4
	v_cmp_ne_u32_e32 vcc, 0, v4
	v_mov_b32_e32 v31, 0
	s_and_saveexec_b64 s[38:39], vcc
	s_cbranch_execz .LBB6_9296
; %bb.9285:                             ;   in Loop: Header=BB6_8433 Depth=4
	v_bfe_u32 v30, v4, 23, 8
	v_and_b32_e32 v5, 0x7fffff, v4
	v_cmp_gt_u32_e64 s[28:29], s97, v30
	v_sub_u32_e32 v4, 0x79, v30
	v_cmp_eq_u32_e32 vcc, 0, v30
	v_cndmask_b32_e64 v4, 0, v4, s[28:29]
	v_mov_b32_e32 v15, 0x78
	v_cndmask_b32_e32 v31, v4, v15, vcc
	v_or_b32_e32 v14, 0x800000, v5
	v_add_u32_e32 v4, 20, v31
	v_cndmask_b32_e32 v50, v14, v5, vcc
	v_lshlrev_b64 v[4:5], v4, -1
	v_add_u32_e32 v14, 19, v31
	v_lshlrev_b64 v[14:15], v14, 1
	v_bfi_b32 v5, v5, 0, 0
	v_bfi_b32 v4, v4, 0, v50
	v_cmp_eq_u64_e64 s[28:29], v[4:5], v[14:15]
	v_lshrrev_b64 v[14:15], v31, v[50:51]
	v_mov_b32_e32 v4, v14
	v_mov_b32_e32 v5, v15
	s_and_saveexec_b64 s[48:49], s[28:29]
; %bb.9286:                             ;   in Loop: Header=BB6_8433 Depth=4
	v_bfe_u32 v4, v14, 20, 1
	v_add_co_u32_e64 v4, s[28:29], v14, v4
	v_add_co_u32_e64 v4, s[28:29], -1, v4
; %bb.9287:                             ;   in Loop: Header=BB6_8433 Depth=4
	s_or_b64 exec, exec, s[48:49]
	v_add_u32_e32 v5, 0xffffff81, v30
	v_mov_b32_e32 v15, 0xffffff82
	v_cndmask_b32_e32 v5, v5, v15, vcc
	v_lshrrev_b32_e32 v15, 23, v14
	v_add3_u32 v30, v31, v5, v15
	v_add_u32_e32 v5, 6, v30
	v_and_b32_e32 v4, 0xfffff, v4
	v_add_u32_e32 v50, v4, v14
	v_cmp_ne_u32_e32 vcc, 0, v5
                                        ; implicit-def: $vgpr14_vgpr15
                                        ; implicit-def: $vgpr4
	s_and_saveexec_b64 s[28:29], vcc
	s_xor_b64 s[28:29], exec, s[28:29]
; %bb.9288:                             ;   in Loop: Header=BB6_8433 Depth=4
	v_cmp_lt_u64_e32 vcc, s[88:89], v[50:51]
	v_add_u32_e32 v4, 7, v30
	v_cndmask_b32_e32 v4, v5, v4, vcc
	v_cndmask_b32_e64 v5, 0, 1, vcc
	v_lshrrev_b64 v[14:15], v5, v[50:51]
; %bb.9289:                             ;   in Loop: Header=BB6_8433 Depth=4
	s_andn2_saveexec_b64 s[28:29], s[28:29]
; %bb.9290:                             ;   in Loop: Header=BB6_8433 Depth=4
	v_mov_b32_e32 v14, v50
	v_mov_b32_e32 v15, v51
	v_bfe_u32 v4, v50, 23, 1
; %bb.9291:                             ;   in Loop: Header=BB6_8433 Depth=4
	s_or_b64 exec, exec, s[28:29]
	v_lshrrev_b64 v[14:15], 20, v[14:15]
	v_cmp_gt_i32_e32 vcc, 16, v4
	v_cndmask_b32_e32 v15, 0, v15, vcc
	v_cndmask_b32_e32 v14, 7, v14, vcc
	v_cmp_ne_u64_e32 vcc, 0, v[14:15]
	v_cmp_ne_u32_e64 s[28:29], 0, v4
	s_or_b64 s[28:29], s[28:29], vcc
                                        ; implicit-def: $vgpr31
	s_and_saveexec_b64 vcc, s[28:29]
	s_xor_b64 s[28:29], exec, vcc
; %bb.9292:                             ;   in Loop: Header=BB6_8433 Depth=4
	v_min_i32_e32 v4, 15, v4
	v_lshl_or_b32 v4, v4, 3, v19
	v_and_or_b32 v31, v14, 7, v4
                                        ; implicit-def: $vgpr19
; %bb.9293:                             ;   in Loop: Header=BB6_8433 Depth=4
	s_andn2_saveexec_b64 s[28:29], s[28:29]
; %bb.9294:                             ;   in Loop: Header=BB6_8433 Depth=4
	v_mov_b32_e32 v31, v19
; %bb.9295:                             ;   in Loop: Header=BB6_8433 Depth=4
	s_or_b64 exec, exec, s[28:29]
.LBB6_9296:                             ;   in Loop: Header=BB6_8433 Depth=4
	s_or_b64 exec, exec, s[38:39]
                                        ; implicit-def: $vgpr19
.LBB6_9297:                             ;   in Loop: Header=BB6_8433 Depth=4
	s_andn2_saveexec_b64 s[28:29], s[36:37]
; %bb.9298:                             ;   in Loop: Header=BB6_8433 Depth=4
	v_or_b32_e32 v31, 0x7e, v19
; %bb.9299:                             ;   in Loop: Header=BB6_8433 Depth=4
	s_or_b64 exec, exec, s[28:29]
                                        ; implicit-def: $vgpr4
.LBB6_9300:                             ;   in Loop: Header=BB6_8433 Depth=4
	s_andn2_saveexec_b64 s[28:29], s[34:35]
; %bb.9301:                             ;   in Loop: Header=BB6_8433 Depth=4
	v_or_b32_sdwa v31, v4, s86 dst_sel:DWORD dst_unused:UNUSED_PAD src0_sel:BYTE_3 src1_sel:DWORD
; %bb.9302:                             ;   in Loop: Header=BB6_8433 Depth=4
	s_or_b64 exec, exec, s[28:29]
	v_and_b32_e32 v14, 0xff, v27
	v_cmp_ne_u16_e32 vcc, 0, v14
	v_mov_b32_e32 v4, 0
	v_mov_b32_e32 v5, 0
	s_and_saveexec_b64 s[28:29], vcc
	s_cbranch_execz .LBB6_9308
; %bb.9303:                             ;   in Loop: Header=BB6_8433 Depth=4
	v_cmp_ne_u16_e32 vcc, s96, v14
	v_bfrev_b32_e32 v5, 1
	s_and_saveexec_b64 s[34:35], vcc
	s_cbranch_execz .LBB6_9307
; %bb.9304:                             ;   in Loop: Header=BB6_8433 Depth=4
	v_and_b32_e32 v15, 0x7f, v27
	v_cmp_ne_u32_e32 vcc, s86, v15
	v_mov_b32_e32 v5, 0x7f800001
	s_and_saveexec_b64 s[36:37], vcc
	s_cbranch_execz .LBB6_9306
; %bb.9305:                             ;   in Loop: Header=BB6_8433 Depth=4
	v_and_b32_e32 v5, 7, v14
	v_lshrrev_b32_e32 v19, 3, v15
	v_cmp_gt_u32_e32 vcc, 8, v15
	v_ffbh_u32_e32 v15, v5
	v_min_u32_e32 v30, 32, v15
	v_subrev_u32_e32 v15, 28, v30
	v_lshlrev_b64 v[14:15], v15, v[14:15]
	v_sub_u32_e32 v15, 29, v30
	v_and_b32_e32 v14, 7, v14
	v_cndmask_b32_e32 v15, v19, v15, vcc
	v_cndmask_b32_e32 v5, v5, v14, vcc
	v_lshlrev_b32_e32 v14, 24, v27
	v_bfrev_b32_e32 v19, 60
	v_lshlrev_b32_e32 v5, 20, v5
	v_and_b32_e32 v14, 0x80000000, v14
	v_lshl_add_u32 v15, v15, 23, v19
	v_or3_b32 v5, v14, v15, v5
.LBB6_9306:                             ;   in Loop: Header=BB6_8433 Depth=4
	s_or_b64 exec, exec, s[36:37]
.LBB6_9307:                             ;   in Loop: Header=BB6_8433 Depth=4
	s_or_b64 exec, exec, s[34:35]
.LBB6_9308:                             ;   in Loop: Header=BB6_8433 Depth=4
	s_or_b64 exec, exec, s[28:29]
	v_and_b32_e32 v14, 0xff, v29
	v_cmp_ne_u16_e32 vcc, 0, v14
	s_and_saveexec_b64 s[28:29], vcc
	s_cbranch_execz .LBB6_9314
; %bb.9309:                             ;   in Loop: Header=BB6_8433 Depth=4
	v_cmp_ne_u16_e32 vcc, s96, v14
	v_bfrev_b32_e32 v4, 1
	s_and_saveexec_b64 s[34:35], vcc
	s_cbranch_execz .LBB6_9313
; %bb.9310:                             ;   in Loop: Header=BB6_8433 Depth=4
	v_and_b32_e32 v15, 0x7f, v29
	v_cmp_ne_u32_e32 vcc, s86, v15
	v_mov_b32_e32 v4, 0x7f800001
	s_and_saveexec_b64 s[36:37], vcc
	s_cbranch_execz .LBB6_9312
; %bb.9311:                             ;   in Loop: Header=BB6_8433 Depth=4
	v_and_b32_e32 v4, 7, v14
	v_lshrrev_b32_e32 v19, 3, v15
	v_cmp_gt_u32_e32 vcc, 8, v15
	v_ffbh_u32_e32 v15, v4
	v_min_u32_e32 v27, 32, v15
	v_subrev_u32_e32 v15, 28, v27
	v_lshlrev_b64 v[14:15], v15, v[14:15]
	v_sub_u32_e32 v15, 29, v27
	v_and_b32_e32 v14, 7, v14
	v_cndmask_b32_e32 v15, v19, v15, vcc
	v_cndmask_b32_e32 v4, v4, v14, vcc
	v_lshlrev_b32_e32 v14, 24, v29
	v_bfrev_b32_e32 v19, 60
	v_lshlrev_b32_e32 v4, 20, v4
	v_and_b32_e32 v14, 0x80000000, v14
	v_lshl_add_u32 v15, v15, 23, v19
	v_or3_b32 v4, v14, v15, v4
.LBB6_9312:                             ;   in Loop: Header=BB6_8433 Depth=4
	s_or_b64 exec, exec, s[36:37]
.LBB6_9313:                             ;   in Loop: Header=BB6_8433 Depth=4
	s_or_b64 exec, exec, s[34:35]
.LBB6_9314:                             ;   in Loop: Header=BB6_8433 Depth=4
	s_or_b64 exec, exec, s[28:29]
	v_add_f32_e32 v4, v5, v4
	v_and_b32_e32 v50, 0x7f800000, v4
	v_cmp_ne_u64_e32 vcc, s[76:77], v[50:51]
                                        ; implicit-def: $vgpr27
	s_and_saveexec_b64 s[28:29], vcc
	s_xor_b64 s[34:35], exec, s[28:29]
	s_cbranch_execz .LBB6_9332
; %bb.9315:                             ;   in Loop: Header=BB6_8433 Depth=4
	v_and_b32_e32 v50, 0x7fffffff, v4
	v_cmp_gt_u64_e32 vcc, s[78:79], v[50:51]
	v_and_b32_sdwa v19, v4, s96 dst_sel:DWORD dst_unused:UNUSED_PAD src0_sel:BYTE_3 src1_sel:DWORD
                                        ; implicit-def: $vgpr27
	s_and_saveexec_b64 s[28:29], vcc
	s_xor_b64 s[36:37], exec, s[28:29]
	s_cbranch_execz .LBB6_9329
; %bb.9316:                             ;   in Loop: Header=BB6_8433 Depth=4
	v_cmp_ne_u32_e32 vcc, 0, v4
	v_mov_b32_e32 v27, 0
	s_and_saveexec_b64 s[38:39], vcc
	s_cbranch_execz .LBB6_9328
; %bb.9317:                             ;   in Loop: Header=BB6_8433 Depth=4
	v_bfe_u32 v27, v4, 23, 8
	v_and_b32_e32 v5, 0x7fffff, v4
	v_cmp_gt_u32_e64 s[28:29], s97, v27
	v_sub_u32_e32 v4, 0x79, v27
	v_cmp_eq_u32_e32 vcc, 0, v27
	v_cndmask_b32_e64 v4, 0, v4, s[28:29]
	v_mov_b32_e32 v15, 0x78
	v_cndmask_b32_e32 v29, v4, v15, vcc
	v_or_b32_e32 v14, 0x800000, v5
	v_add_u32_e32 v4, 20, v29
	v_cndmask_b32_e32 v50, v14, v5, vcc
	v_lshlrev_b64 v[4:5], v4, -1
	v_add_u32_e32 v14, 19, v29
	v_lshlrev_b64 v[14:15], v14, 1
	v_bfi_b32 v5, v5, 0, 0
	v_bfi_b32 v4, v4, 0, v50
	v_cmp_eq_u64_e64 s[28:29], v[4:5], v[14:15]
	v_lshrrev_b64 v[14:15], v29, v[50:51]
	v_mov_b32_e32 v4, v14
	v_mov_b32_e32 v5, v15
	s_and_saveexec_b64 s[48:49], s[28:29]
; %bb.9318:                             ;   in Loop: Header=BB6_8433 Depth=4
	v_bfe_u32 v4, v14, 20, 1
	v_add_co_u32_e64 v4, s[28:29], v14, v4
	v_add_co_u32_e64 v4, s[28:29], -1, v4
; %bb.9319:                             ;   in Loop: Header=BB6_8433 Depth=4
	s_or_b64 exec, exec, s[48:49]
	v_add_u32_e32 v5, 0xffffff81, v27
	v_mov_b32_e32 v15, 0xffffff82
	v_cndmask_b32_e32 v5, v5, v15, vcc
	v_lshrrev_b32_e32 v15, 23, v14
	v_add3_u32 v27, v29, v5, v15
	v_add_u32_e32 v5, 6, v27
	v_and_b32_e32 v4, 0xfffff, v4
	v_add_u32_e32 v50, v4, v14
	v_cmp_ne_u32_e32 vcc, 0, v5
                                        ; implicit-def: $vgpr14_vgpr15
                                        ; implicit-def: $vgpr4
	s_and_saveexec_b64 s[28:29], vcc
	s_xor_b64 s[28:29], exec, s[28:29]
; %bb.9320:                             ;   in Loop: Header=BB6_8433 Depth=4
	v_cmp_lt_u64_e32 vcc, s[88:89], v[50:51]
	v_add_u32_e32 v4, 7, v27
	v_cndmask_b32_e32 v4, v5, v4, vcc
	v_cndmask_b32_e64 v5, 0, 1, vcc
	v_lshrrev_b64 v[14:15], v5, v[50:51]
; %bb.9321:                             ;   in Loop: Header=BB6_8433 Depth=4
	s_andn2_saveexec_b64 s[28:29], s[28:29]
; %bb.9322:                             ;   in Loop: Header=BB6_8433 Depth=4
	v_mov_b32_e32 v14, v50
	v_mov_b32_e32 v15, v51
	v_bfe_u32 v4, v50, 23, 1
; %bb.9323:                             ;   in Loop: Header=BB6_8433 Depth=4
	s_or_b64 exec, exec, s[28:29]
	v_lshrrev_b64 v[14:15], 20, v[14:15]
	v_cmp_gt_i32_e32 vcc, 16, v4
	v_cndmask_b32_e32 v15, 0, v15, vcc
	v_cndmask_b32_e32 v14, 7, v14, vcc
	v_cmp_ne_u64_e32 vcc, 0, v[14:15]
	v_cmp_ne_u32_e64 s[28:29], 0, v4
	s_or_b64 s[28:29], s[28:29], vcc
                                        ; implicit-def: $vgpr27
	s_and_saveexec_b64 vcc, s[28:29]
	s_xor_b64 s[28:29], exec, vcc
; %bb.9324:                             ;   in Loop: Header=BB6_8433 Depth=4
	v_min_i32_e32 v4, 15, v4
	v_lshl_or_b32 v4, v4, 3, v19
	v_and_or_b32 v27, v14, 7, v4
                                        ; implicit-def: $vgpr19
; %bb.9325:                             ;   in Loop: Header=BB6_8433 Depth=4
	s_andn2_saveexec_b64 s[28:29], s[28:29]
; %bb.9326:                             ;   in Loop: Header=BB6_8433 Depth=4
	v_mov_b32_e32 v27, v19
; %bb.9327:                             ;   in Loop: Header=BB6_8433 Depth=4
	s_or_b64 exec, exec, s[28:29]
.LBB6_9328:                             ;   in Loop: Header=BB6_8433 Depth=4
	s_or_b64 exec, exec, s[38:39]
                                        ; implicit-def: $vgpr19
.LBB6_9329:                             ;   in Loop: Header=BB6_8433 Depth=4
	s_andn2_saveexec_b64 s[28:29], s[36:37]
; %bb.9330:                             ;   in Loop: Header=BB6_8433 Depth=4
	v_or_b32_e32 v27, 0x7e, v19
; %bb.9331:                             ;   in Loop: Header=BB6_8433 Depth=4
	s_or_b64 exec, exec, s[28:29]
                                        ; implicit-def: $vgpr4
.LBB6_9332:                             ;   in Loop: Header=BB6_8433 Depth=4
	s_andn2_saveexec_b64 s[28:29], s[34:35]
; %bb.9333:                             ;   in Loop: Header=BB6_8433 Depth=4
	v_or_b32_sdwa v27, v4, s86 dst_sel:DWORD dst_unused:UNUSED_PAD src0_sel:BYTE_3 src1_sel:DWORD
; %bb.9334:                             ;   in Loop: Header=BB6_8433 Depth=4
	s_or_b64 exec, exec, s[28:29]
	v_and_b32_e32 v14, 0xff, v34
	v_cmp_ne_u16_e32 vcc, 0, v14
	v_mov_b32_e32 v4, 0
	v_mov_b32_e32 v5, 0
	s_and_saveexec_b64 s[28:29], vcc
	s_cbranch_execz .LBB6_9340
; %bb.9335:                             ;   in Loop: Header=BB6_8433 Depth=4
	v_cmp_ne_u16_e32 vcc, s96, v14
	v_bfrev_b32_e32 v5, 1
	s_and_saveexec_b64 s[34:35], vcc
	s_cbranch_execz .LBB6_9339
; %bb.9336:                             ;   in Loop: Header=BB6_8433 Depth=4
	v_and_b32_e32 v15, 0x7f, v34
	v_cmp_ne_u32_e32 vcc, s86, v15
	v_mov_b32_e32 v5, 0x7f800001
	s_and_saveexec_b64 s[36:37], vcc
	s_cbranch_execz .LBB6_9338
; %bb.9337:                             ;   in Loop: Header=BB6_8433 Depth=4
	v_and_b32_e32 v5, 7, v14
	v_lshrrev_b32_e32 v19, 3, v15
	v_cmp_gt_u32_e32 vcc, 8, v15
	v_ffbh_u32_e32 v15, v5
	v_min_u32_e32 v29, 32, v15
	v_subrev_u32_e32 v15, 28, v29
	v_lshlrev_b64 v[14:15], v15, v[14:15]
	v_sub_u32_e32 v15, 29, v29
	v_and_b32_e32 v14, 7, v14
	v_cndmask_b32_e32 v15, v19, v15, vcc
	v_cndmask_b32_e32 v5, v5, v14, vcc
	v_lshlrev_b32_e32 v14, 24, v34
	v_bfrev_b32_e32 v19, 60
	v_lshlrev_b32_e32 v5, 20, v5
	v_and_b32_e32 v14, 0x80000000, v14
	v_lshl_add_u32 v15, v15, 23, v19
	v_or3_b32 v5, v14, v15, v5
.LBB6_9338:                             ;   in Loop: Header=BB6_8433 Depth=4
	s_or_b64 exec, exec, s[36:37]
.LBB6_9339:                             ;   in Loop: Header=BB6_8433 Depth=4
	s_or_b64 exec, exec, s[34:35]
.LBB6_9340:                             ;   in Loop: Header=BB6_8433 Depth=4
	s_or_b64 exec, exec, s[28:29]
	v_and_b32_e32 v14, 0xff, v52
	v_cmp_ne_u16_e32 vcc, 0, v14
	s_and_saveexec_b64 s[28:29], vcc
	s_cbranch_execz .LBB6_9346
; %bb.9341:                             ;   in Loop: Header=BB6_8433 Depth=4
	v_cmp_ne_u16_e32 vcc, s96, v14
	v_bfrev_b32_e32 v4, 1
	s_and_saveexec_b64 s[34:35], vcc
	s_cbranch_execz .LBB6_9345
; %bb.9342:                             ;   in Loop: Header=BB6_8433 Depth=4
	v_and_b32_e32 v15, 0x7f, v52
	v_cmp_ne_u32_e32 vcc, s86, v15
	v_mov_b32_e32 v4, 0x7f800001
	s_and_saveexec_b64 s[36:37], vcc
	s_cbranch_execz .LBB6_9344
; %bb.9343:                             ;   in Loop: Header=BB6_8433 Depth=4
	v_and_b32_e32 v4, 7, v14
	v_lshrrev_b32_e32 v19, 3, v15
	v_cmp_gt_u32_e32 vcc, 8, v15
	v_ffbh_u32_e32 v15, v4
	v_min_u32_e32 v29, 32, v15
	v_subrev_u32_e32 v15, 28, v29
	v_lshlrev_b64 v[14:15], v15, v[14:15]
	v_sub_u32_e32 v15, 29, v29
	v_and_b32_e32 v14, 7, v14
	v_cndmask_b32_e32 v15, v19, v15, vcc
	v_cndmask_b32_e32 v4, v4, v14, vcc
	v_lshlrev_b32_e32 v14, 24, v52
	v_bfrev_b32_e32 v19, 60
	v_lshlrev_b32_e32 v4, 20, v4
	v_and_b32_e32 v14, 0x80000000, v14
	v_lshl_add_u32 v15, v15, 23, v19
	v_or3_b32 v4, v14, v15, v4
.LBB6_9344:                             ;   in Loop: Header=BB6_8433 Depth=4
	s_or_b64 exec, exec, s[36:37]
.LBB6_9345:                             ;   in Loop: Header=BB6_8433 Depth=4
	s_or_b64 exec, exec, s[34:35]
.LBB6_9346:                             ;   in Loop: Header=BB6_8433 Depth=4
	s_or_b64 exec, exec, s[28:29]
	v_add_f32_e32 v4, v5, v4
	v_and_b32_e32 v50, 0x7f800000, v4
	v_cmp_ne_u64_e32 vcc, s[76:77], v[50:51]
                                        ; implicit-def: $vgpr34
	s_and_saveexec_b64 s[28:29], vcc
	s_xor_b64 s[34:35], exec, s[28:29]
	s_cbranch_execz .LBB6_9364
; %bb.9347:                             ;   in Loop: Header=BB6_8433 Depth=4
	v_and_b32_e32 v50, 0x7fffffff, v4
	v_cmp_gt_u64_e32 vcc, s[78:79], v[50:51]
	v_and_b32_sdwa v19, v4, s96 dst_sel:DWORD dst_unused:UNUSED_PAD src0_sel:BYTE_3 src1_sel:DWORD
                                        ; implicit-def: $vgpr34
	s_and_saveexec_b64 s[28:29], vcc
	s_xor_b64 s[36:37], exec, s[28:29]
	s_cbranch_execz .LBB6_9361
; %bb.9348:                             ;   in Loop: Header=BB6_8433 Depth=4
	v_cmp_ne_u32_e32 vcc, 0, v4
	v_mov_b32_e32 v34, 0
	s_and_saveexec_b64 s[38:39], vcc
	s_cbranch_execz .LBB6_9360
; %bb.9349:                             ;   in Loop: Header=BB6_8433 Depth=4
	v_bfe_u32 v29, v4, 23, 8
	v_and_b32_e32 v5, 0x7fffff, v4
	v_cmp_gt_u32_e64 s[28:29], s97, v29
	v_sub_u32_e32 v4, 0x79, v29
	v_cmp_eq_u32_e32 vcc, 0, v29
	v_cndmask_b32_e64 v4, 0, v4, s[28:29]
	v_mov_b32_e32 v15, 0x78
	v_cndmask_b32_e32 v30, v4, v15, vcc
	v_or_b32_e32 v14, 0x800000, v5
	v_add_u32_e32 v4, 20, v30
	v_cndmask_b32_e32 v50, v14, v5, vcc
	v_lshlrev_b64 v[4:5], v4, -1
	v_add_u32_e32 v14, 19, v30
	v_lshlrev_b64 v[14:15], v14, 1
	v_bfi_b32 v5, v5, 0, 0
	v_bfi_b32 v4, v4, 0, v50
	v_cmp_eq_u64_e64 s[28:29], v[4:5], v[14:15]
	v_lshrrev_b64 v[14:15], v30, v[50:51]
	v_mov_b32_e32 v4, v14
	v_mov_b32_e32 v5, v15
	s_and_saveexec_b64 s[48:49], s[28:29]
; %bb.9350:                             ;   in Loop: Header=BB6_8433 Depth=4
	v_bfe_u32 v4, v14, 20, 1
	v_add_co_u32_e64 v4, s[28:29], v14, v4
	v_add_co_u32_e64 v4, s[28:29], -1, v4
; %bb.9351:                             ;   in Loop: Header=BB6_8433 Depth=4
	s_or_b64 exec, exec, s[48:49]
	v_add_u32_e32 v5, 0xffffff81, v29
	v_mov_b32_e32 v15, 0xffffff82
	v_cndmask_b32_e32 v5, v5, v15, vcc
	v_lshrrev_b32_e32 v15, 23, v14
	v_add3_u32 v29, v30, v5, v15
	v_add_u32_e32 v5, 6, v29
	v_and_b32_e32 v4, 0xfffff, v4
	v_add_u32_e32 v50, v4, v14
	v_cmp_ne_u32_e32 vcc, 0, v5
                                        ; implicit-def: $vgpr14_vgpr15
                                        ; implicit-def: $vgpr4
	s_and_saveexec_b64 s[28:29], vcc
	s_xor_b64 s[28:29], exec, s[28:29]
; %bb.9352:                             ;   in Loop: Header=BB6_8433 Depth=4
	v_cmp_lt_u64_e32 vcc, s[88:89], v[50:51]
	v_add_u32_e32 v4, 7, v29
	v_cndmask_b32_e32 v4, v5, v4, vcc
	v_cndmask_b32_e64 v5, 0, 1, vcc
	v_lshrrev_b64 v[14:15], v5, v[50:51]
; %bb.9353:                             ;   in Loop: Header=BB6_8433 Depth=4
	s_andn2_saveexec_b64 s[28:29], s[28:29]
; %bb.9354:                             ;   in Loop: Header=BB6_8433 Depth=4
	v_mov_b32_e32 v14, v50
	v_mov_b32_e32 v15, v51
	v_bfe_u32 v4, v50, 23, 1
; %bb.9355:                             ;   in Loop: Header=BB6_8433 Depth=4
	s_or_b64 exec, exec, s[28:29]
	v_lshrrev_b64 v[14:15], 20, v[14:15]
	v_cmp_gt_i32_e32 vcc, 16, v4
	v_cndmask_b32_e32 v15, 0, v15, vcc
	v_cndmask_b32_e32 v14, 7, v14, vcc
	v_cmp_ne_u64_e32 vcc, 0, v[14:15]
	v_cmp_ne_u32_e64 s[28:29], 0, v4
	s_or_b64 s[28:29], s[28:29], vcc
                                        ; implicit-def: $vgpr34
	s_and_saveexec_b64 vcc, s[28:29]
	s_xor_b64 s[28:29], exec, vcc
; %bb.9356:                             ;   in Loop: Header=BB6_8433 Depth=4
	v_min_i32_e32 v4, 15, v4
	v_lshl_or_b32 v4, v4, 3, v19
	v_and_or_b32 v34, v14, 7, v4
                                        ; implicit-def: $vgpr19
; %bb.9357:                             ;   in Loop: Header=BB6_8433 Depth=4
	s_andn2_saveexec_b64 s[28:29], s[28:29]
; %bb.9358:                             ;   in Loop: Header=BB6_8433 Depth=4
	v_mov_b32_e32 v34, v19
; %bb.9359:                             ;   in Loop: Header=BB6_8433 Depth=4
	s_or_b64 exec, exec, s[28:29]
.LBB6_9360:                             ;   in Loop: Header=BB6_8433 Depth=4
	s_or_b64 exec, exec, s[38:39]
                                        ; implicit-def: $vgpr19
.LBB6_9361:                             ;   in Loop: Header=BB6_8433 Depth=4
	s_andn2_saveexec_b64 s[28:29], s[36:37]
; %bb.9362:                             ;   in Loop: Header=BB6_8433 Depth=4
	v_or_b32_e32 v34, 0x7e, v19
; %bb.9363:                             ;   in Loop: Header=BB6_8433 Depth=4
	s_or_b64 exec, exec, s[28:29]
                                        ; implicit-def: $vgpr4
.LBB6_9364:                             ;   in Loop: Header=BB6_8433 Depth=4
	s_andn2_saveexec_b64 s[28:29], s[34:35]
; %bb.9365:                             ;   in Loop: Header=BB6_8433 Depth=4
	v_or_b32_sdwa v34, v4, s86 dst_sel:DWORD dst_unused:UNUSED_PAD src0_sel:BYTE_3 src1_sel:DWORD
; %bb.9366:                             ;   in Loop: Header=BB6_8433 Depth=4
	s_or_b64 exec, exec, s[28:29]
	v_and_b32_e32 v14, 0xff, v49
	v_cmp_ne_u16_e32 vcc, 0, v14
	v_mov_b32_e32 v4, 0
	v_mov_b32_e32 v5, 0
	s_and_saveexec_b64 s[28:29], vcc
	s_cbranch_execz .LBB6_9372
; %bb.9367:                             ;   in Loop: Header=BB6_8433 Depth=4
	v_cmp_ne_u16_e32 vcc, s96, v14
	v_bfrev_b32_e32 v5, 1
	s_and_saveexec_b64 s[34:35], vcc
	s_cbranch_execz .LBB6_9371
; %bb.9368:                             ;   in Loop: Header=BB6_8433 Depth=4
	v_and_b32_e32 v15, 0x7f, v49
	v_cmp_ne_u32_e32 vcc, s86, v15
	v_mov_b32_e32 v5, 0x7f800001
	s_and_saveexec_b64 s[36:37], vcc
	s_cbranch_execz .LBB6_9370
; %bb.9369:                             ;   in Loop: Header=BB6_8433 Depth=4
	v_and_b32_e32 v5, 7, v14
	v_lshrrev_b32_e32 v19, 3, v15
	v_cmp_gt_u32_e32 vcc, 8, v15
	v_ffbh_u32_e32 v15, v5
	v_min_u32_e32 v29, 32, v15
	v_subrev_u32_e32 v15, 28, v29
	v_lshlrev_b64 v[14:15], v15, v[14:15]
	v_sub_u32_e32 v15, 29, v29
	v_and_b32_e32 v14, 7, v14
	v_cndmask_b32_e32 v15, v19, v15, vcc
	v_cndmask_b32_e32 v5, v5, v14, vcc
	v_lshlrev_b32_e32 v14, 24, v49
	v_bfrev_b32_e32 v19, 60
	v_lshlrev_b32_e32 v5, 20, v5
	v_and_b32_e32 v14, 0x80000000, v14
	v_lshl_add_u32 v15, v15, 23, v19
	v_or3_b32 v5, v14, v15, v5
.LBB6_9370:                             ;   in Loop: Header=BB6_8433 Depth=4
	s_or_b64 exec, exec, s[36:37]
.LBB6_9371:                             ;   in Loop: Header=BB6_8433 Depth=4
	s_or_b64 exec, exec, s[34:35]
.LBB6_9372:                             ;   in Loop: Header=BB6_8433 Depth=4
	s_or_b64 exec, exec, s[28:29]
	v_and_b32_e32 v14, 0xff, v28
	v_cmp_ne_u16_e32 vcc, 0, v14
	s_and_saveexec_b64 s[28:29], vcc
	s_cbranch_execz .LBB6_9378
; %bb.9373:                             ;   in Loop: Header=BB6_8433 Depth=4
	v_cmp_ne_u16_e32 vcc, s96, v14
	v_bfrev_b32_e32 v4, 1
	s_and_saveexec_b64 s[34:35], vcc
	s_cbranch_execz .LBB6_9377
; %bb.9374:                             ;   in Loop: Header=BB6_8433 Depth=4
	v_and_b32_e32 v15, 0x7f, v28
	v_cmp_ne_u32_e32 vcc, s86, v15
	v_mov_b32_e32 v4, 0x7f800001
	s_and_saveexec_b64 s[36:37], vcc
	s_cbranch_execz .LBB6_9376
; %bb.9375:                             ;   in Loop: Header=BB6_8433 Depth=4
	v_and_b32_e32 v4, 7, v14
	v_lshrrev_b32_e32 v19, 3, v15
	v_cmp_gt_u32_e32 vcc, 8, v15
	v_ffbh_u32_e32 v15, v4
	v_min_u32_e32 v29, 32, v15
	v_subrev_u32_e32 v15, 28, v29
	v_lshlrev_b64 v[14:15], v15, v[14:15]
	v_sub_u32_e32 v15, 29, v29
	v_and_b32_e32 v14, 7, v14
	v_cndmask_b32_e32 v15, v19, v15, vcc
	v_cndmask_b32_e32 v4, v4, v14, vcc
	v_lshlrev_b32_e32 v14, 24, v28
	v_bfrev_b32_e32 v19, 60
	v_lshlrev_b32_e32 v4, 20, v4
	v_and_b32_e32 v14, 0x80000000, v14
	v_lshl_add_u32 v15, v15, 23, v19
	v_or3_b32 v4, v14, v15, v4
.LBB6_9376:                             ;   in Loop: Header=BB6_8433 Depth=4
	s_or_b64 exec, exec, s[36:37]
.LBB6_9377:                             ;   in Loop: Header=BB6_8433 Depth=4
	s_or_b64 exec, exec, s[34:35]
.LBB6_9378:                             ;   in Loop: Header=BB6_8433 Depth=4
	s_or_b64 exec, exec, s[28:29]
	v_add_f32_e32 v4, v5, v4
	v_and_b32_e32 v50, 0x7f800000, v4
	v_cmp_ne_u64_e32 vcc, s[76:77], v[50:51]
                                        ; implicit-def: $vgpr49
	s_and_saveexec_b64 s[28:29], vcc
	s_xor_b64 s[34:35], exec, s[28:29]
	s_cbranch_execz .LBB6_9396
; %bb.9379:                             ;   in Loop: Header=BB6_8433 Depth=4
	v_and_b32_e32 v50, 0x7fffffff, v4
	v_cmp_gt_u64_e32 vcc, s[78:79], v[50:51]
	v_and_b32_sdwa v19, v4, s96 dst_sel:DWORD dst_unused:UNUSED_PAD src0_sel:BYTE_3 src1_sel:DWORD
                                        ; implicit-def: $vgpr49
	s_and_saveexec_b64 s[28:29], vcc
	s_xor_b64 s[36:37], exec, s[28:29]
	s_cbranch_execz .LBB6_9393
; %bb.9380:                             ;   in Loop: Header=BB6_8433 Depth=4
	v_cmp_ne_u32_e32 vcc, 0, v4
	v_mov_b32_e32 v49, 0
	s_and_saveexec_b64 s[38:39], vcc
	s_cbranch_execz .LBB6_9392
; %bb.9381:                             ;   in Loop: Header=BB6_8433 Depth=4
	v_bfe_u32 v28, v4, 23, 8
	v_and_b32_e32 v5, 0x7fffff, v4
	v_cmp_gt_u32_e64 s[28:29], s97, v28
	v_sub_u32_e32 v4, 0x79, v28
	v_cmp_eq_u32_e32 vcc, 0, v28
	v_cndmask_b32_e64 v4, 0, v4, s[28:29]
	v_mov_b32_e32 v15, 0x78
	v_cndmask_b32_e32 v29, v4, v15, vcc
	v_or_b32_e32 v14, 0x800000, v5
	v_add_u32_e32 v4, 20, v29
	v_cndmask_b32_e32 v50, v14, v5, vcc
	v_lshlrev_b64 v[4:5], v4, -1
	v_add_u32_e32 v14, 19, v29
	v_lshlrev_b64 v[14:15], v14, 1
	v_bfi_b32 v5, v5, 0, 0
	v_bfi_b32 v4, v4, 0, v50
	v_cmp_eq_u64_e64 s[28:29], v[4:5], v[14:15]
	v_lshrrev_b64 v[14:15], v29, v[50:51]
	v_mov_b32_e32 v4, v14
	v_mov_b32_e32 v5, v15
	s_and_saveexec_b64 s[48:49], s[28:29]
; %bb.9382:                             ;   in Loop: Header=BB6_8433 Depth=4
	v_bfe_u32 v4, v14, 20, 1
	v_add_co_u32_e64 v4, s[28:29], v14, v4
	v_add_co_u32_e64 v4, s[28:29], -1, v4
; %bb.9383:                             ;   in Loop: Header=BB6_8433 Depth=4
	s_or_b64 exec, exec, s[48:49]
	v_add_u32_e32 v5, 0xffffff81, v28
	v_mov_b32_e32 v15, 0xffffff82
	v_cndmask_b32_e32 v5, v5, v15, vcc
	v_lshrrev_b32_e32 v15, 23, v14
	v_add3_u32 v28, v29, v5, v15
	v_add_u32_e32 v5, 6, v28
	v_and_b32_e32 v4, 0xfffff, v4
	v_add_u32_e32 v50, v4, v14
	v_cmp_ne_u32_e32 vcc, 0, v5
                                        ; implicit-def: $vgpr14_vgpr15
                                        ; implicit-def: $vgpr4
	s_and_saveexec_b64 s[28:29], vcc
	s_xor_b64 s[28:29], exec, s[28:29]
; %bb.9384:                             ;   in Loop: Header=BB6_8433 Depth=4
	v_cmp_lt_u64_e32 vcc, s[88:89], v[50:51]
	v_add_u32_e32 v4, 7, v28
	v_cndmask_b32_e32 v4, v5, v4, vcc
	v_cndmask_b32_e64 v5, 0, 1, vcc
	v_lshrrev_b64 v[14:15], v5, v[50:51]
; %bb.9385:                             ;   in Loop: Header=BB6_8433 Depth=4
	s_andn2_saveexec_b64 s[28:29], s[28:29]
; %bb.9386:                             ;   in Loop: Header=BB6_8433 Depth=4
	v_mov_b32_e32 v14, v50
	v_mov_b32_e32 v15, v51
	v_bfe_u32 v4, v50, 23, 1
; %bb.9387:                             ;   in Loop: Header=BB6_8433 Depth=4
	s_or_b64 exec, exec, s[28:29]
	v_lshrrev_b64 v[14:15], 20, v[14:15]
	v_cmp_gt_i32_e32 vcc, 16, v4
	v_cndmask_b32_e32 v15, 0, v15, vcc
	v_cndmask_b32_e32 v14, 7, v14, vcc
	v_cmp_ne_u64_e32 vcc, 0, v[14:15]
	v_cmp_ne_u32_e64 s[28:29], 0, v4
	s_or_b64 s[28:29], s[28:29], vcc
                                        ; implicit-def: $vgpr49
	s_and_saveexec_b64 vcc, s[28:29]
	s_xor_b64 s[28:29], exec, vcc
; %bb.9388:                             ;   in Loop: Header=BB6_8433 Depth=4
	v_min_i32_e32 v4, 15, v4
	v_lshl_or_b32 v4, v4, 3, v19
	v_and_or_b32 v49, v14, 7, v4
                                        ; implicit-def: $vgpr19
; %bb.9389:                             ;   in Loop: Header=BB6_8433 Depth=4
	s_andn2_saveexec_b64 s[28:29], s[28:29]
; %bb.9390:                             ;   in Loop: Header=BB6_8433 Depth=4
	v_mov_b32_e32 v49, v19
; %bb.9391:                             ;   in Loop: Header=BB6_8433 Depth=4
	s_or_b64 exec, exec, s[28:29]
.LBB6_9392:                             ;   in Loop: Header=BB6_8433 Depth=4
	s_or_b64 exec, exec, s[38:39]
                                        ; implicit-def: $vgpr19
.LBB6_9393:                             ;   in Loop: Header=BB6_8433 Depth=4
	s_andn2_saveexec_b64 s[28:29], s[36:37]
; %bb.9394:                             ;   in Loop: Header=BB6_8433 Depth=4
	v_or_b32_e32 v49, 0x7e, v19
; %bb.9395:                             ;   in Loop: Header=BB6_8433 Depth=4
	s_or_b64 exec, exec, s[28:29]
                                        ; implicit-def: $vgpr4
.LBB6_9396:                             ;   in Loop: Header=BB6_8433 Depth=4
	s_andn2_saveexec_b64 s[28:29], s[34:35]
; %bb.9397:                             ;   in Loop: Header=BB6_8433 Depth=4
	v_or_b32_sdwa v49, v4, s86 dst_sel:DWORD dst_unused:UNUSED_PAD src0_sel:BYTE_3 src1_sel:DWORD
; %bb.9398:                             ;   in Loop: Header=BB6_8433 Depth=4
	s_or_b64 exec, exec, s[28:29]
	v_and_b32_e32 v14, 0xff, v43
	v_cmp_ne_u16_e32 vcc, 0, v14
	v_mov_b32_e32 v4, 0
	v_mov_b32_e32 v5, 0
	s_and_saveexec_b64 s[28:29], vcc
	s_cbranch_execz .LBB6_9404
; %bb.9399:                             ;   in Loop: Header=BB6_8433 Depth=4
	v_cmp_ne_u16_e32 vcc, s96, v14
	v_bfrev_b32_e32 v5, 1
	s_and_saveexec_b64 s[34:35], vcc
	s_cbranch_execz .LBB6_9403
; %bb.9400:                             ;   in Loop: Header=BB6_8433 Depth=4
	v_and_b32_e32 v15, 0x7f, v43
	v_cmp_ne_u32_e32 vcc, s86, v15
	v_mov_b32_e32 v5, 0x7f800001
	s_and_saveexec_b64 s[36:37], vcc
	s_cbranch_execz .LBB6_9402
; %bb.9401:                             ;   in Loop: Header=BB6_8433 Depth=4
	v_and_b32_e32 v5, 7, v14
	v_lshrrev_b32_e32 v19, 3, v15
	v_cmp_gt_u32_e32 vcc, 8, v15
	v_ffbh_u32_e32 v15, v5
	v_min_u32_e32 v28, 32, v15
	v_subrev_u32_e32 v15, 28, v28
	v_lshlrev_b64 v[14:15], v15, v[14:15]
	v_sub_u32_e32 v15, 29, v28
	v_and_b32_e32 v14, 7, v14
	v_cndmask_b32_e32 v15, v19, v15, vcc
	v_cndmask_b32_e32 v5, v5, v14, vcc
	v_lshlrev_b32_e32 v14, 24, v43
	v_bfrev_b32_e32 v19, 60
	v_lshlrev_b32_e32 v5, 20, v5
	v_and_b32_e32 v14, 0x80000000, v14
	v_lshl_add_u32 v15, v15, 23, v19
	v_or3_b32 v5, v14, v15, v5
.LBB6_9402:                             ;   in Loop: Header=BB6_8433 Depth=4
	s_or_b64 exec, exec, s[36:37]
.LBB6_9403:                             ;   in Loop: Header=BB6_8433 Depth=4
	s_or_b64 exec, exec, s[34:35]
.LBB6_9404:                             ;   in Loop: Header=BB6_8433 Depth=4
	s_or_b64 exec, exec, s[28:29]
	v_and_b32_e32 v14, 0xff, v26
	v_cmp_ne_u16_e32 vcc, 0, v14
	s_and_saveexec_b64 s[28:29], vcc
	s_cbranch_execz .LBB6_9410
; %bb.9405:                             ;   in Loop: Header=BB6_8433 Depth=4
	v_cmp_ne_u16_e32 vcc, s96, v14
	v_bfrev_b32_e32 v4, 1
	s_and_saveexec_b64 s[34:35], vcc
	s_cbranch_execz .LBB6_9409
; %bb.9406:                             ;   in Loop: Header=BB6_8433 Depth=4
	v_and_b32_e32 v15, 0x7f, v26
	v_cmp_ne_u32_e32 vcc, s86, v15
	v_mov_b32_e32 v4, 0x7f800001
	s_and_saveexec_b64 s[36:37], vcc
	s_cbranch_execz .LBB6_9408
; %bb.9407:                             ;   in Loop: Header=BB6_8433 Depth=4
	v_and_b32_e32 v4, 7, v14
	v_lshrrev_b32_e32 v19, 3, v15
	v_cmp_gt_u32_e32 vcc, 8, v15
	v_ffbh_u32_e32 v15, v4
	v_min_u32_e32 v28, 32, v15
	v_subrev_u32_e32 v15, 28, v28
	v_lshlrev_b64 v[14:15], v15, v[14:15]
	v_sub_u32_e32 v15, 29, v28
	v_and_b32_e32 v14, 7, v14
	v_cndmask_b32_e32 v15, v19, v15, vcc
	v_cndmask_b32_e32 v4, v4, v14, vcc
	v_lshlrev_b32_e32 v14, 24, v26
	v_bfrev_b32_e32 v19, 60
	v_lshlrev_b32_e32 v4, 20, v4
	v_and_b32_e32 v14, 0x80000000, v14
	v_lshl_add_u32 v15, v15, 23, v19
	v_or3_b32 v4, v14, v15, v4
.LBB6_9408:                             ;   in Loop: Header=BB6_8433 Depth=4
	s_or_b64 exec, exec, s[36:37]
.LBB6_9409:                             ;   in Loop: Header=BB6_8433 Depth=4
	s_or_b64 exec, exec, s[34:35]
.LBB6_9410:                             ;   in Loop: Header=BB6_8433 Depth=4
	s_or_b64 exec, exec, s[28:29]
	v_add_f32_e32 v4, v5, v4
	v_and_b32_e32 v50, 0x7f800000, v4
	v_cmp_ne_u64_e32 vcc, s[76:77], v[50:51]
                                        ; implicit-def: $vgpr43
	s_and_saveexec_b64 s[28:29], vcc
	s_xor_b64 s[34:35], exec, s[28:29]
	s_cbranch_execz .LBB6_9428
; %bb.9411:                             ;   in Loop: Header=BB6_8433 Depth=4
	v_and_b32_e32 v50, 0x7fffffff, v4
	v_cmp_gt_u64_e32 vcc, s[78:79], v[50:51]
	v_and_b32_sdwa v19, v4, s96 dst_sel:DWORD dst_unused:UNUSED_PAD src0_sel:BYTE_3 src1_sel:DWORD
                                        ; implicit-def: $vgpr43
	s_and_saveexec_b64 s[28:29], vcc
	s_xor_b64 s[36:37], exec, s[28:29]
	s_cbranch_execz .LBB6_9425
; %bb.9412:                             ;   in Loop: Header=BB6_8433 Depth=4
	v_cmp_ne_u32_e32 vcc, 0, v4
	v_mov_b32_e32 v43, 0
	s_and_saveexec_b64 s[38:39], vcc
	s_cbranch_execz .LBB6_9424
; %bb.9413:                             ;   in Loop: Header=BB6_8433 Depth=4
	v_bfe_u32 v26, v4, 23, 8
	v_and_b32_e32 v5, 0x7fffff, v4
	v_cmp_gt_u32_e64 s[28:29], s97, v26
	v_sub_u32_e32 v4, 0x79, v26
	v_cmp_eq_u32_e32 vcc, 0, v26
	v_cndmask_b32_e64 v4, 0, v4, s[28:29]
	v_mov_b32_e32 v15, 0x78
	v_cndmask_b32_e32 v28, v4, v15, vcc
	v_or_b32_e32 v14, 0x800000, v5
	v_add_u32_e32 v4, 20, v28
	v_cndmask_b32_e32 v50, v14, v5, vcc
	v_lshlrev_b64 v[4:5], v4, -1
	v_add_u32_e32 v14, 19, v28
	v_lshlrev_b64 v[14:15], v14, 1
	v_bfi_b32 v5, v5, 0, 0
	v_bfi_b32 v4, v4, 0, v50
	v_cmp_eq_u64_e64 s[28:29], v[4:5], v[14:15]
	v_lshrrev_b64 v[14:15], v28, v[50:51]
	v_mov_b32_e32 v4, v14
	v_mov_b32_e32 v5, v15
	s_and_saveexec_b64 s[48:49], s[28:29]
; %bb.9414:                             ;   in Loop: Header=BB6_8433 Depth=4
	v_bfe_u32 v4, v14, 20, 1
	v_add_co_u32_e64 v4, s[28:29], v14, v4
	v_add_co_u32_e64 v4, s[28:29], -1, v4
; %bb.9415:                             ;   in Loop: Header=BB6_8433 Depth=4
	s_or_b64 exec, exec, s[48:49]
	v_add_u32_e32 v5, 0xffffff81, v26
	v_mov_b32_e32 v15, 0xffffff82
	v_cndmask_b32_e32 v5, v5, v15, vcc
	v_lshrrev_b32_e32 v15, 23, v14
	v_add3_u32 v26, v28, v5, v15
	v_add_u32_e32 v5, 6, v26
	v_and_b32_e32 v4, 0xfffff, v4
	v_add_u32_e32 v50, v4, v14
	v_cmp_ne_u32_e32 vcc, 0, v5
                                        ; implicit-def: $vgpr14_vgpr15
                                        ; implicit-def: $vgpr4
	s_and_saveexec_b64 s[28:29], vcc
	s_xor_b64 s[28:29], exec, s[28:29]
; %bb.9416:                             ;   in Loop: Header=BB6_8433 Depth=4
	v_cmp_lt_u64_e32 vcc, s[88:89], v[50:51]
	v_add_u32_e32 v4, 7, v26
	v_cndmask_b32_e32 v4, v5, v4, vcc
	v_cndmask_b32_e64 v5, 0, 1, vcc
	v_lshrrev_b64 v[14:15], v5, v[50:51]
; %bb.9417:                             ;   in Loop: Header=BB6_8433 Depth=4
	s_andn2_saveexec_b64 s[28:29], s[28:29]
; %bb.9418:                             ;   in Loop: Header=BB6_8433 Depth=4
	v_mov_b32_e32 v14, v50
	v_mov_b32_e32 v15, v51
	v_bfe_u32 v4, v50, 23, 1
; %bb.9419:                             ;   in Loop: Header=BB6_8433 Depth=4
	s_or_b64 exec, exec, s[28:29]
	v_lshrrev_b64 v[14:15], 20, v[14:15]
	v_cmp_gt_i32_e32 vcc, 16, v4
	v_cndmask_b32_e32 v15, 0, v15, vcc
	v_cndmask_b32_e32 v14, 7, v14, vcc
	v_cmp_ne_u64_e32 vcc, 0, v[14:15]
	v_cmp_ne_u32_e64 s[28:29], 0, v4
	s_or_b64 s[28:29], s[28:29], vcc
                                        ; implicit-def: $vgpr43
	s_and_saveexec_b64 vcc, s[28:29]
	s_xor_b64 s[28:29], exec, vcc
; %bb.9420:                             ;   in Loop: Header=BB6_8433 Depth=4
	v_min_i32_e32 v4, 15, v4
	v_lshl_or_b32 v4, v4, 3, v19
	v_and_or_b32 v43, v14, 7, v4
                                        ; implicit-def: $vgpr19
; %bb.9421:                             ;   in Loop: Header=BB6_8433 Depth=4
	s_andn2_saveexec_b64 s[28:29], s[28:29]
; %bb.9422:                             ;   in Loop: Header=BB6_8433 Depth=4
	v_mov_b32_e32 v43, v19
; %bb.9423:                             ;   in Loop: Header=BB6_8433 Depth=4
	s_or_b64 exec, exec, s[28:29]
.LBB6_9424:                             ;   in Loop: Header=BB6_8433 Depth=4
	s_or_b64 exec, exec, s[38:39]
                                        ; implicit-def: $vgpr19
.LBB6_9425:                             ;   in Loop: Header=BB6_8433 Depth=4
	s_andn2_saveexec_b64 s[28:29], s[36:37]
; %bb.9426:                             ;   in Loop: Header=BB6_8433 Depth=4
	v_or_b32_e32 v43, 0x7e, v19
; %bb.9427:                             ;   in Loop: Header=BB6_8433 Depth=4
	s_or_b64 exec, exec, s[28:29]
                                        ; implicit-def: $vgpr4
.LBB6_9428:                             ;   in Loop: Header=BB6_8433 Depth=4
	s_andn2_saveexec_b64 s[28:29], s[34:35]
; %bb.9429:                             ;   in Loop: Header=BB6_8433 Depth=4
	v_or_b32_sdwa v43, v4, s86 dst_sel:DWORD dst_unused:UNUSED_PAD src0_sel:BYTE_3 src1_sel:DWORD
; %bb.9430:                             ;   in Loop: Header=BB6_8433 Depth=4
	s_or_b64 exec, exec, s[28:29]
	v_and_b32_e32 v14, 0xff, v46
	v_cmp_ne_u16_e32 vcc, 0, v14
	v_mov_b32_e32 v4, 0
	v_mov_b32_e32 v5, 0
	s_and_saveexec_b64 s[28:29], vcc
	s_cbranch_execz .LBB6_9436
; %bb.9431:                             ;   in Loop: Header=BB6_8433 Depth=4
	v_cmp_ne_u16_e32 vcc, s96, v14
	v_bfrev_b32_e32 v5, 1
	s_and_saveexec_b64 s[34:35], vcc
	s_cbranch_execz .LBB6_9435
; %bb.9432:                             ;   in Loop: Header=BB6_8433 Depth=4
	v_and_b32_e32 v15, 0x7f, v46
	v_cmp_ne_u32_e32 vcc, s86, v15
	v_mov_b32_e32 v5, 0x7f800001
	s_and_saveexec_b64 s[36:37], vcc
	s_cbranch_execz .LBB6_9434
; %bb.9433:                             ;   in Loop: Header=BB6_8433 Depth=4
	v_and_b32_e32 v5, 7, v14
	v_lshrrev_b32_e32 v19, 3, v15
	v_cmp_gt_u32_e32 vcc, 8, v15
	v_ffbh_u32_e32 v15, v5
	v_min_u32_e32 v26, 32, v15
	v_subrev_u32_e32 v15, 28, v26
	v_lshlrev_b64 v[14:15], v15, v[14:15]
	v_sub_u32_e32 v15, 29, v26
	v_and_b32_e32 v14, 7, v14
	v_cndmask_b32_e32 v15, v19, v15, vcc
	v_cndmask_b32_e32 v5, v5, v14, vcc
	v_lshlrev_b32_e32 v14, 24, v46
	v_bfrev_b32_e32 v19, 60
	v_lshlrev_b32_e32 v5, 20, v5
	v_and_b32_e32 v14, 0x80000000, v14
	v_lshl_add_u32 v15, v15, 23, v19
	v_or3_b32 v5, v14, v15, v5
.LBB6_9434:                             ;   in Loop: Header=BB6_8433 Depth=4
	s_or_b64 exec, exec, s[36:37]
.LBB6_9435:                             ;   in Loop: Header=BB6_8433 Depth=4
	s_or_b64 exec, exec, s[34:35]
.LBB6_9436:                             ;   in Loop: Header=BB6_8433 Depth=4
	s_or_b64 exec, exec, s[28:29]
	v_and_b32_e32 v14, 0xff, v24
	v_cmp_ne_u16_e32 vcc, 0, v14
	s_and_saveexec_b64 s[28:29], vcc
	s_cbranch_execz .LBB6_9442
; %bb.9437:                             ;   in Loop: Header=BB6_8433 Depth=4
	v_cmp_ne_u16_e32 vcc, s96, v14
	v_bfrev_b32_e32 v4, 1
	s_and_saveexec_b64 s[34:35], vcc
	s_cbranch_execz .LBB6_9441
; %bb.9438:                             ;   in Loop: Header=BB6_8433 Depth=4
	v_and_b32_e32 v15, 0x7f, v24
	v_cmp_ne_u32_e32 vcc, s86, v15
	v_mov_b32_e32 v4, 0x7f800001
	s_and_saveexec_b64 s[36:37], vcc
	s_cbranch_execz .LBB6_9440
; %bb.9439:                             ;   in Loop: Header=BB6_8433 Depth=4
	v_and_b32_e32 v4, 7, v14
	v_lshrrev_b32_e32 v19, 3, v15
	v_cmp_gt_u32_e32 vcc, 8, v15
	v_ffbh_u32_e32 v15, v4
	v_min_u32_e32 v26, 32, v15
	v_subrev_u32_e32 v15, 28, v26
	v_lshlrev_b64 v[14:15], v15, v[14:15]
	v_sub_u32_e32 v15, 29, v26
	v_and_b32_e32 v14, 7, v14
	v_cndmask_b32_e32 v15, v19, v15, vcc
	v_cndmask_b32_e32 v4, v4, v14, vcc
	v_lshlrev_b32_e32 v14, 24, v24
	v_bfrev_b32_e32 v19, 60
	v_lshlrev_b32_e32 v4, 20, v4
	v_and_b32_e32 v14, 0x80000000, v14
	v_lshl_add_u32 v15, v15, 23, v19
	v_or3_b32 v4, v14, v15, v4
.LBB6_9440:                             ;   in Loop: Header=BB6_8433 Depth=4
	s_or_b64 exec, exec, s[36:37]
.LBB6_9441:                             ;   in Loop: Header=BB6_8433 Depth=4
	s_or_b64 exec, exec, s[34:35]
.LBB6_9442:                             ;   in Loop: Header=BB6_8433 Depth=4
	s_or_b64 exec, exec, s[28:29]
	v_add_f32_e32 v4, v5, v4
	v_and_b32_e32 v50, 0x7f800000, v4
	v_cmp_ne_u64_e32 vcc, s[76:77], v[50:51]
                                        ; implicit-def: $vgpr46
	s_and_saveexec_b64 s[28:29], vcc
	s_xor_b64 s[34:35], exec, s[28:29]
	s_cbranch_execz .LBB6_9460
; %bb.9443:                             ;   in Loop: Header=BB6_8433 Depth=4
	v_and_b32_e32 v50, 0x7fffffff, v4
	v_cmp_gt_u64_e32 vcc, s[78:79], v[50:51]
	v_and_b32_sdwa v19, v4, s96 dst_sel:DWORD dst_unused:UNUSED_PAD src0_sel:BYTE_3 src1_sel:DWORD
                                        ; implicit-def: $vgpr46
	s_and_saveexec_b64 s[28:29], vcc
	s_xor_b64 s[36:37], exec, s[28:29]
	s_cbranch_execz .LBB6_9457
; %bb.9444:                             ;   in Loop: Header=BB6_8433 Depth=4
	v_cmp_ne_u32_e32 vcc, 0, v4
	v_mov_b32_e32 v46, 0
	s_and_saveexec_b64 s[38:39], vcc
	s_cbranch_execz .LBB6_9456
; %bb.9445:                             ;   in Loop: Header=BB6_8433 Depth=4
	v_bfe_u32 v24, v4, 23, 8
	v_and_b32_e32 v5, 0x7fffff, v4
	v_cmp_gt_u32_e64 s[28:29], s97, v24
	v_sub_u32_e32 v4, 0x79, v24
	v_cmp_eq_u32_e32 vcc, 0, v24
	v_cndmask_b32_e64 v4, 0, v4, s[28:29]
	v_mov_b32_e32 v15, 0x78
	v_cndmask_b32_e32 v26, v4, v15, vcc
	v_or_b32_e32 v14, 0x800000, v5
	v_add_u32_e32 v4, 20, v26
	v_cndmask_b32_e32 v50, v14, v5, vcc
	v_lshlrev_b64 v[4:5], v4, -1
	v_add_u32_e32 v14, 19, v26
	v_lshlrev_b64 v[14:15], v14, 1
	v_bfi_b32 v5, v5, 0, 0
	v_bfi_b32 v4, v4, 0, v50
	v_cmp_eq_u64_e64 s[28:29], v[4:5], v[14:15]
	v_lshrrev_b64 v[14:15], v26, v[50:51]
	v_mov_b32_e32 v4, v14
	v_mov_b32_e32 v5, v15
	s_and_saveexec_b64 s[48:49], s[28:29]
; %bb.9446:                             ;   in Loop: Header=BB6_8433 Depth=4
	v_bfe_u32 v4, v14, 20, 1
	v_add_co_u32_e64 v4, s[28:29], v14, v4
	v_add_co_u32_e64 v4, s[28:29], -1, v4
; %bb.9447:                             ;   in Loop: Header=BB6_8433 Depth=4
	s_or_b64 exec, exec, s[48:49]
	v_add_u32_e32 v5, 0xffffff81, v24
	v_mov_b32_e32 v15, 0xffffff82
	v_cndmask_b32_e32 v5, v5, v15, vcc
	v_lshrrev_b32_e32 v15, 23, v14
	v_add3_u32 v24, v26, v5, v15
	v_add_u32_e32 v5, 6, v24
	v_and_b32_e32 v4, 0xfffff, v4
	v_add_u32_e32 v50, v4, v14
	v_cmp_ne_u32_e32 vcc, 0, v5
                                        ; implicit-def: $vgpr14_vgpr15
                                        ; implicit-def: $vgpr4
	s_and_saveexec_b64 s[28:29], vcc
	s_xor_b64 s[28:29], exec, s[28:29]
; %bb.9448:                             ;   in Loop: Header=BB6_8433 Depth=4
	v_cmp_lt_u64_e32 vcc, s[88:89], v[50:51]
	v_add_u32_e32 v4, 7, v24
	v_cndmask_b32_e32 v4, v5, v4, vcc
	v_cndmask_b32_e64 v5, 0, 1, vcc
	v_lshrrev_b64 v[14:15], v5, v[50:51]
; %bb.9449:                             ;   in Loop: Header=BB6_8433 Depth=4
	s_andn2_saveexec_b64 s[28:29], s[28:29]
; %bb.9450:                             ;   in Loop: Header=BB6_8433 Depth=4
	v_mov_b32_e32 v14, v50
	v_mov_b32_e32 v15, v51
	v_bfe_u32 v4, v50, 23, 1
; %bb.9451:                             ;   in Loop: Header=BB6_8433 Depth=4
	s_or_b64 exec, exec, s[28:29]
	v_lshrrev_b64 v[14:15], 20, v[14:15]
	v_cmp_gt_i32_e32 vcc, 16, v4
	v_cndmask_b32_e32 v15, 0, v15, vcc
	v_cndmask_b32_e32 v14, 7, v14, vcc
	v_cmp_ne_u64_e32 vcc, 0, v[14:15]
	v_cmp_ne_u32_e64 s[28:29], 0, v4
	s_or_b64 s[28:29], s[28:29], vcc
                                        ; implicit-def: $vgpr46
	s_and_saveexec_b64 vcc, s[28:29]
	s_xor_b64 s[28:29], exec, vcc
; %bb.9452:                             ;   in Loop: Header=BB6_8433 Depth=4
	v_min_i32_e32 v4, 15, v4
	v_lshl_or_b32 v4, v4, 3, v19
	v_and_or_b32 v46, v14, 7, v4
                                        ; implicit-def: $vgpr19
; %bb.9453:                             ;   in Loop: Header=BB6_8433 Depth=4
	s_andn2_saveexec_b64 s[28:29], s[28:29]
; %bb.9454:                             ;   in Loop: Header=BB6_8433 Depth=4
	v_mov_b32_e32 v46, v19
; %bb.9455:                             ;   in Loop: Header=BB6_8433 Depth=4
	s_or_b64 exec, exec, s[28:29]
.LBB6_9456:                             ;   in Loop: Header=BB6_8433 Depth=4
	s_or_b64 exec, exec, s[38:39]
                                        ; implicit-def: $vgpr19
.LBB6_9457:                             ;   in Loop: Header=BB6_8433 Depth=4
	s_andn2_saveexec_b64 s[28:29], s[36:37]
; %bb.9458:                             ;   in Loop: Header=BB6_8433 Depth=4
	v_or_b32_e32 v46, 0x7e, v19
; %bb.9459:                             ;   in Loop: Header=BB6_8433 Depth=4
	s_or_b64 exec, exec, s[28:29]
                                        ; implicit-def: $vgpr4
.LBB6_9460:                             ;   in Loop: Header=BB6_8433 Depth=4
	s_andn2_saveexec_b64 s[28:29], s[34:35]
; %bb.9461:                             ;   in Loop: Header=BB6_8433 Depth=4
	v_or_b32_sdwa v46, v4, s86 dst_sel:DWORD dst_unused:UNUSED_PAD src0_sel:BYTE_3 src1_sel:DWORD
; %bb.9462:                             ;   in Loop: Header=BB6_8433 Depth=4
	s_or_b64 exec, exec, s[28:29]
	v_and_b32_e32 v14, 0xff, v45
	v_cmp_ne_u16_e32 vcc, 0, v14
	v_mov_b32_e32 v4, 0
	v_mov_b32_e32 v5, 0
	s_and_saveexec_b64 s[28:29], vcc
	s_cbranch_execz .LBB6_9468
; %bb.9463:                             ;   in Loop: Header=BB6_8433 Depth=4
	v_cmp_ne_u16_e32 vcc, s96, v14
	v_bfrev_b32_e32 v5, 1
	s_and_saveexec_b64 s[34:35], vcc
	s_cbranch_execz .LBB6_9467
; %bb.9464:                             ;   in Loop: Header=BB6_8433 Depth=4
	v_and_b32_e32 v15, 0x7f, v45
	v_cmp_ne_u32_e32 vcc, s86, v15
	v_mov_b32_e32 v5, 0x7f800001
	s_and_saveexec_b64 s[36:37], vcc
	s_cbranch_execz .LBB6_9466
; %bb.9465:                             ;   in Loop: Header=BB6_8433 Depth=4
	v_and_b32_e32 v5, 7, v14
	v_lshrrev_b32_e32 v19, 3, v15
	v_cmp_gt_u32_e32 vcc, 8, v15
	v_ffbh_u32_e32 v15, v5
	v_min_u32_e32 v24, 32, v15
	v_subrev_u32_e32 v15, 28, v24
	v_lshlrev_b64 v[14:15], v15, v[14:15]
	v_sub_u32_e32 v15, 29, v24
	v_and_b32_e32 v14, 7, v14
	v_cndmask_b32_e32 v15, v19, v15, vcc
	v_cndmask_b32_e32 v5, v5, v14, vcc
	v_lshlrev_b32_e32 v14, 24, v45
	v_bfrev_b32_e32 v19, 60
	v_lshlrev_b32_e32 v5, 20, v5
	v_and_b32_e32 v14, 0x80000000, v14
	v_lshl_add_u32 v15, v15, 23, v19
	v_or3_b32 v5, v14, v15, v5
.LBB6_9466:                             ;   in Loop: Header=BB6_8433 Depth=4
	s_or_b64 exec, exec, s[36:37]
.LBB6_9467:                             ;   in Loop: Header=BB6_8433 Depth=4
	s_or_b64 exec, exec, s[34:35]
.LBB6_9468:                             ;   in Loop: Header=BB6_8433 Depth=4
	s_or_b64 exec, exec, s[28:29]
	v_and_b32_e32 v14, 0xff, v23
	v_cmp_ne_u16_e32 vcc, 0, v14
	s_and_saveexec_b64 s[28:29], vcc
	s_cbranch_execz .LBB6_9474
; %bb.9469:                             ;   in Loop: Header=BB6_8433 Depth=4
	v_cmp_ne_u16_e32 vcc, s96, v14
	v_bfrev_b32_e32 v4, 1
	s_and_saveexec_b64 s[34:35], vcc
	s_cbranch_execz .LBB6_9473
; %bb.9470:                             ;   in Loop: Header=BB6_8433 Depth=4
	v_and_b32_e32 v15, 0x7f, v23
	v_cmp_ne_u32_e32 vcc, s86, v15
	v_mov_b32_e32 v4, 0x7f800001
	s_and_saveexec_b64 s[36:37], vcc
	s_cbranch_execz .LBB6_9472
; %bb.9471:                             ;   in Loop: Header=BB6_8433 Depth=4
	v_and_b32_e32 v4, 7, v14
	v_lshrrev_b32_e32 v19, 3, v15
	v_cmp_gt_u32_e32 vcc, 8, v15
	v_ffbh_u32_e32 v15, v4
	v_min_u32_e32 v24, 32, v15
	v_subrev_u32_e32 v15, 28, v24
	v_lshlrev_b64 v[14:15], v15, v[14:15]
	v_sub_u32_e32 v15, 29, v24
	v_and_b32_e32 v14, 7, v14
	v_cndmask_b32_e32 v15, v19, v15, vcc
	v_cndmask_b32_e32 v4, v4, v14, vcc
	v_lshlrev_b32_e32 v14, 24, v23
	v_bfrev_b32_e32 v19, 60
	v_lshlrev_b32_e32 v4, 20, v4
	v_and_b32_e32 v14, 0x80000000, v14
	v_lshl_add_u32 v15, v15, 23, v19
	v_or3_b32 v4, v14, v15, v4
.LBB6_9472:                             ;   in Loop: Header=BB6_8433 Depth=4
	s_or_b64 exec, exec, s[36:37]
.LBB6_9473:                             ;   in Loop: Header=BB6_8433 Depth=4
	s_or_b64 exec, exec, s[34:35]
.LBB6_9474:                             ;   in Loop: Header=BB6_8433 Depth=4
	s_or_b64 exec, exec, s[28:29]
	v_add_f32_e32 v4, v5, v4
	v_and_b32_e32 v50, 0x7f800000, v4
	v_cmp_ne_u64_e32 vcc, s[76:77], v[50:51]
                                        ; implicit-def: $vgpr45
	s_and_saveexec_b64 s[28:29], vcc
	s_xor_b64 s[34:35], exec, s[28:29]
	s_cbranch_execz .LBB6_9492
; %bb.9475:                             ;   in Loop: Header=BB6_8433 Depth=4
	v_and_b32_e32 v50, 0x7fffffff, v4
	v_cmp_gt_u64_e32 vcc, s[78:79], v[50:51]
	v_and_b32_sdwa v19, v4, s96 dst_sel:DWORD dst_unused:UNUSED_PAD src0_sel:BYTE_3 src1_sel:DWORD
                                        ; implicit-def: $vgpr45
	s_and_saveexec_b64 s[28:29], vcc
	s_xor_b64 s[36:37], exec, s[28:29]
	s_cbranch_execz .LBB6_9489
; %bb.9476:                             ;   in Loop: Header=BB6_8433 Depth=4
	v_cmp_ne_u32_e32 vcc, 0, v4
	v_mov_b32_e32 v45, 0
	s_and_saveexec_b64 s[38:39], vcc
	s_cbranch_execz .LBB6_9488
; %bb.9477:                             ;   in Loop: Header=BB6_8433 Depth=4
	v_bfe_u32 v23, v4, 23, 8
	v_and_b32_e32 v5, 0x7fffff, v4
	v_cmp_gt_u32_e64 s[28:29], s97, v23
	v_sub_u32_e32 v4, 0x79, v23
	v_cmp_eq_u32_e32 vcc, 0, v23
	v_cndmask_b32_e64 v4, 0, v4, s[28:29]
	v_mov_b32_e32 v15, 0x78
	v_cndmask_b32_e32 v24, v4, v15, vcc
	v_or_b32_e32 v14, 0x800000, v5
	v_add_u32_e32 v4, 20, v24
	v_cndmask_b32_e32 v50, v14, v5, vcc
	v_lshlrev_b64 v[4:5], v4, -1
	v_add_u32_e32 v14, 19, v24
	v_lshlrev_b64 v[14:15], v14, 1
	v_bfi_b32 v5, v5, 0, 0
	v_bfi_b32 v4, v4, 0, v50
	v_cmp_eq_u64_e64 s[28:29], v[4:5], v[14:15]
	v_lshrrev_b64 v[14:15], v24, v[50:51]
	v_mov_b32_e32 v4, v14
	v_mov_b32_e32 v5, v15
	s_and_saveexec_b64 s[48:49], s[28:29]
; %bb.9478:                             ;   in Loop: Header=BB6_8433 Depth=4
	v_bfe_u32 v4, v14, 20, 1
	v_add_co_u32_e64 v4, s[28:29], v14, v4
	v_add_co_u32_e64 v4, s[28:29], -1, v4
; %bb.9479:                             ;   in Loop: Header=BB6_8433 Depth=4
	s_or_b64 exec, exec, s[48:49]
	v_add_u32_e32 v5, 0xffffff81, v23
	v_mov_b32_e32 v15, 0xffffff82
	v_cndmask_b32_e32 v5, v5, v15, vcc
	v_lshrrev_b32_e32 v15, 23, v14
	v_add3_u32 v23, v24, v5, v15
	v_add_u32_e32 v5, 6, v23
	v_and_b32_e32 v4, 0xfffff, v4
	v_add_u32_e32 v50, v4, v14
	v_cmp_ne_u32_e32 vcc, 0, v5
                                        ; implicit-def: $vgpr14_vgpr15
                                        ; implicit-def: $vgpr4
	s_and_saveexec_b64 s[28:29], vcc
	s_xor_b64 s[28:29], exec, s[28:29]
; %bb.9480:                             ;   in Loop: Header=BB6_8433 Depth=4
	v_cmp_lt_u64_e32 vcc, s[88:89], v[50:51]
	v_add_u32_e32 v4, 7, v23
	v_cndmask_b32_e32 v4, v5, v4, vcc
	v_cndmask_b32_e64 v5, 0, 1, vcc
	v_lshrrev_b64 v[14:15], v5, v[50:51]
; %bb.9481:                             ;   in Loop: Header=BB6_8433 Depth=4
	s_andn2_saveexec_b64 s[28:29], s[28:29]
; %bb.9482:                             ;   in Loop: Header=BB6_8433 Depth=4
	v_mov_b32_e32 v14, v50
	v_mov_b32_e32 v15, v51
	v_bfe_u32 v4, v50, 23, 1
; %bb.9483:                             ;   in Loop: Header=BB6_8433 Depth=4
	s_or_b64 exec, exec, s[28:29]
	v_lshrrev_b64 v[14:15], 20, v[14:15]
	v_cmp_gt_i32_e32 vcc, 16, v4
	v_cndmask_b32_e32 v15, 0, v15, vcc
	v_cndmask_b32_e32 v14, 7, v14, vcc
	v_cmp_ne_u64_e32 vcc, 0, v[14:15]
	v_cmp_ne_u32_e64 s[28:29], 0, v4
	s_or_b64 s[28:29], s[28:29], vcc
                                        ; implicit-def: $vgpr45
	s_and_saveexec_b64 vcc, s[28:29]
	s_xor_b64 s[28:29], exec, vcc
; %bb.9484:                             ;   in Loop: Header=BB6_8433 Depth=4
	v_min_i32_e32 v4, 15, v4
	v_lshl_or_b32 v4, v4, 3, v19
	v_and_or_b32 v45, v14, 7, v4
                                        ; implicit-def: $vgpr19
; %bb.9485:                             ;   in Loop: Header=BB6_8433 Depth=4
	s_andn2_saveexec_b64 s[28:29], s[28:29]
; %bb.9486:                             ;   in Loop: Header=BB6_8433 Depth=4
	v_mov_b32_e32 v45, v19
; %bb.9487:                             ;   in Loop: Header=BB6_8433 Depth=4
	s_or_b64 exec, exec, s[28:29]
.LBB6_9488:                             ;   in Loop: Header=BB6_8433 Depth=4
	s_or_b64 exec, exec, s[38:39]
                                        ; implicit-def: $vgpr19
.LBB6_9489:                             ;   in Loop: Header=BB6_8433 Depth=4
	s_andn2_saveexec_b64 s[28:29], s[36:37]
; %bb.9490:                             ;   in Loop: Header=BB6_8433 Depth=4
	v_or_b32_e32 v45, 0x7e, v19
; %bb.9491:                             ;   in Loop: Header=BB6_8433 Depth=4
	s_or_b64 exec, exec, s[28:29]
                                        ; implicit-def: $vgpr4
.LBB6_9492:                             ;   in Loop: Header=BB6_8433 Depth=4
	s_andn2_saveexec_b64 s[28:29], s[34:35]
; %bb.9493:                             ;   in Loop: Header=BB6_8433 Depth=4
	v_or_b32_sdwa v45, v4, s86 dst_sel:DWORD dst_unused:UNUSED_PAD src0_sel:BYTE_3 src1_sel:DWORD
; %bb.9494:                             ;   in Loop: Header=BB6_8433 Depth=4
	s_or_b64 exec, exec, s[28:29]
	v_and_b32_e32 v14, 0xff, v42
	v_cmp_ne_u16_e32 vcc, 0, v14
	v_mov_b32_e32 v4, 0
	v_mov_b32_e32 v5, 0
	s_and_saveexec_b64 s[28:29], vcc
	s_cbranch_execz .LBB6_9500
; %bb.9495:                             ;   in Loop: Header=BB6_8433 Depth=4
	v_cmp_ne_u16_e32 vcc, s96, v14
	v_bfrev_b32_e32 v5, 1
	s_and_saveexec_b64 s[34:35], vcc
	s_cbranch_execz .LBB6_9499
; %bb.9496:                             ;   in Loop: Header=BB6_8433 Depth=4
	v_and_b32_e32 v15, 0x7f, v42
	v_cmp_ne_u32_e32 vcc, s86, v15
	v_mov_b32_e32 v5, 0x7f800001
	s_and_saveexec_b64 s[36:37], vcc
	s_cbranch_execz .LBB6_9498
; %bb.9497:                             ;   in Loop: Header=BB6_8433 Depth=4
	v_and_b32_e32 v5, 7, v14
	v_lshrrev_b32_e32 v19, 3, v15
	v_cmp_gt_u32_e32 vcc, 8, v15
	v_ffbh_u32_e32 v15, v5
	v_min_u32_e32 v23, 32, v15
	v_subrev_u32_e32 v15, 28, v23
	v_lshlrev_b64 v[14:15], v15, v[14:15]
	v_sub_u32_e32 v15, 29, v23
	v_and_b32_e32 v14, 7, v14
	v_cndmask_b32_e32 v15, v19, v15, vcc
	v_cndmask_b32_e32 v5, v5, v14, vcc
	v_lshlrev_b32_e32 v14, 24, v42
	v_bfrev_b32_e32 v19, 60
	v_lshlrev_b32_e32 v5, 20, v5
	v_and_b32_e32 v14, 0x80000000, v14
	v_lshl_add_u32 v15, v15, 23, v19
	v_or3_b32 v5, v14, v15, v5
.LBB6_9498:                             ;   in Loop: Header=BB6_8433 Depth=4
	s_or_b64 exec, exec, s[36:37]
.LBB6_9499:                             ;   in Loop: Header=BB6_8433 Depth=4
	s_or_b64 exec, exec, s[34:35]
.LBB6_9500:                             ;   in Loop: Header=BB6_8433 Depth=4
	s_or_b64 exec, exec, s[28:29]
	v_and_b32_e32 v14, 0xff, v22
	v_cmp_ne_u16_e32 vcc, 0, v14
	s_and_saveexec_b64 s[28:29], vcc
	s_cbranch_execz .LBB6_9506
; %bb.9501:                             ;   in Loop: Header=BB6_8433 Depth=4
	v_cmp_ne_u16_e32 vcc, s96, v14
	v_bfrev_b32_e32 v4, 1
	s_and_saveexec_b64 s[34:35], vcc
	s_cbranch_execz .LBB6_9505
; %bb.9502:                             ;   in Loop: Header=BB6_8433 Depth=4
	v_and_b32_e32 v15, 0x7f, v22
	v_cmp_ne_u32_e32 vcc, s86, v15
	v_mov_b32_e32 v4, 0x7f800001
	s_and_saveexec_b64 s[36:37], vcc
	s_cbranch_execz .LBB6_9504
; %bb.9503:                             ;   in Loop: Header=BB6_8433 Depth=4
	v_and_b32_e32 v4, 7, v14
	v_lshrrev_b32_e32 v19, 3, v15
	v_cmp_gt_u32_e32 vcc, 8, v15
	v_ffbh_u32_e32 v15, v4
	v_min_u32_e32 v23, 32, v15
	v_subrev_u32_e32 v15, 28, v23
	v_lshlrev_b64 v[14:15], v15, v[14:15]
	v_sub_u32_e32 v15, 29, v23
	v_and_b32_e32 v14, 7, v14
	v_cndmask_b32_e32 v15, v19, v15, vcc
	v_cndmask_b32_e32 v4, v4, v14, vcc
	v_lshlrev_b32_e32 v14, 24, v22
	v_bfrev_b32_e32 v19, 60
	v_lshlrev_b32_e32 v4, 20, v4
	v_and_b32_e32 v14, 0x80000000, v14
	v_lshl_add_u32 v15, v15, 23, v19
	v_or3_b32 v4, v14, v15, v4
.LBB6_9504:                             ;   in Loop: Header=BB6_8433 Depth=4
	s_or_b64 exec, exec, s[36:37]
.LBB6_9505:                             ;   in Loop: Header=BB6_8433 Depth=4
	s_or_b64 exec, exec, s[34:35]
.LBB6_9506:                             ;   in Loop: Header=BB6_8433 Depth=4
	s_or_b64 exec, exec, s[28:29]
	v_add_f32_e32 v4, v5, v4
	v_and_b32_e32 v50, 0x7f800000, v4
	v_cmp_ne_u64_e32 vcc, s[76:77], v[50:51]
                                        ; implicit-def: $vgpr42
	s_and_saveexec_b64 s[28:29], vcc
	s_xor_b64 s[34:35], exec, s[28:29]
	s_cbranch_execz .LBB6_9524
; %bb.9507:                             ;   in Loop: Header=BB6_8433 Depth=4
	v_and_b32_e32 v50, 0x7fffffff, v4
	v_cmp_gt_u64_e32 vcc, s[78:79], v[50:51]
	v_and_b32_sdwa v19, v4, s96 dst_sel:DWORD dst_unused:UNUSED_PAD src0_sel:BYTE_3 src1_sel:DWORD
                                        ; implicit-def: $vgpr42
	s_and_saveexec_b64 s[28:29], vcc
	s_xor_b64 s[36:37], exec, s[28:29]
	s_cbranch_execz .LBB6_9521
; %bb.9508:                             ;   in Loop: Header=BB6_8433 Depth=4
	v_cmp_ne_u32_e32 vcc, 0, v4
	v_mov_b32_e32 v42, 0
	s_and_saveexec_b64 s[38:39], vcc
	s_cbranch_execz .LBB6_9520
; %bb.9509:                             ;   in Loop: Header=BB6_8433 Depth=4
	v_bfe_u32 v22, v4, 23, 8
	v_and_b32_e32 v5, 0x7fffff, v4
	v_cmp_gt_u32_e64 s[28:29], s97, v22
	v_sub_u32_e32 v4, 0x79, v22
	v_cmp_eq_u32_e32 vcc, 0, v22
	v_cndmask_b32_e64 v4, 0, v4, s[28:29]
	v_mov_b32_e32 v15, 0x78
	v_cndmask_b32_e32 v23, v4, v15, vcc
	v_or_b32_e32 v14, 0x800000, v5
	v_add_u32_e32 v4, 20, v23
	v_cndmask_b32_e32 v50, v14, v5, vcc
	v_lshlrev_b64 v[4:5], v4, -1
	v_add_u32_e32 v14, 19, v23
	v_lshlrev_b64 v[14:15], v14, 1
	v_bfi_b32 v5, v5, 0, 0
	v_bfi_b32 v4, v4, 0, v50
	v_cmp_eq_u64_e64 s[28:29], v[4:5], v[14:15]
	v_lshrrev_b64 v[14:15], v23, v[50:51]
	v_mov_b32_e32 v4, v14
	v_mov_b32_e32 v5, v15
	s_and_saveexec_b64 s[48:49], s[28:29]
; %bb.9510:                             ;   in Loop: Header=BB6_8433 Depth=4
	v_bfe_u32 v4, v14, 20, 1
	v_add_co_u32_e64 v4, s[28:29], v14, v4
	v_add_co_u32_e64 v4, s[28:29], -1, v4
; %bb.9511:                             ;   in Loop: Header=BB6_8433 Depth=4
	s_or_b64 exec, exec, s[48:49]
	v_add_u32_e32 v5, 0xffffff81, v22
	v_mov_b32_e32 v15, 0xffffff82
	v_cndmask_b32_e32 v5, v5, v15, vcc
	v_lshrrev_b32_e32 v15, 23, v14
	v_add3_u32 v22, v23, v5, v15
	v_add_u32_e32 v5, 6, v22
	v_and_b32_e32 v4, 0xfffff, v4
	v_add_u32_e32 v50, v4, v14
	v_cmp_ne_u32_e32 vcc, 0, v5
                                        ; implicit-def: $vgpr14_vgpr15
                                        ; implicit-def: $vgpr4
	s_and_saveexec_b64 s[28:29], vcc
	s_xor_b64 s[28:29], exec, s[28:29]
; %bb.9512:                             ;   in Loop: Header=BB6_8433 Depth=4
	v_cmp_lt_u64_e32 vcc, s[88:89], v[50:51]
	v_add_u32_e32 v4, 7, v22
	v_cndmask_b32_e32 v4, v5, v4, vcc
	v_cndmask_b32_e64 v5, 0, 1, vcc
	v_lshrrev_b64 v[14:15], v5, v[50:51]
; %bb.9513:                             ;   in Loop: Header=BB6_8433 Depth=4
	s_andn2_saveexec_b64 s[28:29], s[28:29]
; %bb.9514:                             ;   in Loop: Header=BB6_8433 Depth=4
	v_mov_b32_e32 v14, v50
	v_mov_b32_e32 v15, v51
	v_bfe_u32 v4, v50, 23, 1
; %bb.9515:                             ;   in Loop: Header=BB6_8433 Depth=4
	s_or_b64 exec, exec, s[28:29]
	v_lshrrev_b64 v[14:15], 20, v[14:15]
	v_cmp_gt_i32_e32 vcc, 16, v4
	v_cndmask_b32_e32 v15, 0, v15, vcc
	v_cndmask_b32_e32 v14, 7, v14, vcc
	v_cmp_ne_u64_e32 vcc, 0, v[14:15]
	v_cmp_ne_u32_e64 s[28:29], 0, v4
	s_or_b64 s[28:29], s[28:29], vcc
                                        ; implicit-def: $vgpr42
	s_and_saveexec_b64 vcc, s[28:29]
	s_xor_b64 s[28:29], exec, vcc
; %bb.9516:                             ;   in Loop: Header=BB6_8433 Depth=4
	v_min_i32_e32 v4, 15, v4
	v_lshl_or_b32 v4, v4, 3, v19
	v_and_or_b32 v42, v14, 7, v4
                                        ; implicit-def: $vgpr19
; %bb.9517:                             ;   in Loop: Header=BB6_8433 Depth=4
	s_andn2_saveexec_b64 s[28:29], s[28:29]
; %bb.9518:                             ;   in Loop: Header=BB6_8433 Depth=4
	v_mov_b32_e32 v42, v19
; %bb.9519:                             ;   in Loop: Header=BB6_8433 Depth=4
	s_or_b64 exec, exec, s[28:29]
.LBB6_9520:                             ;   in Loop: Header=BB6_8433 Depth=4
	s_or_b64 exec, exec, s[38:39]
                                        ; implicit-def: $vgpr19
.LBB6_9521:                             ;   in Loop: Header=BB6_8433 Depth=4
	s_andn2_saveexec_b64 s[28:29], s[36:37]
; %bb.9522:                             ;   in Loop: Header=BB6_8433 Depth=4
	v_or_b32_e32 v42, 0x7e, v19
; %bb.9523:                             ;   in Loop: Header=BB6_8433 Depth=4
	s_or_b64 exec, exec, s[28:29]
                                        ; implicit-def: $vgpr4
.LBB6_9524:                             ;   in Loop: Header=BB6_8433 Depth=4
	s_andn2_saveexec_b64 s[28:29], s[34:35]
; %bb.9525:                             ;   in Loop: Header=BB6_8433 Depth=4
	v_or_b32_sdwa v42, v4, s86 dst_sel:DWORD dst_unused:UNUSED_PAD src0_sel:BYTE_3 src1_sel:DWORD
; %bb.9526:                             ;   in Loop: Header=BB6_8433 Depth=4
	s_or_b64 exec, exec, s[28:29]
	v_and_b32_e32 v14, 0xff, v41
	v_cmp_ne_u16_e32 vcc, 0, v14
	v_mov_b32_e32 v4, 0
	v_mov_b32_e32 v5, 0
	s_and_saveexec_b64 s[28:29], vcc
	s_cbranch_execz .LBB6_9532
; %bb.9527:                             ;   in Loop: Header=BB6_8433 Depth=4
	v_cmp_ne_u16_e32 vcc, s96, v14
	v_bfrev_b32_e32 v5, 1
	s_and_saveexec_b64 s[34:35], vcc
	s_cbranch_execz .LBB6_9531
; %bb.9528:                             ;   in Loop: Header=BB6_8433 Depth=4
	v_and_b32_e32 v15, 0x7f, v41
	v_cmp_ne_u32_e32 vcc, s86, v15
	v_mov_b32_e32 v5, 0x7f800001
	s_and_saveexec_b64 s[36:37], vcc
	s_cbranch_execz .LBB6_9530
; %bb.9529:                             ;   in Loop: Header=BB6_8433 Depth=4
	v_and_b32_e32 v5, 7, v14
	v_lshrrev_b32_e32 v19, 3, v15
	v_cmp_gt_u32_e32 vcc, 8, v15
	v_ffbh_u32_e32 v15, v5
	v_min_u32_e32 v22, 32, v15
	v_subrev_u32_e32 v15, 28, v22
	v_lshlrev_b64 v[14:15], v15, v[14:15]
	v_sub_u32_e32 v15, 29, v22
	v_and_b32_e32 v14, 7, v14
	v_cndmask_b32_e32 v15, v19, v15, vcc
	v_cndmask_b32_e32 v5, v5, v14, vcc
	v_lshlrev_b32_e32 v14, 24, v41
	v_bfrev_b32_e32 v19, 60
	v_lshlrev_b32_e32 v5, 20, v5
	v_and_b32_e32 v14, 0x80000000, v14
	v_lshl_add_u32 v15, v15, 23, v19
	v_or3_b32 v5, v14, v15, v5
.LBB6_9530:                             ;   in Loop: Header=BB6_8433 Depth=4
	s_or_b64 exec, exec, s[36:37]
.LBB6_9531:                             ;   in Loop: Header=BB6_8433 Depth=4
	s_or_b64 exec, exec, s[34:35]
.LBB6_9532:                             ;   in Loop: Header=BB6_8433 Depth=4
	s_or_b64 exec, exec, s[28:29]
	v_and_b32_e32 v14, 0xff, v21
	v_cmp_ne_u16_e32 vcc, 0, v14
	s_and_saveexec_b64 s[28:29], vcc
	s_cbranch_execz .LBB6_9538
; %bb.9533:                             ;   in Loop: Header=BB6_8433 Depth=4
	v_cmp_ne_u16_e32 vcc, s96, v14
	v_bfrev_b32_e32 v4, 1
	s_and_saveexec_b64 s[34:35], vcc
	s_cbranch_execz .LBB6_9537
; %bb.9534:                             ;   in Loop: Header=BB6_8433 Depth=4
	v_and_b32_e32 v15, 0x7f, v21
	v_cmp_ne_u32_e32 vcc, s86, v15
	v_mov_b32_e32 v4, 0x7f800001
	s_and_saveexec_b64 s[36:37], vcc
	s_cbranch_execz .LBB6_9536
; %bb.9535:                             ;   in Loop: Header=BB6_8433 Depth=4
	v_and_b32_e32 v4, 7, v14
	v_lshrrev_b32_e32 v19, 3, v15
	v_cmp_gt_u32_e32 vcc, 8, v15
	v_ffbh_u32_e32 v15, v4
	v_min_u32_e32 v22, 32, v15
	v_subrev_u32_e32 v15, 28, v22
	v_lshlrev_b64 v[14:15], v15, v[14:15]
	v_sub_u32_e32 v15, 29, v22
	v_and_b32_e32 v14, 7, v14
	v_cndmask_b32_e32 v15, v19, v15, vcc
	v_cndmask_b32_e32 v4, v4, v14, vcc
	v_lshlrev_b32_e32 v14, 24, v21
	v_bfrev_b32_e32 v19, 60
	v_lshlrev_b32_e32 v4, 20, v4
	v_and_b32_e32 v14, 0x80000000, v14
	v_lshl_add_u32 v15, v15, 23, v19
	v_or3_b32 v4, v14, v15, v4
.LBB6_9536:                             ;   in Loop: Header=BB6_8433 Depth=4
	s_or_b64 exec, exec, s[36:37]
.LBB6_9537:                             ;   in Loop: Header=BB6_8433 Depth=4
	s_or_b64 exec, exec, s[34:35]
.LBB6_9538:                             ;   in Loop: Header=BB6_8433 Depth=4
	s_or_b64 exec, exec, s[28:29]
	v_add_f32_e32 v4, v5, v4
	v_and_b32_e32 v50, 0x7f800000, v4
	v_cmp_ne_u64_e32 vcc, s[76:77], v[50:51]
                                        ; implicit-def: $vgpr41
	s_and_saveexec_b64 s[28:29], vcc
	s_xor_b64 s[34:35], exec, s[28:29]
	s_cbranch_execz .LBB6_9556
; %bb.9539:                             ;   in Loop: Header=BB6_8433 Depth=4
	v_and_b32_e32 v50, 0x7fffffff, v4
	v_cmp_gt_u64_e32 vcc, s[78:79], v[50:51]
	v_and_b32_sdwa v19, v4, s96 dst_sel:DWORD dst_unused:UNUSED_PAD src0_sel:BYTE_3 src1_sel:DWORD
                                        ; implicit-def: $vgpr41
	s_and_saveexec_b64 s[28:29], vcc
	s_xor_b64 s[36:37], exec, s[28:29]
	s_cbranch_execz .LBB6_9553
; %bb.9540:                             ;   in Loop: Header=BB6_8433 Depth=4
	v_cmp_ne_u32_e32 vcc, 0, v4
	v_mov_b32_e32 v41, 0
	s_and_saveexec_b64 s[38:39], vcc
	s_cbranch_execz .LBB6_9552
; %bb.9541:                             ;   in Loop: Header=BB6_8433 Depth=4
	v_bfe_u32 v21, v4, 23, 8
	v_and_b32_e32 v5, 0x7fffff, v4
	v_cmp_gt_u32_e64 s[28:29], s97, v21
	v_sub_u32_e32 v4, 0x79, v21
	v_cmp_eq_u32_e32 vcc, 0, v21
	v_cndmask_b32_e64 v4, 0, v4, s[28:29]
	v_mov_b32_e32 v15, 0x78
	v_cndmask_b32_e32 v22, v4, v15, vcc
	v_or_b32_e32 v14, 0x800000, v5
	v_add_u32_e32 v4, 20, v22
	v_cndmask_b32_e32 v50, v14, v5, vcc
	v_lshlrev_b64 v[4:5], v4, -1
	v_add_u32_e32 v14, 19, v22
	v_lshlrev_b64 v[14:15], v14, 1
	v_bfi_b32 v5, v5, 0, 0
	v_bfi_b32 v4, v4, 0, v50
	v_cmp_eq_u64_e64 s[28:29], v[4:5], v[14:15]
	v_lshrrev_b64 v[14:15], v22, v[50:51]
	v_mov_b32_e32 v4, v14
	v_mov_b32_e32 v5, v15
	s_and_saveexec_b64 s[48:49], s[28:29]
; %bb.9542:                             ;   in Loop: Header=BB6_8433 Depth=4
	v_bfe_u32 v4, v14, 20, 1
	v_add_co_u32_e64 v4, s[28:29], v14, v4
	v_add_co_u32_e64 v4, s[28:29], -1, v4
; %bb.9543:                             ;   in Loop: Header=BB6_8433 Depth=4
	s_or_b64 exec, exec, s[48:49]
	v_add_u32_e32 v5, 0xffffff81, v21
	v_mov_b32_e32 v15, 0xffffff82
	v_cndmask_b32_e32 v5, v5, v15, vcc
	v_lshrrev_b32_e32 v15, 23, v14
	v_add3_u32 v21, v22, v5, v15
	v_add_u32_e32 v5, 6, v21
	v_and_b32_e32 v4, 0xfffff, v4
	v_add_u32_e32 v50, v4, v14
	v_cmp_ne_u32_e32 vcc, 0, v5
                                        ; implicit-def: $vgpr14_vgpr15
                                        ; implicit-def: $vgpr4
	s_and_saveexec_b64 s[28:29], vcc
	s_xor_b64 s[28:29], exec, s[28:29]
; %bb.9544:                             ;   in Loop: Header=BB6_8433 Depth=4
	v_cmp_lt_u64_e32 vcc, s[88:89], v[50:51]
	v_add_u32_e32 v4, 7, v21
	v_cndmask_b32_e32 v4, v5, v4, vcc
	v_cndmask_b32_e64 v5, 0, 1, vcc
	v_lshrrev_b64 v[14:15], v5, v[50:51]
; %bb.9545:                             ;   in Loop: Header=BB6_8433 Depth=4
	s_andn2_saveexec_b64 s[28:29], s[28:29]
; %bb.9546:                             ;   in Loop: Header=BB6_8433 Depth=4
	v_mov_b32_e32 v14, v50
	v_mov_b32_e32 v15, v51
	v_bfe_u32 v4, v50, 23, 1
; %bb.9547:                             ;   in Loop: Header=BB6_8433 Depth=4
	s_or_b64 exec, exec, s[28:29]
	v_lshrrev_b64 v[14:15], 20, v[14:15]
	v_cmp_gt_i32_e32 vcc, 16, v4
	v_cndmask_b32_e32 v15, 0, v15, vcc
	v_cndmask_b32_e32 v14, 7, v14, vcc
	v_cmp_ne_u64_e32 vcc, 0, v[14:15]
	v_cmp_ne_u32_e64 s[28:29], 0, v4
	s_or_b64 s[28:29], s[28:29], vcc
                                        ; implicit-def: $vgpr41
	s_and_saveexec_b64 vcc, s[28:29]
	s_xor_b64 s[28:29], exec, vcc
; %bb.9548:                             ;   in Loop: Header=BB6_8433 Depth=4
	v_min_i32_e32 v4, 15, v4
	v_lshl_or_b32 v4, v4, 3, v19
	v_and_or_b32 v41, v14, 7, v4
                                        ; implicit-def: $vgpr19
; %bb.9549:                             ;   in Loop: Header=BB6_8433 Depth=4
	s_andn2_saveexec_b64 s[28:29], s[28:29]
; %bb.9550:                             ;   in Loop: Header=BB6_8433 Depth=4
	v_mov_b32_e32 v41, v19
; %bb.9551:                             ;   in Loop: Header=BB6_8433 Depth=4
	s_or_b64 exec, exec, s[28:29]
.LBB6_9552:                             ;   in Loop: Header=BB6_8433 Depth=4
	s_or_b64 exec, exec, s[38:39]
                                        ; implicit-def: $vgpr19
.LBB6_9553:                             ;   in Loop: Header=BB6_8433 Depth=4
	s_andn2_saveexec_b64 s[28:29], s[36:37]
; %bb.9554:                             ;   in Loop: Header=BB6_8433 Depth=4
	v_or_b32_e32 v41, 0x7e, v19
; %bb.9555:                             ;   in Loop: Header=BB6_8433 Depth=4
	s_or_b64 exec, exec, s[28:29]
                                        ; implicit-def: $vgpr4
.LBB6_9556:                             ;   in Loop: Header=BB6_8433 Depth=4
	s_andn2_saveexec_b64 s[28:29], s[34:35]
; %bb.9557:                             ;   in Loop: Header=BB6_8433 Depth=4
	v_or_b32_sdwa v41, v4, s86 dst_sel:DWORD dst_unused:UNUSED_PAD src0_sel:BYTE_3 src1_sel:DWORD
; %bb.9558:                             ;   in Loop: Header=BB6_8433 Depth=4
	s_or_b64 exec, exec, s[28:29]
	v_and_b32_e32 v14, 0xff, v40
	v_cmp_ne_u16_e32 vcc, 0, v14
	v_mov_b32_e32 v4, 0
	v_mov_b32_e32 v5, 0
	s_and_saveexec_b64 s[28:29], vcc
	s_cbranch_execz .LBB6_9564
; %bb.9559:                             ;   in Loop: Header=BB6_8433 Depth=4
	v_cmp_ne_u16_e32 vcc, s96, v14
	v_bfrev_b32_e32 v5, 1
	s_and_saveexec_b64 s[34:35], vcc
	s_cbranch_execz .LBB6_9563
; %bb.9560:                             ;   in Loop: Header=BB6_8433 Depth=4
	v_and_b32_e32 v15, 0x7f, v40
	v_cmp_ne_u32_e32 vcc, s86, v15
	v_mov_b32_e32 v5, 0x7f800001
	s_and_saveexec_b64 s[36:37], vcc
	s_cbranch_execz .LBB6_9562
; %bb.9561:                             ;   in Loop: Header=BB6_8433 Depth=4
	v_and_b32_e32 v5, 7, v14
	v_lshrrev_b32_e32 v19, 3, v15
	v_cmp_gt_u32_e32 vcc, 8, v15
	v_ffbh_u32_e32 v15, v5
	v_min_u32_e32 v21, 32, v15
	v_subrev_u32_e32 v15, 28, v21
	v_lshlrev_b64 v[14:15], v15, v[14:15]
	v_sub_u32_e32 v15, 29, v21
	v_and_b32_e32 v14, 7, v14
	v_cndmask_b32_e32 v15, v19, v15, vcc
	v_cndmask_b32_e32 v5, v5, v14, vcc
	v_lshlrev_b32_e32 v14, 24, v40
	v_bfrev_b32_e32 v19, 60
	v_lshlrev_b32_e32 v5, 20, v5
	v_and_b32_e32 v14, 0x80000000, v14
	v_lshl_add_u32 v15, v15, 23, v19
	v_or3_b32 v5, v14, v15, v5
.LBB6_9562:                             ;   in Loop: Header=BB6_8433 Depth=4
	s_or_b64 exec, exec, s[36:37]
.LBB6_9563:                             ;   in Loop: Header=BB6_8433 Depth=4
	s_or_b64 exec, exec, s[34:35]
.LBB6_9564:                             ;   in Loop: Header=BB6_8433 Depth=4
	s_or_b64 exec, exec, s[28:29]
	v_and_b32_e32 v14, 0xff, v20
	v_cmp_ne_u16_e32 vcc, 0, v14
	s_and_saveexec_b64 s[28:29], vcc
	s_cbranch_execz .LBB6_9570
; %bb.9565:                             ;   in Loop: Header=BB6_8433 Depth=4
	v_cmp_ne_u16_e32 vcc, s96, v14
	v_bfrev_b32_e32 v4, 1
	s_and_saveexec_b64 s[34:35], vcc
	s_cbranch_execz .LBB6_9569
; %bb.9566:                             ;   in Loop: Header=BB6_8433 Depth=4
	v_and_b32_e32 v15, 0x7f, v20
	v_cmp_ne_u32_e32 vcc, s86, v15
	v_mov_b32_e32 v4, 0x7f800001
	s_and_saveexec_b64 s[36:37], vcc
	s_cbranch_execz .LBB6_9568
; %bb.9567:                             ;   in Loop: Header=BB6_8433 Depth=4
	v_and_b32_e32 v4, 7, v14
	v_lshrrev_b32_e32 v19, 3, v15
	v_cmp_gt_u32_e32 vcc, 8, v15
	v_ffbh_u32_e32 v15, v4
	v_min_u32_e32 v21, 32, v15
	v_subrev_u32_e32 v15, 28, v21
	v_lshlrev_b64 v[14:15], v15, v[14:15]
	v_sub_u32_e32 v15, 29, v21
	v_and_b32_e32 v14, 7, v14
	v_cndmask_b32_e32 v15, v19, v15, vcc
	v_cndmask_b32_e32 v4, v4, v14, vcc
	v_lshlrev_b32_e32 v14, 24, v20
	v_bfrev_b32_e32 v19, 60
	v_lshlrev_b32_e32 v4, 20, v4
	v_and_b32_e32 v14, 0x80000000, v14
	v_lshl_add_u32 v15, v15, 23, v19
	v_or3_b32 v4, v14, v15, v4
.LBB6_9568:                             ;   in Loop: Header=BB6_8433 Depth=4
	s_or_b64 exec, exec, s[36:37]
.LBB6_9569:                             ;   in Loop: Header=BB6_8433 Depth=4
	s_or_b64 exec, exec, s[34:35]
.LBB6_9570:                             ;   in Loop: Header=BB6_8433 Depth=4
	s_or_b64 exec, exec, s[28:29]
	v_add_f32_e32 v4, v5, v4
	v_and_b32_e32 v50, 0x7f800000, v4
	v_cmp_ne_u64_e32 vcc, s[76:77], v[50:51]
                                        ; implicit-def: $vgpr40
	s_and_saveexec_b64 s[28:29], vcc
	s_xor_b64 s[34:35], exec, s[28:29]
	s_cbranch_execz .LBB6_9588
; %bb.9571:                             ;   in Loop: Header=BB6_8433 Depth=4
	v_and_b32_e32 v50, 0x7fffffff, v4
	v_cmp_gt_u64_e32 vcc, s[78:79], v[50:51]
	v_and_b32_sdwa v19, v4, s96 dst_sel:DWORD dst_unused:UNUSED_PAD src0_sel:BYTE_3 src1_sel:DWORD
                                        ; implicit-def: $vgpr40
	s_and_saveexec_b64 s[28:29], vcc
	s_xor_b64 s[36:37], exec, s[28:29]
	s_cbranch_execz .LBB6_9585
; %bb.9572:                             ;   in Loop: Header=BB6_8433 Depth=4
	v_cmp_ne_u32_e32 vcc, 0, v4
	v_mov_b32_e32 v40, 0
	s_and_saveexec_b64 s[38:39], vcc
	s_cbranch_execz .LBB6_9584
; %bb.9573:                             ;   in Loop: Header=BB6_8433 Depth=4
	v_bfe_u32 v20, v4, 23, 8
	v_and_b32_e32 v5, 0x7fffff, v4
	v_cmp_gt_u32_e64 s[28:29], s97, v20
	v_sub_u32_e32 v4, 0x79, v20
	v_cmp_eq_u32_e32 vcc, 0, v20
	v_cndmask_b32_e64 v4, 0, v4, s[28:29]
	v_mov_b32_e32 v15, 0x78
	v_cndmask_b32_e32 v21, v4, v15, vcc
	v_or_b32_e32 v14, 0x800000, v5
	v_add_u32_e32 v4, 20, v21
	v_cndmask_b32_e32 v50, v14, v5, vcc
	v_lshlrev_b64 v[4:5], v4, -1
	v_add_u32_e32 v14, 19, v21
	v_lshlrev_b64 v[14:15], v14, 1
	v_bfi_b32 v5, v5, 0, 0
	v_bfi_b32 v4, v4, 0, v50
	v_cmp_eq_u64_e64 s[28:29], v[4:5], v[14:15]
	v_lshrrev_b64 v[14:15], v21, v[50:51]
	v_mov_b32_e32 v4, v14
	v_mov_b32_e32 v5, v15
	s_and_saveexec_b64 s[48:49], s[28:29]
; %bb.9574:                             ;   in Loop: Header=BB6_8433 Depth=4
	v_bfe_u32 v4, v14, 20, 1
	v_add_co_u32_e64 v4, s[28:29], v14, v4
	v_add_co_u32_e64 v4, s[28:29], -1, v4
; %bb.9575:                             ;   in Loop: Header=BB6_8433 Depth=4
	s_or_b64 exec, exec, s[48:49]
	v_add_u32_e32 v5, 0xffffff81, v20
	v_mov_b32_e32 v15, 0xffffff82
	v_cndmask_b32_e32 v5, v5, v15, vcc
	v_lshrrev_b32_e32 v15, 23, v14
	v_add3_u32 v20, v21, v5, v15
	v_add_u32_e32 v5, 6, v20
	v_and_b32_e32 v4, 0xfffff, v4
	v_add_u32_e32 v50, v4, v14
	v_cmp_ne_u32_e32 vcc, 0, v5
                                        ; implicit-def: $vgpr14_vgpr15
                                        ; implicit-def: $vgpr4
	s_and_saveexec_b64 s[28:29], vcc
	s_xor_b64 s[28:29], exec, s[28:29]
; %bb.9576:                             ;   in Loop: Header=BB6_8433 Depth=4
	v_cmp_lt_u64_e32 vcc, s[88:89], v[50:51]
	v_add_u32_e32 v4, 7, v20
	v_cndmask_b32_e32 v4, v5, v4, vcc
	v_cndmask_b32_e64 v5, 0, 1, vcc
	v_lshrrev_b64 v[14:15], v5, v[50:51]
; %bb.9577:                             ;   in Loop: Header=BB6_8433 Depth=4
	s_andn2_saveexec_b64 s[28:29], s[28:29]
; %bb.9578:                             ;   in Loop: Header=BB6_8433 Depth=4
	v_mov_b32_e32 v14, v50
	v_mov_b32_e32 v15, v51
	v_bfe_u32 v4, v50, 23, 1
; %bb.9579:                             ;   in Loop: Header=BB6_8433 Depth=4
	s_or_b64 exec, exec, s[28:29]
	v_lshrrev_b64 v[14:15], 20, v[14:15]
	v_cmp_gt_i32_e32 vcc, 16, v4
	v_cndmask_b32_e32 v15, 0, v15, vcc
	v_cndmask_b32_e32 v14, 7, v14, vcc
	v_cmp_ne_u64_e32 vcc, 0, v[14:15]
	v_cmp_ne_u32_e64 s[28:29], 0, v4
	s_or_b64 s[28:29], s[28:29], vcc
                                        ; implicit-def: $vgpr40
	s_and_saveexec_b64 vcc, s[28:29]
	s_xor_b64 s[28:29], exec, vcc
; %bb.9580:                             ;   in Loop: Header=BB6_8433 Depth=4
	v_min_i32_e32 v4, 15, v4
	v_lshl_or_b32 v4, v4, 3, v19
	v_and_or_b32 v40, v14, 7, v4
                                        ; implicit-def: $vgpr19
; %bb.9581:                             ;   in Loop: Header=BB6_8433 Depth=4
	s_andn2_saveexec_b64 s[28:29], s[28:29]
; %bb.9582:                             ;   in Loop: Header=BB6_8433 Depth=4
	v_mov_b32_e32 v40, v19
; %bb.9583:                             ;   in Loop: Header=BB6_8433 Depth=4
	s_or_b64 exec, exec, s[28:29]
.LBB6_9584:                             ;   in Loop: Header=BB6_8433 Depth=4
	s_or_b64 exec, exec, s[38:39]
                                        ; implicit-def: $vgpr19
.LBB6_9585:                             ;   in Loop: Header=BB6_8433 Depth=4
	s_andn2_saveexec_b64 s[28:29], s[36:37]
; %bb.9586:                             ;   in Loop: Header=BB6_8433 Depth=4
	v_or_b32_e32 v40, 0x7e, v19
; %bb.9587:                             ;   in Loop: Header=BB6_8433 Depth=4
	s_or_b64 exec, exec, s[28:29]
                                        ; implicit-def: $vgpr4
.LBB6_9588:                             ;   in Loop: Header=BB6_8433 Depth=4
	s_andn2_saveexec_b64 s[28:29], s[34:35]
; %bb.9589:                             ;   in Loop: Header=BB6_8433 Depth=4
	v_or_b32_sdwa v40, v4, s86 dst_sel:DWORD dst_unused:UNUSED_PAD src0_sel:BYTE_3 src1_sel:DWORD
; %bb.9590:                             ;   in Loop: Header=BB6_8433 Depth=4
	s_or_b64 exec, exec, s[28:29]
	v_and_b32_e32 v14, 0xff, v55
	v_cmp_ne_u16_e32 vcc, 0, v14
	v_mov_b32_e32 v4, 0
	v_mov_b32_e32 v5, 0
	s_and_saveexec_b64 s[28:29], vcc
	s_cbranch_execz .LBB6_9596
; %bb.9591:                             ;   in Loop: Header=BB6_8433 Depth=4
	v_cmp_ne_u16_e32 vcc, s96, v14
	v_bfrev_b32_e32 v5, 1
	s_and_saveexec_b64 s[34:35], vcc
	s_cbranch_execz .LBB6_9595
; %bb.9592:                             ;   in Loop: Header=BB6_8433 Depth=4
	v_and_b32_e32 v15, 0x7f, v55
	v_cmp_ne_u32_e32 vcc, s86, v15
	v_mov_b32_e32 v5, 0x7f800001
	s_and_saveexec_b64 s[36:37], vcc
	s_cbranch_execz .LBB6_9594
; %bb.9593:                             ;   in Loop: Header=BB6_8433 Depth=4
	v_and_b32_e32 v5, 7, v14
	v_lshrrev_b32_e32 v19, 3, v15
	v_cmp_gt_u32_e32 vcc, 8, v15
	v_ffbh_u32_e32 v15, v5
	v_min_u32_e32 v20, 32, v15
	v_subrev_u32_e32 v15, 28, v20
	v_lshlrev_b64 v[14:15], v15, v[14:15]
	v_sub_u32_e32 v15, 29, v20
	v_and_b32_e32 v14, 7, v14
	v_cndmask_b32_e32 v15, v19, v15, vcc
	v_cndmask_b32_e32 v5, v5, v14, vcc
	v_lshlrev_b32_e32 v14, 24, v55
	v_bfrev_b32_e32 v19, 60
	v_lshlrev_b32_e32 v5, 20, v5
	v_and_b32_e32 v14, 0x80000000, v14
	v_lshl_add_u32 v15, v15, 23, v19
	v_or3_b32 v5, v14, v15, v5
.LBB6_9594:                             ;   in Loop: Header=BB6_8433 Depth=4
	s_or_b64 exec, exec, s[36:37]
.LBB6_9595:                             ;   in Loop: Header=BB6_8433 Depth=4
	s_or_b64 exec, exec, s[34:35]
.LBB6_9596:                             ;   in Loop: Header=BB6_8433 Depth=4
	s_or_b64 exec, exec, s[28:29]
	v_and_b32_e32 v14, 0xff, v33
	v_cmp_ne_u16_e32 vcc, 0, v14
	s_and_saveexec_b64 s[28:29], vcc
	s_cbranch_execz .LBB6_9602
; %bb.9597:                             ;   in Loop: Header=BB6_8433 Depth=4
	v_cmp_ne_u16_e32 vcc, s96, v14
	v_bfrev_b32_e32 v4, 1
	s_and_saveexec_b64 s[34:35], vcc
	s_cbranch_execz .LBB6_9601
; %bb.9598:                             ;   in Loop: Header=BB6_8433 Depth=4
	v_and_b32_e32 v15, 0x7f, v33
	v_cmp_ne_u32_e32 vcc, s86, v15
	v_mov_b32_e32 v4, 0x7f800001
	s_and_saveexec_b64 s[36:37], vcc
	s_cbranch_execz .LBB6_9600
; %bb.9599:                             ;   in Loop: Header=BB6_8433 Depth=4
	v_and_b32_e32 v4, 7, v14
	v_lshrrev_b32_e32 v19, 3, v15
	v_cmp_gt_u32_e32 vcc, 8, v15
	v_ffbh_u32_e32 v15, v4
	v_min_u32_e32 v20, 32, v15
	v_subrev_u32_e32 v15, 28, v20
	v_lshlrev_b64 v[14:15], v15, v[14:15]
	v_sub_u32_e32 v15, 29, v20
	v_and_b32_e32 v14, 7, v14
	v_cndmask_b32_e32 v15, v19, v15, vcc
	v_cndmask_b32_e32 v4, v4, v14, vcc
	v_lshlrev_b32_e32 v14, 24, v33
	v_bfrev_b32_e32 v19, 60
	v_lshlrev_b32_e32 v4, 20, v4
	v_and_b32_e32 v14, 0x80000000, v14
	v_lshl_add_u32 v15, v15, 23, v19
	v_or3_b32 v4, v14, v15, v4
.LBB6_9600:                             ;   in Loop: Header=BB6_8433 Depth=4
	s_or_b64 exec, exec, s[36:37]
.LBB6_9601:                             ;   in Loop: Header=BB6_8433 Depth=4
	s_or_b64 exec, exec, s[34:35]
.LBB6_9602:                             ;   in Loop: Header=BB6_8433 Depth=4
	s_or_b64 exec, exec, s[28:29]
	v_add_f32_e32 v4, v5, v4
	v_and_b32_e32 v50, 0x7f800000, v4
	v_cmp_ne_u64_e32 vcc, s[76:77], v[50:51]
                                        ; implicit-def: $vgpr55
	s_and_saveexec_b64 s[28:29], vcc
	s_xor_b64 s[34:35], exec, s[28:29]
	s_cbranch_execz .LBB6_9620
; %bb.9603:                             ;   in Loop: Header=BB6_8433 Depth=4
	v_and_b32_e32 v50, 0x7fffffff, v4
	v_cmp_gt_u64_e32 vcc, s[78:79], v[50:51]
	v_and_b32_sdwa v19, v4, s96 dst_sel:DWORD dst_unused:UNUSED_PAD src0_sel:BYTE_3 src1_sel:DWORD
                                        ; implicit-def: $vgpr55
	s_and_saveexec_b64 s[28:29], vcc
	s_xor_b64 s[36:37], exec, s[28:29]
	s_cbranch_execz .LBB6_9617
; %bb.9604:                             ;   in Loop: Header=BB6_8433 Depth=4
	v_cmp_ne_u32_e32 vcc, 0, v4
	v_mov_b32_e32 v55, 0
	s_and_saveexec_b64 s[38:39], vcc
	s_cbranch_execz .LBB6_9616
; %bb.9605:                             ;   in Loop: Header=BB6_8433 Depth=4
	v_bfe_u32 v20, v4, 23, 8
	v_and_b32_e32 v5, 0x7fffff, v4
	v_cmp_gt_u32_e64 s[28:29], s97, v20
	v_sub_u32_e32 v4, 0x79, v20
	v_cmp_eq_u32_e32 vcc, 0, v20
	v_cndmask_b32_e64 v4, 0, v4, s[28:29]
	v_mov_b32_e32 v15, 0x78
	v_cndmask_b32_e32 v21, v4, v15, vcc
	v_or_b32_e32 v14, 0x800000, v5
	v_add_u32_e32 v4, 20, v21
	v_cndmask_b32_e32 v50, v14, v5, vcc
	v_lshlrev_b64 v[4:5], v4, -1
	v_add_u32_e32 v14, 19, v21
	v_lshlrev_b64 v[14:15], v14, 1
	v_bfi_b32 v5, v5, 0, 0
	v_bfi_b32 v4, v4, 0, v50
	v_cmp_eq_u64_e64 s[28:29], v[4:5], v[14:15]
	v_lshrrev_b64 v[14:15], v21, v[50:51]
	v_mov_b32_e32 v4, v14
	v_mov_b32_e32 v5, v15
	s_and_saveexec_b64 s[48:49], s[28:29]
; %bb.9606:                             ;   in Loop: Header=BB6_8433 Depth=4
	v_bfe_u32 v4, v14, 20, 1
	v_add_co_u32_e64 v4, s[28:29], v14, v4
	v_add_co_u32_e64 v4, s[28:29], -1, v4
; %bb.9607:                             ;   in Loop: Header=BB6_8433 Depth=4
	s_or_b64 exec, exec, s[48:49]
	v_add_u32_e32 v5, 0xffffff81, v20
	v_mov_b32_e32 v15, 0xffffff82
	v_cndmask_b32_e32 v5, v5, v15, vcc
	v_lshrrev_b32_e32 v15, 23, v14
	v_add3_u32 v20, v21, v5, v15
	v_add_u32_e32 v5, 6, v20
	v_and_b32_e32 v4, 0xfffff, v4
	v_add_u32_e32 v50, v4, v14
	v_cmp_ne_u32_e32 vcc, 0, v5
                                        ; implicit-def: $vgpr14_vgpr15
                                        ; implicit-def: $vgpr4
	s_and_saveexec_b64 s[28:29], vcc
	s_xor_b64 s[28:29], exec, s[28:29]
; %bb.9608:                             ;   in Loop: Header=BB6_8433 Depth=4
	v_cmp_lt_u64_e32 vcc, s[88:89], v[50:51]
	v_add_u32_e32 v4, 7, v20
	v_cndmask_b32_e32 v4, v5, v4, vcc
	v_cndmask_b32_e64 v5, 0, 1, vcc
	v_lshrrev_b64 v[14:15], v5, v[50:51]
; %bb.9609:                             ;   in Loop: Header=BB6_8433 Depth=4
	s_andn2_saveexec_b64 s[28:29], s[28:29]
; %bb.9610:                             ;   in Loop: Header=BB6_8433 Depth=4
	v_mov_b32_e32 v14, v50
	v_mov_b32_e32 v15, v51
	v_bfe_u32 v4, v50, 23, 1
; %bb.9611:                             ;   in Loop: Header=BB6_8433 Depth=4
	s_or_b64 exec, exec, s[28:29]
	v_lshrrev_b64 v[14:15], 20, v[14:15]
	v_cmp_gt_i32_e32 vcc, 16, v4
	v_cndmask_b32_e32 v15, 0, v15, vcc
	v_cndmask_b32_e32 v14, 7, v14, vcc
	v_cmp_ne_u64_e32 vcc, 0, v[14:15]
	v_cmp_ne_u32_e64 s[28:29], 0, v4
	s_or_b64 s[28:29], s[28:29], vcc
                                        ; implicit-def: $vgpr55
	s_and_saveexec_b64 vcc, s[28:29]
	s_xor_b64 s[28:29], exec, vcc
; %bb.9612:                             ;   in Loop: Header=BB6_8433 Depth=4
	v_min_i32_e32 v4, 15, v4
	v_lshl_or_b32 v4, v4, 3, v19
	v_and_or_b32 v55, v14, 7, v4
                                        ; implicit-def: $vgpr19
; %bb.9613:                             ;   in Loop: Header=BB6_8433 Depth=4
	s_andn2_saveexec_b64 s[28:29], s[28:29]
; %bb.9614:                             ;   in Loop: Header=BB6_8433 Depth=4
	v_mov_b32_e32 v55, v19
; %bb.9615:                             ;   in Loop: Header=BB6_8433 Depth=4
	s_or_b64 exec, exec, s[28:29]
.LBB6_9616:                             ;   in Loop: Header=BB6_8433 Depth=4
	s_or_b64 exec, exec, s[38:39]
                                        ; implicit-def: $vgpr19
.LBB6_9617:                             ;   in Loop: Header=BB6_8433 Depth=4
	s_andn2_saveexec_b64 s[28:29], s[36:37]
; %bb.9618:                             ;   in Loop: Header=BB6_8433 Depth=4
	v_or_b32_e32 v55, 0x7e, v19
; %bb.9619:                             ;   in Loop: Header=BB6_8433 Depth=4
	s_or_b64 exec, exec, s[28:29]
                                        ; implicit-def: $vgpr4
.LBB6_9620:                             ;   in Loop: Header=BB6_8433 Depth=4
	s_andn2_saveexec_b64 s[28:29], s[34:35]
; %bb.9621:                             ;   in Loop: Header=BB6_8433 Depth=4
	v_or_b32_sdwa v55, v4, s86 dst_sel:DWORD dst_unused:UNUSED_PAD src0_sel:BYTE_3 src1_sel:DWORD
; %bb.9622:                             ;   in Loop: Header=BB6_8433 Depth=4
	s_or_b64 exec, exec, s[28:29]
	v_and_b32_e32 v14, 0xff, v54
	v_cmp_ne_u16_e32 vcc, 0, v14
	v_mov_b32_e32 v4, 0
	v_mov_b32_e32 v5, 0
	s_and_saveexec_b64 s[28:29], vcc
	s_cbranch_execz .LBB6_9628
; %bb.9623:                             ;   in Loop: Header=BB6_8433 Depth=4
	v_cmp_ne_u16_e32 vcc, s96, v14
	v_bfrev_b32_e32 v5, 1
	s_and_saveexec_b64 s[34:35], vcc
	s_cbranch_execz .LBB6_9627
; %bb.9624:                             ;   in Loop: Header=BB6_8433 Depth=4
	v_and_b32_e32 v15, 0x7f, v54
	v_cmp_ne_u32_e32 vcc, s86, v15
	v_mov_b32_e32 v5, 0x7f800001
	s_and_saveexec_b64 s[36:37], vcc
	s_cbranch_execz .LBB6_9626
; %bb.9625:                             ;   in Loop: Header=BB6_8433 Depth=4
	v_and_b32_e32 v5, 7, v14
	v_lshrrev_b32_e32 v19, 3, v15
	v_cmp_gt_u32_e32 vcc, 8, v15
	v_ffbh_u32_e32 v15, v5
	v_min_u32_e32 v20, 32, v15
	v_subrev_u32_e32 v15, 28, v20
	v_lshlrev_b64 v[14:15], v15, v[14:15]
	v_sub_u32_e32 v15, 29, v20
	v_and_b32_e32 v14, 7, v14
	v_cndmask_b32_e32 v15, v19, v15, vcc
	v_cndmask_b32_e32 v5, v5, v14, vcc
	v_lshlrev_b32_e32 v14, 24, v54
	v_bfrev_b32_e32 v19, 60
	v_lshlrev_b32_e32 v5, 20, v5
	v_and_b32_e32 v14, 0x80000000, v14
	v_lshl_add_u32 v15, v15, 23, v19
	v_or3_b32 v5, v14, v15, v5
.LBB6_9626:                             ;   in Loop: Header=BB6_8433 Depth=4
	s_or_b64 exec, exec, s[36:37]
.LBB6_9627:                             ;   in Loop: Header=BB6_8433 Depth=4
	s_or_b64 exec, exec, s[34:35]
.LBB6_9628:                             ;   in Loop: Header=BB6_8433 Depth=4
	s_or_b64 exec, exec, s[28:29]
	v_and_b32_e32 v14, 0xff, v3
	v_cmp_ne_u16_e32 vcc, 0, v14
	s_and_saveexec_b64 s[28:29], vcc
	s_cbranch_execz .LBB6_9634
; %bb.9629:                             ;   in Loop: Header=BB6_8433 Depth=4
	v_cmp_ne_u16_e32 vcc, s96, v14
	v_bfrev_b32_e32 v4, 1
	s_and_saveexec_b64 s[34:35], vcc
	s_cbranch_execz .LBB6_9633
; %bb.9630:                             ;   in Loop: Header=BB6_8433 Depth=4
	v_and_b32_e32 v15, 0x7f, v3
	v_cmp_ne_u32_e32 vcc, s86, v15
	v_mov_b32_e32 v4, 0x7f800001
	s_and_saveexec_b64 s[36:37], vcc
	s_cbranch_execz .LBB6_9632
; %bb.9631:                             ;   in Loop: Header=BB6_8433 Depth=4
	v_and_b32_e32 v4, 7, v14
	v_lshrrev_b32_e32 v19, 3, v15
	v_cmp_gt_u32_e32 vcc, 8, v15
	v_ffbh_u32_e32 v15, v4
	v_min_u32_e32 v20, 32, v15
	v_subrev_u32_e32 v15, 28, v20
	v_lshlrev_b64 v[14:15], v15, v[14:15]
	v_sub_u32_e32 v15, 29, v20
	v_and_b32_e32 v14, 7, v14
	v_cndmask_b32_e32 v15, v19, v15, vcc
	v_cndmask_b32_e32 v4, v4, v14, vcc
	v_lshlrev_b32_e32 v3, 24, v3
	v_bfrev_b32_e32 v14, 60
	v_lshlrev_b32_e32 v4, 20, v4
	v_and_b32_e32 v3, 0x80000000, v3
	v_lshl_add_u32 v14, v15, 23, v14
	v_or3_b32 v4, v3, v14, v4
.LBB6_9632:                             ;   in Loop: Header=BB6_8433 Depth=4
	s_or_b64 exec, exec, s[36:37]
.LBB6_9633:                             ;   in Loop: Header=BB6_8433 Depth=4
	s_or_b64 exec, exec, s[34:35]
.LBB6_9634:                             ;   in Loop: Header=BB6_8433 Depth=4
	s_or_b64 exec, exec, s[28:29]
	v_add_f32_e32 v4, v5, v4
	v_and_b32_e32 v50, 0x7f800000, v4
	v_cmp_ne_u64_e32 vcc, s[76:77], v[50:51]
                                        ; implicit-def: $vgpr54
	s_and_saveexec_b64 s[28:29], vcc
	s_xor_b64 s[34:35], exec, s[28:29]
	s_cbranch_execz .LBB6_9652
; %bb.9635:                             ;   in Loop: Header=BB6_8433 Depth=4
	v_and_b32_e32 v50, 0x7fffffff, v4
	v_cmp_gt_u64_e32 vcc, s[78:79], v[50:51]
	v_and_b32_sdwa v3, v4, s96 dst_sel:DWORD dst_unused:UNUSED_PAD src0_sel:BYTE_3 src1_sel:DWORD
                                        ; implicit-def: $vgpr54
	s_and_saveexec_b64 s[28:29], vcc
	s_xor_b64 s[36:37], exec, s[28:29]
	s_cbranch_execz .LBB6_9649
; %bb.9636:                             ;   in Loop: Header=BB6_8433 Depth=4
	v_cmp_ne_u32_e32 vcc, 0, v4
	v_mov_b32_e32 v54, 0
	s_and_saveexec_b64 s[38:39], vcc
	s_cbranch_execz .LBB6_9648
; %bb.9637:                             ;   in Loop: Header=BB6_8433 Depth=4
	v_bfe_u32 v19, v4, 23, 8
	v_and_b32_e32 v5, 0x7fffff, v4
	v_cmp_gt_u32_e64 s[28:29], s97, v19
	v_sub_u32_e32 v4, 0x79, v19
	v_cmp_eq_u32_e32 vcc, 0, v19
	v_cndmask_b32_e64 v4, 0, v4, s[28:29]
	v_mov_b32_e32 v15, 0x78
	v_cndmask_b32_e32 v20, v4, v15, vcc
	v_or_b32_e32 v14, 0x800000, v5
	v_add_u32_e32 v4, 20, v20
	v_cndmask_b32_e32 v50, v14, v5, vcc
	v_lshlrev_b64 v[4:5], v4, -1
	v_add_u32_e32 v14, 19, v20
	v_lshlrev_b64 v[14:15], v14, 1
	v_bfi_b32 v5, v5, 0, 0
	v_bfi_b32 v4, v4, 0, v50
	v_cmp_eq_u64_e64 s[28:29], v[4:5], v[14:15]
	v_lshrrev_b64 v[14:15], v20, v[50:51]
	v_mov_b32_e32 v4, v14
	v_mov_b32_e32 v5, v15
	s_and_saveexec_b64 s[48:49], s[28:29]
; %bb.9638:                             ;   in Loop: Header=BB6_8433 Depth=4
	v_bfe_u32 v4, v14, 20, 1
	v_add_co_u32_e64 v4, s[28:29], v14, v4
	v_add_co_u32_e64 v4, s[28:29], -1, v4
; %bb.9639:                             ;   in Loop: Header=BB6_8433 Depth=4
	s_or_b64 exec, exec, s[48:49]
	v_add_u32_e32 v5, 0xffffff81, v19
	v_mov_b32_e32 v15, 0xffffff82
	v_cndmask_b32_e32 v5, v5, v15, vcc
	v_lshrrev_b32_e32 v15, 23, v14
	v_add3_u32 v19, v20, v5, v15
	v_add_u32_e32 v5, 6, v19
	v_and_b32_e32 v4, 0xfffff, v4
	v_add_u32_e32 v50, v4, v14
	v_cmp_ne_u32_e32 vcc, 0, v5
                                        ; implicit-def: $vgpr14_vgpr15
                                        ; implicit-def: $vgpr4
	s_and_saveexec_b64 s[28:29], vcc
	s_xor_b64 s[28:29], exec, s[28:29]
; %bb.9640:                             ;   in Loop: Header=BB6_8433 Depth=4
	v_cmp_lt_u64_e32 vcc, s[88:89], v[50:51]
	v_add_u32_e32 v4, 7, v19
	v_cndmask_b32_e32 v4, v5, v4, vcc
	v_cndmask_b32_e64 v5, 0, 1, vcc
	v_lshrrev_b64 v[14:15], v5, v[50:51]
; %bb.9641:                             ;   in Loop: Header=BB6_8433 Depth=4
	s_andn2_saveexec_b64 s[28:29], s[28:29]
; %bb.9642:                             ;   in Loop: Header=BB6_8433 Depth=4
	v_mov_b32_e32 v14, v50
	v_mov_b32_e32 v15, v51
	v_bfe_u32 v4, v50, 23, 1
; %bb.9643:                             ;   in Loop: Header=BB6_8433 Depth=4
	s_or_b64 exec, exec, s[28:29]
	v_lshrrev_b64 v[14:15], 20, v[14:15]
	v_cmp_gt_i32_e32 vcc, 16, v4
	v_cndmask_b32_e32 v15, 0, v15, vcc
	v_cndmask_b32_e32 v14, 7, v14, vcc
	v_cmp_ne_u64_e32 vcc, 0, v[14:15]
	v_cmp_ne_u32_e64 s[28:29], 0, v4
	s_or_b64 s[28:29], s[28:29], vcc
                                        ; implicit-def: $vgpr54
	s_and_saveexec_b64 vcc, s[28:29]
	s_xor_b64 s[28:29], exec, vcc
; %bb.9644:                             ;   in Loop: Header=BB6_8433 Depth=4
	v_min_i32_e32 v4, 15, v4
	v_lshl_or_b32 v3, v4, 3, v3
	v_and_or_b32 v54, v14, 7, v3
                                        ; implicit-def: $vgpr3
; %bb.9645:                             ;   in Loop: Header=BB6_8433 Depth=4
	s_andn2_saveexec_b64 s[28:29], s[28:29]
; %bb.9646:                             ;   in Loop: Header=BB6_8433 Depth=4
	v_mov_b32_e32 v54, v3
; %bb.9647:                             ;   in Loop: Header=BB6_8433 Depth=4
	s_or_b64 exec, exec, s[28:29]
.LBB6_9648:                             ;   in Loop: Header=BB6_8433 Depth=4
	s_or_b64 exec, exec, s[38:39]
                                        ; implicit-def: $vgpr3
.LBB6_9649:                             ;   in Loop: Header=BB6_8433 Depth=4
	s_andn2_saveexec_b64 s[28:29], s[36:37]
; %bb.9650:                             ;   in Loop: Header=BB6_8433 Depth=4
	v_or_b32_e32 v54, 0x7e, v3
; %bb.9651:                             ;   in Loop: Header=BB6_8433 Depth=4
	s_or_b64 exec, exec, s[28:29]
                                        ; implicit-def: $vgpr4
.LBB6_9652:                             ;   in Loop: Header=BB6_8433 Depth=4
	s_andn2_saveexec_b64 s[28:29], s[34:35]
; %bb.9653:                             ;   in Loop: Header=BB6_8433 Depth=4
	v_or_b32_sdwa v54, v4, s86 dst_sel:DWORD dst_unused:UNUSED_PAD src0_sel:BYTE_3 src1_sel:DWORD
; %bb.9654:                             ;   in Loop: Header=BB6_8433 Depth=4
	s_or_b64 exec, exec, s[28:29]
	v_and_b32_e32 v14, 0xff, v53
	v_cmp_ne_u16_e32 vcc, 0, v14
	v_mov_b32_e32 v3, 0
	v_mov_b32_e32 v4, 0
	s_and_saveexec_b64 s[28:29], vcc
	s_cbranch_execz .LBB6_9660
; %bb.9655:                             ;   in Loop: Header=BB6_8433 Depth=4
	v_cmp_ne_u16_e32 vcc, s96, v14
	v_bfrev_b32_e32 v4, 1
	s_and_saveexec_b64 s[34:35], vcc
	s_cbranch_execz .LBB6_9659
; %bb.9656:                             ;   in Loop: Header=BB6_8433 Depth=4
	v_and_b32_e32 v5, 0x7f, v53
	v_cmp_ne_u32_e32 vcc, s86, v5
	v_mov_b32_e32 v4, 0x7f800001
	s_and_saveexec_b64 s[36:37], vcc
	s_cbranch_execz .LBB6_9658
; %bb.9657:                             ;   in Loop: Header=BB6_8433 Depth=4
	v_and_b32_e32 v15, 7, v14
	v_ffbh_u32_e32 v4, v15
	v_min_u32_e32 v20, 32, v4
	v_subrev_u32_e32 v4, 28, v20
	v_lshrrev_b32_e32 v19, 3, v5
	v_cmp_gt_u32_e32 vcc, 8, v5
	v_lshlrev_b64 v[4:5], v4, v[14:15]
	v_sub_u32_e32 v5, 29, v20
	v_and_b32_e32 v4, 7, v4
	v_cndmask_b32_e32 v5, v19, v5, vcc
	v_cndmask_b32_e32 v4, v15, v4, vcc
	v_lshlrev_b32_e32 v14, 24, v53
	v_bfrev_b32_e32 v15, 60
	v_lshlrev_b32_e32 v4, 20, v4
	v_and_b32_e32 v14, 0x80000000, v14
	v_lshl_add_u32 v5, v5, 23, v15
	v_or3_b32 v4, v14, v5, v4
.LBB6_9658:                             ;   in Loop: Header=BB6_8433 Depth=4
	s_or_b64 exec, exec, s[36:37]
.LBB6_9659:                             ;   in Loop: Header=BB6_8433 Depth=4
	s_or_b64 exec, exec, s[34:35]
.LBB6_9660:                             ;   in Loop: Header=BB6_8433 Depth=4
	s_or_b64 exec, exec, s[28:29]
	v_and_b32_e32 v14, 0xff, v1
	v_cmp_ne_u16_e32 vcc, 0, v14
	s_and_saveexec_b64 s[28:29], vcc
	s_cbranch_execz .LBB6_9666
; %bb.9661:                             ;   in Loop: Header=BB6_8433 Depth=4
	v_cmp_ne_u16_e32 vcc, s96, v14
	v_bfrev_b32_e32 v3, 1
	s_and_saveexec_b64 s[34:35], vcc
	s_cbranch_execz .LBB6_9665
; %bb.9662:                             ;   in Loop: Header=BB6_8433 Depth=4
	v_and_b32_e32 v5, 0x7f, v1
	v_cmp_ne_u32_e32 vcc, s86, v5
	v_mov_b32_e32 v3, 0x7f800001
	s_and_saveexec_b64 s[36:37], vcc
	s_cbranch_execz .LBB6_9664
; %bb.9663:                             ;   in Loop: Header=BB6_8433 Depth=4
	v_and_b32_e32 v3, 7, v14
	v_lshrrev_b32_e32 v19, 3, v5
	v_cmp_gt_u32_e32 vcc, 8, v5
	v_ffbh_u32_e32 v5, v3
	v_min_u32_e32 v5, 32, v5
	v_subrev_u32_e32 v15, 28, v5
	v_lshlrev_b64 v[14:15], v15, v[14:15]
	v_sub_u32_e32 v5, 29, v5
	v_and_b32_e32 v14, 7, v14
	v_cndmask_b32_e32 v5, v19, v5, vcc
	v_cndmask_b32_e32 v3, v3, v14, vcc
	v_lshlrev_b32_e32 v1, 24, v1
	v_bfrev_b32_e32 v14, 60
	v_lshlrev_b32_e32 v3, 20, v3
	v_and_b32_e32 v1, 0x80000000, v1
	v_lshl_add_u32 v5, v5, 23, v14
	v_or3_b32 v3, v1, v5, v3
.LBB6_9664:                             ;   in Loop: Header=BB6_8433 Depth=4
	s_or_b64 exec, exec, s[36:37]
.LBB6_9665:                             ;   in Loop: Header=BB6_8433 Depth=4
	s_or_b64 exec, exec, s[34:35]
.LBB6_9666:                             ;   in Loop: Header=BB6_8433 Depth=4
	s_or_b64 exec, exec, s[28:29]
	v_add_f32_e32 v3, v4, v3
	v_and_b32_e32 v50, 0x7f800000, v3
	v_cmp_ne_u64_e32 vcc, s[76:77], v[50:51]
                                        ; implicit-def: $vgpr53
	s_and_saveexec_b64 s[28:29], vcc
	s_xor_b64 s[34:35], exec, s[28:29]
	s_cbranch_execz .LBB6_9684
; %bb.9667:                             ;   in Loop: Header=BB6_8433 Depth=4
	v_and_b32_e32 v50, 0x7fffffff, v3
	v_cmp_gt_u64_e32 vcc, s[78:79], v[50:51]
	v_and_b32_sdwa v1, v3, s96 dst_sel:DWORD dst_unused:UNUSED_PAD src0_sel:BYTE_3 src1_sel:DWORD
                                        ; implicit-def: $vgpr53
	s_and_saveexec_b64 s[28:29], vcc
	s_xor_b64 s[36:37], exec, s[28:29]
	s_cbranch_execz .LBB6_9681
; %bb.9668:                             ;   in Loop: Header=BB6_8433 Depth=4
	v_cmp_ne_u32_e32 vcc, 0, v3
	v_mov_b32_e32 v53, 0
	s_and_saveexec_b64 s[38:39], vcc
	s_cbranch_execz .LBB6_9680
; %bb.9669:                             ;   in Loop: Header=BB6_8433 Depth=4
	v_and_b32_e32 v4, 0x7fffff, v3
	v_bfe_u32 v3, v3, 23, 8
	v_cmp_gt_u32_e64 s[28:29], s97, v3
	v_sub_u32_e32 v5, 0x79, v3
	v_cmp_eq_u32_e32 vcc, 0, v3
	v_cndmask_b32_e64 v5, 0, v5, s[28:29]
	v_mov_b32_e32 v15, 0x78
	v_or_b32_e32 v14, 0x800000, v4
	v_cndmask_b32_e32 v19, v5, v15, vcc
	v_cndmask_b32_e32 v50, v14, v4, vcc
	v_add_u32_e32 v4, 20, v19
	v_lshlrev_b64 v[4:5], v4, -1
	v_add_u32_e32 v14, 19, v19
	v_lshlrev_b64 v[14:15], v14, 1
	v_bfi_b32 v5, v5, 0, 0
	v_bfi_b32 v4, v4, 0, v50
	v_cmp_eq_u64_e64 s[28:29], v[4:5], v[14:15]
	v_lshrrev_b64 v[14:15], v19, v[50:51]
	v_mov_b32_e32 v4, v14
	v_mov_b32_e32 v5, v15
	s_and_saveexec_b64 s[48:49], s[28:29]
; %bb.9670:                             ;   in Loop: Header=BB6_8433 Depth=4
	v_bfe_u32 v4, v14, 20, 1
	v_add_co_u32_e64 v4, s[28:29], v14, v4
	v_add_co_u32_e64 v4, s[28:29], -1, v4
; %bb.9671:                             ;   in Loop: Header=BB6_8433 Depth=4
	s_or_b64 exec, exec, s[48:49]
	v_add_u32_e32 v3, 0xffffff81, v3
	v_mov_b32_e32 v5, 0xffffff82
	v_cndmask_b32_e32 v3, v3, v5, vcc
	v_lshrrev_b32_e32 v5, 23, v14
	v_add3_u32 v19, v19, v3, v5
	v_add_u32_e32 v5, 6, v19
	v_and_b32_e32 v3, 0xfffff, v4
	v_add_u32_e32 v50, v3, v14
	v_cmp_ne_u32_e32 vcc, 0, v5
                                        ; implicit-def: $vgpr14_vgpr15
                                        ; implicit-def: $vgpr3
	s_and_saveexec_b64 s[28:29], vcc
	s_xor_b64 s[28:29], exec, s[28:29]
; %bb.9672:                             ;   in Loop: Header=BB6_8433 Depth=4
	v_cmp_lt_u64_e32 vcc, s[88:89], v[50:51]
	v_add_u32_e32 v3, 7, v19
	v_cndmask_b32_e64 v4, 0, 1, vcc
	v_lshrrev_b64 v[14:15], v4, v[50:51]
	v_cndmask_b32_e32 v3, v5, v3, vcc
; %bb.9673:                             ;   in Loop: Header=BB6_8433 Depth=4
	s_andn2_saveexec_b64 s[28:29], s[28:29]
; %bb.9674:                             ;   in Loop: Header=BB6_8433 Depth=4
	v_mov_b32_e32 v14, v50
	v_mov_b32_e32 v15, v51
	v_bfe_u32 v3, v50, 23, 1
; %bb.9675:                             ;   in Loop: Header=BB6_8433 Depth=4
	s_or_b64 exec, exec, s[28:29]
	v_lshrrev_b64 v[4:5], 20, v[14:15]
	v_cmp_gt_i32_e32 vcc, 16, v3
	v_cndmask_b32_e32 v15, 0, v5, vcc
	v_cndmask_b32_e32 v14, 7, v4, vcc
	v_cmp_ne_u64_e32 vcc, 0, v[14:15]
	v_cmp_ne_u32_e64 s[28:29], 0, v3
	s_or_b64 s[28:29], s[28:29], vcc
                                        ; implicit-def: $vgpr53
	s_and_saveexec_b64 vcc, s[28:29]
	s_xor_b64 s[28:29], exec, vcc
; %bb.9676:                             ;   in Loop: Header=BB6_8433 Depth=4
	v_min_i32_e32 v3, 15, v3
	v_lshl_or_b32 v1, v3, 3, v1
	v_and_or_b32 v53, v14, 7, v1
                                        ; implicit-def: $vgpr1
; %bb.9677:                             ;   in Loop: Header=BB6_8433 Depth=4
	s_andn2_saveexec_b64 s[28:29], s[28:29]
; %bb.9678:                             ;   in Loop: Header=BB6_8433 Depth=4
	v_mov_b32_e32 v53, v1
; %bb.9679:                             ;   in Loop: Header=BB6_8433 Depth=4
	s_or_b64 exec, exec, s[28:29]
.LBB6_9680:                             ;   in Loop: Header=BB6_8433 Depth=4
	s_or_b64 exec, exec, s[38:39]
                                        ; implicit-def: $vgpr1
.LBB6_9681:                             ;   in Loop: Header=BB6_8433 Depth=4
	s_andn2_saveexec_b64 s[28:29], s[36:37]
; %bb.9682:                             ;   in Loop: Header=BB6_8433 Depth=4
	v_or_b32_e32 v53, 0x7e, v1
; %bb.9683:                             ;   in Loop: Header=BB6_8433 Depth=4
	s_or_b64 exec, exec, s[28:29]
                                        ; implicit-def: $vgpr3
.LBB6_9684:                             ;   in Loop: Header=BB6_8433 Depth=4
	s_andn2_saveexec_b64 s[28:29], s[34:35]
; %bb.9685:                             ;   in Loop: Header=BB6_8433 Depth=4
	v_or_b32_sdwa v53, v3, s86 dst_sel:DWORD dst_unused:UNUSED_PAD src0_sel:BYTE_3 src1_sel:DWORD
; %bb.9686:                             ;   in Loop: Header=BB6_8433 Depth=4
	s_or_b64 exec, exec, s[28:29]
	v_and_b32_e32 v14, 0xff, v48
	v_cmp_ne_u16_e32 vcc, 0, v14
	v_mov_b32_e32 v1, 0
	v_mov_b32_e32 v3, 0
	s_and_saveexec_b64 s[28:29], vcc
	s_cbranch_execz .LBB6_9692
; %bb.9687:                             ;   in Loop: Header=BB6_8433 Depth=4
	v_cmp_ne_u16_e32 vcc, s96, v14
	v_bfrev_b32_e32 v3, 1
	s_and_saveexec_b64 s[34:35], vcc
	s_cbranch_execz .LBB6_9691
; %bb.9688:                             ;   in Loop: Header=BB6_8433 Depth=4
	v_and_b32_e32 v4, 0x7f, v48
	v_cmp_ne_u32_e32 vcc, s86, v4
	v_mov_b32_e32 v3, 0x7f800001
	s_and_saveexec_b64 s[36:37], vcc
	s_cbranch_execz .LBB6_9690
; %bb.9689:                             ;   in Loop: Header=BB6_8433 Depth=4
	v_and_b32_e32 v5, 7, v14
	v_ffbh_u32_e32 v3, v5
	v_min_u32_e32 v19, 32, v3
	v_lshrrev_b32_e32 v15, 3, v4
	v_subrev_u32_e32 v3, 28, v19
	v_cmp_gt_u32_e32 vcc, 8, v4
	v_lshlrev_b64 v[3:4], v3, v[14:15]
	v_sub_u32_e32 v4, 29, v19
	v_and_b32_e32 v3, 7, v3
	v_cndmask_b32_e32 v4, v15, v4, vcc
	v_cndmask_b32_e32 v3, v5, v3, vcc
	v_lshlrev_b32_e32 v5, 24, v48
	v_bfrev_b32_e32 v14, 60
	v_lshlrev_b32_e32 v3, 20, v3
	v_and_b32_e32 v5, 0x80000000, v5
	v_lshl_add_u32 v4, v4, 23, v14
	v_or3_b32 v3, v5, v4, v3
.LBB6_9690:                             ;   in Loop: Header=BB6_8433 Depth=4
	s_or_b64 exec, exec, s[36:37]
.LBB6_9691:                             ;   in Loop: Header=BB6_8433 Depth=4
	s_or_b64 exec, exec, s[34:35]
.LBB6_9692:                             ;   in Loop: Header=BB6_8433 Depth=4
	s_or_b64 exec, exec, s[28:29]
	v_and_b32_e32 v14, 0xff, v25
	v_cmp_ne_u16_e32 vcc, 0, v14
	s_and_saveexec_b64 s[28:29], vcc
	s_cbranch_execz .LBB6_9698
; %bb.9693:                             ;   in Loop: Header=BB6_8433 Depth=4
	v_cmp_ne_u16_e32 vcc, s96, v14
	v_bfrev_b32_e32 v1, 1
	s_and_saveexec_b64 s[34:35], vcc
	s_cbranch_execz .LBB6_9697
; %bb.9694:                             ;   in Loop: Header=BB6_8433 Depth=4
	v_and_b32_e32 v4, 0x7f, v25
	v_cmp_ne_u32_e32 vcc, s86, v4
	v_mov_b32_e32 v1, 0x7f800001
	s_and_saveexec_b64 s[36:37], vcc
	s_cbranch_execz .LBB6_9696
; %bb.9695:                             ;   in Loop: Header=BB6_8433 Depth=4
	v_and_b32_e32 v1, 7, v14
	v_lshrrev_b32_e32 v15, 3, v4
	v_cmp_gt_u32_e32 vcc, 8, v4
	v_ffbh_u32_e32 v4, v1
	v_min_u32_e32 v19, 32, v4
	v_subrev_u32_e32 v4, 28, v19
	v_lshlrev_b64 v[4:5], v4, v[14:15]
	v_sub_u32_e32 v5, 29, v19
	v_and_b32_e32 v4, 7, v4
	v_cndmask_b32_e32 v5, v15, v5, vcc
	v_cndmask_b32_e32 v1, v1, v4, vcc
	v_lshlrev_b32_e32 v4, 24, v25
	v_bfrev_b32_e32 v14, 60
	v_lshlrev_b32_e32 v1, 20, v1
	v_and_b32_e32 v4, 0x80000000, v4
	v_lshl_add_u32 v5, v5, 23, v14
	v_or3_b32 v1, v4, v5, v1
.LBB6_9696:                             ;   in Loop: Header=BB6_8433 Depth=4
	s_or_b64 exec, exec, s[36:37]
.LBB6_9697:                             ;   in Loop: Header=BB6_8433 Depth=4
	s_or_b64 exec, exec, s[34:35]
.LBB6_9698:                             ;   in Loop: Header=BB6_8433 Depth=4
	s_or_b64 exec, exec, s[28:29]
	v_add_f32_e32 v3, v3, v1
	v_and_b32_e32 v50, 0x7f800000, v3
	v_cmp_ne_u64_e32 vcc, s[76:77], v[50:51]
                                        ; implicit-def: $vgpr48
	s_and_saveexec_b64 s[28:29], vcc
	s_xor_b64 s[34:35], exec, s[28:29]
	s_cbranch_execz .LBB6_9716
; %bb.9699:                             ;   in Loop: Header=BB6_8433 Depth=4
	v_and_b32_e32 v50, 0x7fffffff, v3
	v_cmp_gt_u64_e32 vcc, s[78:79], v[50:51]
	v_and_b32_sdwa v1, v3, s96 dst_sel:DWORD dst_unused:UNUSED_PAD src0_sel:BYTE_3 src1_sel:DWORD
                                        ; implicit-def: $vgpr48
	s_and_saveexec_b64 s[28:29], vcc
	s_xor_b64 s[36:37], exec, s[28:29]
	s_cbranch_execz .LBB6_9713
; %bb.9700:                             ;   in Loop: Header=BB6_8433 Depth=4
	v_cmp_ne_u32_e32 vcc, 0, v3
	v_mov_b32_e32 v48, 0
	s_and_saveexec_b64 s[38:39], vcc
	s_cbranch_execz .LBB6_9712
; %bb.9701:                             ;   in Loop: Header=BB6_8433 Depth=4
	v_and_b32_e32 v4, 0x7fffff, v3
	v_bfe_u32 v3, v3, 23, 8
	v_cmp_gt_u32_e64 s[28:29], s97, v3
	v_sub_u32_e32 v5, 0x79, v3
	v_cmp_eq_u32_e32 vcc, 0, v3
	v_cndmask_b32_e64 v5, 0, v5, s[28:29]
	v_mov_b32_e32 v15, 0x78
	v_or_b32_e32 v14, 0x800000, v4
	v_cndmask_b32_e32 v19, v5, v15, vcc
	v_cndmask_b32_e32 v50, v14, v4, vcc
	v_add_u32_e32 v4, 20, v19
	v_lshlrev_b64 v[4:5], v4, -1
	v_add_u32_e32 v14, 19, v19
	v_lshlrev_b64 v[14:15], v14, 1
	v_bfi_b32 v5, v5, 0, 0
	v_bfi_b32 v4, v4, 0, v50
	v_cmp_eq_u64_e64 s[28:29], v[4:5], v[14:15]
	v_lshrrev_b64 v[14:15], v19, v[50:51]
	v_mov_b32_e32 v4, v14
	v_mov_b32_e32 v5, v15
	s_and_saveexec_b64 s[48:49], s[28:29]
; %bb.9702:                             ;   in Loop: Header=BB6_8433 Depth=4
	v_bfe_u32 v4, v14, 20, 1
	v_add_co_u32_e64 v4, s[28:29], v14, v4
	v_add_co_u32_e64 v4, s[28:29], -1, v4
; %bb.9703:                             ;   in Loop: Header=BB6_8433 Depth=4
	s_or_b64 exec, exec, s[48:49]
	v_add_u32_e32 v3, 0xffffff81, v3
	v_mov_b32_e32 v5, 0xffffff82
	v_cndmask_b32_e32 v3, v3, v5, vcc
	v_lshrrev_b32_e32 v5, 23, v14
	v_add3_u32 v19, v19, v3, v5
	v_add_u32_e32 v5, 6, v19
	v_and_b32_e32 v3, 0xfffff, v4
	v_add_u32_e32 v50, v3, v14
	v_cmp_ne_u32_e32 vcc, 0, v5
                                        ; implicit-def: $vgpr14_vgpr15
                                        ; implicit-def: $vgpr3
	s_and_saveexec_b64 s[28:29], vcc
	s_xor_b64 s[28:29], exec, s[28:29]
; %bb.9704:                             ;   in Loop: Header=BB6_8433 Depth=4
	v_cmp_lt_u64_e32 vcc, s[88:89], v[50:51]
	v_add_u32_e32 v3, 7, v19
	v_cndmask_b32_e64 v4, 0, 1, vcc
	v_lshrrev_b64 v[14:15], v4, v[50:51]
	v_cndmask_b32_e32 v3, v5, v3, vcc
; %bb.9705:                             ;   in Loop: Header=BB6_8433 Depth=4
	s_andn2_saveexec_b64 s[28:29], s[28:29]
; %bb.9706:                             ;   in Loop: Header=BB6_8433 Depth=4
	v_mov_b32_e32 v14, v50
	v_mov_b32_e32 v15, v51
	v_bfe_u32 v3, v50, 23, 1
; %bb.9707:                             ;   in Loop: Header=BB6_8433 Depth=4
	s_or_b64 exec, exec, s[28:29]
	v_lshrrev_b64 v[4:5], 20, v[14:15]
	v_cmp_gt_i32_e32 vcc, 16, v3
	v_cndmask_b32_e32 v15, 0, v5, vcc
	v_cndmask_b32_e32 v14, 7, v4, vcc
	v_cmp_ne_u64_e32 vcc, 0, v[14:15]
	v_cmp_ne_u32_e64 s[28:29], 0, v3
	s_or_b64 s[28:29], s[28:29], vcc
                                        ; implicit-def: $vgpr48
	s_and_saveexec_b64 vcc, s[28:29]
	s_xor_b64 s[28:29], exec, vcc
; %bb.9708:                             ;   in Loop: Header=BB6_8433 Depth=4
	v_min_i32_e32 v3, 15, v3
	v_lshl_or_b32 v1, v3, 3, v1
	v_and_or_b32 v48, v14, 7, v1
                                        ; implicit-def: $vgpr1
; %bb.9709:                             ;   in Loop: Header=BB6_8433 Depth=4
	s_andn2_saveexec_b64 s[28:29], s[28:29]
; %bb.9710:                             ;   in Loop: Header=BB6_8433 Depth=4
	v_mov_b32_e32 v48, v1
; %bb.9711:                             ;   in Loop: Header=BB6_8433 Depth=4
	s_or_b64 exec, exec, s[28:29]
.LBB6_9712:                             ;   in Loop: Header=BB6_8433 Depth=4
	s_or_b64 exec, exec, s[38:39]
                                        ; implicit-def: $vgpr1
.LBB6_9713:                             ;   in Loop: Header=BB6_8433 Depth=4
	s_andn2_saveexec_b64 s[28:29], s[36:37]
; %bb.9714:                             ;   in Loop: Header=BB6_8433 Depth=4
	v_or_b32_e32 v48, 0x7e, v1
; %bb.9715:                             ;   in Loop: Header=BB6_8433 Depth=4
	s_or_b64 exec, exec, s[28:29]
                                        ; implicit-def: $vgpr3
.LBB6_9716:                             ;   in Loop: Header=BB6_8433 Depth=4
	s_andn2_saveexec_b64 s[28:29], s[34:35]
; %bb.9717:                             ;   in Loop: Header=BB6_8433 Depth=4
	v_or_b32_sdwa v48, v3, s86 dst_sel:DWORD dst_unused:UNUSED_PAD src0_sel:BYTE_3 src1_sel:DWORD
; %bb.9718:                             ;   in Loop: Header=BB6_8433 Depth=4
	s_or_b64 exec, exec, s[28:29]
	v_and_b32_e32 v14, 0xff, v39
	v_cmp_ne_u16_e32 vcc, 0, v14
	v_mov_b32_e32 v1, 0
	v_mov_b32_e32 v3, 0
	s_and_saveexec_b64 s[28:29], vcc
	s_cbranch_execz .LBB6_9724
; %bb.9719:                             ;   in Loop: Header=BB6_8433 Depth=4
	v_cmp_ne_u16_e32 vcc, s96, v14
	v_bfrev_b32_e32 v3, 1
	s_and_saveexec_b64 s[34:35], vcc
	s_cbranch_execz .LBB6_9723
; %bb.9720:                             ;   in Loop: Header=BB6_8433 Depth=4
	v_and_b32_e32 v4, 0x7f, v39
	v_cmp_ne_u32_e32 vcc, s86, v4
	v_mov_b32_e32 v3, 0x7f800001
	s_and_saveexec_b64 s[36:37], vcc
	s_cbranch_execz .LBB6_9722
; %bb.9721:                             ;   in Loop: Header=BB6_8433 Depth=4
	v_and_b32_e32 v5, 7, v14
	v_ffbh_u32_e32 v3, v5
	v_min_u32_e32 v19, 32, v3
	v_lshrrev_b32_e32 v15, 3, v4
	v_subrev_u32_e32 v3, 28, v19
	v_cmp_gt_u32_e32 vcc, 8, v4
	v_lshlrev_b64 v[3:4], v3, v[14:15]
	v_sub_u32_e32 v4, 29, v19
	v_and_b32_e32 v3, 7, v3
	v_cndmask_b32_e32 v4, v15, v4, vcc
	v_cndmask_b32_e32 v3, v5, v3, vcc
	v_lshlrev_b32_e32 v5, 24, v39
	v_bfrev_b32_e32 v14, 60
	v_lshlrev_b32_e32 v3, 20, v3
	v_and_b32_e32 v5, 0x80000000, v5
	v_lshl_add_u32 v4, v4, 23, v14
	v_or3_b32 v3, v5, v4, v3
.LBB6_9722:                             ;   in Loop: Header=BB6_8433 Depth=4
	s_or_b64 exec, exec, s[36:37]
.LBB6_9723:                             ;   in Loop: Header=BB6_8433 Depth=4
	s_or_b64 exec, exec, s[34:35]
.LBB6_9724:                             ;   in Loop: Header=BB6_8433 Depth=4
	s_or_b64 exec, exec, s[28:29]
	v_and_b32_e32 v14, 0xff, v2
	v_cmp_ne_u16_e32 vcc, 0, v14
	s_and_saveexec_b64 s[28:29], vcc
	s_cbranch_execz .LBB6_9730
; %bb.9725:                             ;   in Loop: Header=BB6_8433 Depth=4
	v_cmp_ne_u16_e32 vcc, s96, v14
	v_bfrev_b32_e32 v1, 1
	s_and_saveexec_b64 s[34:35], vcc
	s_cbranch_execz .LBB6_9729
; %bb.9726:                             ;   in Loop: Header=BB6_8433 Depth=4
	v_and_b32_e32 v4, 0x7f, v2
	v_cmp_ne_u32_e32 vcc, s86, v4
	v_mov_b32_e32 v1, 0x7f800001
	s_and_saveexec_b64 s[36:37], vcc
	s_cbranch_execz .LBB6_9728
; %bb.9727:                             ;   in Loop: Header=BB6_8433 Depth=4
	v_and_b32_e32 v1, 7, v14
	v_lshrrev_b32_e32 v15, 3, v4
	v_cmp_gt_u32_e32 vcc, 8, v4
	v_ffbh_u32_e32 v4, v1
	v_min_u32_e32 v19, 32, v4
	v_subrev_u32_e32 v4, 28, v19
	v_lshlrev_b64 v[4:5], v4, v[14:15]
	v_sub_u32_e32 v5, 29, v19
	v_and_b32_e32 v4, 7, v4
	v_cndmask_b32_e32 v5, v15, v5, vcc
	v_cndmask_b32_e32 v1, v1, v4, vcc
	v_lshlrev_b32_e32 v2, 24, v2
	v_bfrev_b32_e32 v4, 60
	v_lshlrev_b32_e32 v1, 20, v1
	v_and_b32_e32 v2, 0x80000000, v2
	v_lshl_add_u32 v4, v5, 23, v4
	v_or3_b32 v1, v2, v4, v1
.LBB6_9728:                             ;   in Loop: Header=BB6_8433 Depth=4
	s_or_b64 exec, exec, s[36:37]
.LBB6_9729:                             ;   in Loop: Header=BB6_8433 Depth=4
	s_or_b64 exec, exec, s[34:35]
.LBB6_9730:                             ;   in Loop: Header=BB6_8433 Depth=4
	s_or_b64 exec, exec, s[28:29]
	v_add_f32_e32 v2, v3, v1
	v_and_b32_e32 v50, 0x7f800000, v2
	v_cmp_ne_u64_e32 vcc, s[76:77], v[50:51]
                                        ; implicit-def: $vgpr39
	s_and_saveexec_b64 s[28:29], vcc
	s_xor_b64 s[34:35], exec, s[28:29]
	s_cbranch_execz .LBB6_9748
; %bb.9731:                             ;   in Loop: Header=BB6_8433 Depth=4
	v_and_b32_e32 v50, 0x7fffffff, v2
	v_cmp_gt_u64_e32 vcc, s[78:79], v[50:51]
	v_and_b32_sdwa v1, v2, s96 dst_sel:DWORD dst_unused:UNUSED_PAD src0_sel:BYTE_3 src1_sel:DWORD
                                        ; implicit-def: $vgpr39
	s_and_saveexec_b64 s[28:29], vcc
	s_xor_b64 s[36:37], exec, s[28:29]
	s_cbranch_execz .LBB6_9745
; %bb.9732:                             ;   in Loop: Header=BB6_8433 Depth=4
	v_cmp_ne_u32_e32 vcc, 0, v2
	v_mov_b32_e32 v39, 0
	s_and_saveexec_b64 s[38:39], vcc
	s_cbranch_execz .LBB6_9744
; %bb.9733:                             ;   in Loop: Header=BB6_8433 Depth=4
	v_and_b32_e32 v4, 0x7fffff, v2
	v_bfe_u32 v2, v2, 23, 8
	v_cmp_gt_u32_e64 s[28:29], s97, v2
	v_sub_u32_e32 v3, 0x79, v2
	v_cmp_eq_u32_e32 vcc, 0, v2
	v_cndmask_b32_e64 v3, 0, v3, s[28:29]
	v_mov_b32_e32 v14, 0x78
	v_or_b32_e32 v5, 0x800000, v4
	v_cndmask_b32_e32 v3, v3, v14, vcc
	v_cndmask_b32_e32 v50, v5, v4, vcc
	v_add_u32_e32 v4, 20, v3
	v_lshlrev_b64 v[4:5], v4, -1
	v_add_u32_e32 v14, 19, v3
	v_lshlrev_b64 v[14:15], v14, 1
	v_bfi_b32 v5, v5, 0, 0
	v_bfi_b32 v4, v4, 0, v50
	v_cmp_eq_u64_e64 s[28:29], v[4:5], v[14:15]
	v_lshrrev_b64 v[14:15], v3, v[50:51]
	v_mov_b32_e32 v4, v14
	v_mov_b32_e32 v5, v15
	s_and_saveexec_b64 s[48:49], s[28:29]
; %bb.9734:                             ;   in Loop: Header=BB6_8433 Depth=4
	v_bfe_u32 v4, v14, 20, 1
	v_add_co_u32_e64 v4, s[28:29], v14, v4
	v_add_co_u32_e64 v4, s[28:29], -1, v4
; %bb.9735:                             ;   in Loop: Header=BB6_8433 Depth=4
	s_or_b64 exec, exec, s[48:49]
	v_add_u32_e32 v2, 0xffffff81, v2
	v_mov_b32_e32 v5, 0xffffff82
	v_cndmask_b32_e32 v2, v2, v5, vcc
	v_lshrrev_b32_e32 v5, 23, v14
	v_add3_u32 v5, v3, v2, v5
	v_add_u32_e32 v3, 6, v5
	v_and_b32_e32 v2, 0xfffff, v4
	v_add_u32_e32 v50, v2, v14
	v_cmp_ne_u32_e32 vcc, 0, v3
                                        ; implicit-def: $vgpr14_vgpr15
                                        ; implicit-def: $vgpr2
	s_and_saveexec_b64 s[28:29], vcc
	s_xor_b64 s[28:29], exec, s[28:29]
; %bb.9736:                             ;   in Loop: Header=BB6_8433 Depth=4
	v_cmp_lt_u64_e32 vcc, s[88:89], v[50:51]
	v_add_u32_e32 v2, 7, v5
	v_cndmask_b32_e32 v2, v3, v2, vcc
	v_cndmask_b32_e64 v3, 0, 1, vcc
	v_lshrrev_b64 v[14:15], v3, v[50:51]
; %bb.9737:                             ;   in Loop: Header=BB6_8433 Depth=4
	s_andn2_saveexec_b64 s[28:29], s[28:29]
; %bb.9738:                             ;   in Loop: Header=BB6_8433 Depth=4
	v_mov_b32_e32 v14, v50
	v_mov_b32_e32 v15, v51
	v_bfe_u32 v2, v50, 23, 1
; %bb.9739:                             ;   in Loop: Header=BB6_8433 Depth=4
	s_or_b64 exec, exec, s[28:29]
	v_lshrrev_b64 v[3:4], 20, v[14:15]
	v_cmp_gt_i32_e32 vcc, 16, v2
	v_cndmask_b32_e32 v15, 0, v4, vcc
	v_cndmask_b32_e32 v14, 7, v3, vcc
	v_cmp_ne_u64_e32 vcc, 0, v[14:15]
	v_cmp_ne_u32_e64 s[28:29], 0, v2
	s_or_b64 s[28:29], s[28:29], vcc
                                        ; implicit-def: $vgpr39
	s_and_saveexec_b64 vcc, s[28:29]
	s_xor_b64 s[28:29], exec, vcc
; %bb.9740:                             ;   in Loop: Header=BB6_8433 Depth=4
	v_min_i32_e32 v2, 15, v2
	v_lshl_or_b32 v1, v2, 3, v1
	v_and_or_b32 v39, v14, 7, v1
                                        ; implicit-def: $vgpr1
; %bb.9741:                             ;   in Loop: Header=BB6_8433 Depth=4
	s_andn2_saveexec_b64 s[28:29], s[28:29]
; %bb.9742:                             ;   in Loop: Header=BB6_8433 Depth=4
	v_mov_b32_e32 v39, v1
; %bb.9743:                             ;   in Loop: Header=BB6_8433 Depth=4
	s_or_b64 exec, exec, s[28:29]
.LBB6_9744:                             ;   in Loop: Header=BB6_8433 Depth=4
	s_or_b64 exec, exec, s[38:39]
                                        ; implicit-def: $vgpr1
.LBB6_9745:                             ;   in Loop: Header=BB6_8433 Depth=4
	s_andn2_saveexec_b64 s[28:29], s[36:37]
; %bb.9746:                             ;   in Loop: Header=BB6_8433 Depth=4
	v_or_b32_e32 v39, 0x7e, v1
; %bb.9747:                             ;   in Loop: Header=BB6_8433 Depth=4
	s_or_b64 exec, exec, s[28:29]
                                        ; implicit-def: $vgpr2
.LBB6_9748:                             ;   in Loop: Header=BB6_8433 Depth=4
	s_andn2_saveexec_b64 s[28:29], s[34:35]
; %bb.9749:                             ;   in Loop: Header=BB6_8433 Depth=4
	v_or_b32_sdwa v39, v2, s86 dst_sel:DWORD dst_unused:UNUSED_PAD src0_sel:BYTE_3 src1_sel:DWORD
; %bb.9750:                             ;   in Loop: Header=BB6_8433 Depth=4
	s_or_b64 exec, exec, s[28:29]
	v_and_b32_e32 v14, 0xff, v38
	v_cmp_ne_u16_e32 vcc, 0, v14
	v_mov_b32_e32 v1, 0
	v_mov_b32_e32 v2, 0
	s_and_saveexec_b64 s[28:29], vcc
	s_cbranch_execz .LBB6_9756
; %bb.9751:                             ;   in Loop: Header=BB6_8433 Depth=4
	v_cmp_ne_u16_e32 vcc, s96, v14
	v_bfrev_b32_e32 v2, 1
	s_and_saveexec_b64 s[34:35], vcc
	s_cbranch_execz .LBB6_9755
; %bb.9752:                             ;   in Loop: Header=BB6_8433 Depth=4
	v_and_b32_e32 v3, 0x7f, v38
	v_cmp_ne_u32_e32 vcc, s86, v3
	v_mov_b32_e32 v2, 0x7f800001
	s_and_saveexec_b64 s[36:37], vcc
	s_cbranch_execz .LBB6_9754
; %bb.9753:                             ;   in Loop: Header=BB6_8433 Depth=4
	v_and_b32_e32 v4, 7, v14
	v_ffbh_u32_e32 v2, v4
	v_min_u32_e32 v15, 32, v2
	v_subrev_u32_e32 v2, 28, v15
	v_lshrrev_b32_e32 v5, 3, v3
	v_cmp_gt_u32_e32 vcc, 8, v3
	v_lshlrev_b64 v[2:3], v2, v[14:15]
	v_sub_u32_e32 v3, 29, v15
	v_and_b32_e32 v2, 7, v2
	v_cndmask_b32_e32 v3, v5, v3, vcc
	v_cndmask_b32_e32 v2, v4, v2, vcc
	v_lshlrev_b32_e32 v4, 24, v38
	v_bfrev_b32_e32 v5, 60
	v_lshlrev_b32_e32 v2, 20, v2
	v_and_b32_e32 v4, 0x80000000, v4
	v_lshl_add_u32 v3, v3, 23, v5
	v_or3_b32 v2, v4, v3, v2
.LBB6_9754:                             ;   in Loop: Header=BB6_8433 Depth=4
	s_or_b64 exec, exec, s[36:37]
.LBB6_9755:                             ;   in Loop: Header=BB6_8433 Depth=4
	s_or_b64 exec, exec, s[34:35]
.LBB6_9756:                             ;   in Loop: Header=BB6_8433 Depth=4
	s_or_b64 exec, exec, s[28:29]
	v_and_b32_e32 v14, 0xff, v6
	v_cmp_ne_u16_e32 vcc, 0, v14
	s_and_saveexec_b64 s[28:29], vcc
	s_cbranch_execz .LBB6_9762
; %bb.9757:                             ;   in Loop: Header=BB6_8433 Depth=4
	v_cmp_ne_u16_e32 vcc, s96, v14
	v_bfrev_b32_e32 v1, 1
	s_and_saveexec_b64 s[34:35], vcc
	s_cbranch_execz .LBB6_9761
; %bb.9758:                             ;   in Loop: Header=BB6_8433 Depth=4
	v_and_b32_e32 v3, 0x7f, v6
	v_cmp_ne_u32_e32 vcc, s86, v3
	v_mov_b32_e32 v1, 0x7f800001
	s_and_saveexec_b64 s[36:37], vcc
	s_cbranch_execz .LBB6_9760
; %bb.9759:                             ;   in Loop: Header=BB6_8433 Depth=4
	v_and_b32_e32 v1, 7, v14
	v_lshrrev_b32_e32 v5, 3, v3
	v_cmp_gt_u32_e32 vcc, 8, v3
	v_ffbh_u32_e32 v3, v1
	v_min_u32_e32 v15, 32, v3
	v_subrev_u32_e32 v3, 28, v15
	v_lshlrev_b64 v[3:4], v3, v[14:15]
	v_sub_u32_e32 v4, 29, v15
	v_and_b32_e32 v3, 7, v3
	v_cndmask_b32_e32 v4, v5, v4, vcc
	v_cndmask_b32_e32 v1, v1, v3, vcc
	v_lshlrev_b32_e32 v3, 24, v6
	v_bfrev_b32_e32 v5, 60
	v_lshlrev_b32_e32 v1, 20, v1
	v_and_b32_e32 v3, 0x80000000, v3
	v_lshl_add_u32 v4, v4, 23, v5
	v_or3_b32 v1, v3, v4, v1
.LBB6_9760:                             ;   in Loop: Header=BB6_8433 Depth=4
	s_or_b64 exec, exec, s[36:37]
.LBB6_9761:                             ;   in Loop: Header=BB6_8433 Depth=4
	s_or_b64 exec, exec, s[34:35]
.LBB6_9762:                             ;   in Loop: Header=BB6_8433 Depth=4
	s_or_b64 exec, exec, s[28:29]
	v_add_f32_e32 v2, v2, v1
	v_and_b32_e32 v50, 0x7f800000, v2
	v_cmp_ne_u64_e32 vcc, s[76:77], v[50:51]
                                        ; implicit-def: $vgpr38
	s_and_saveexec_b64 s[28:29], vcc
	s_xor_b64 s[34:35], exec, s[28:29]
	s_cbranch_execz .LBB6_9780
; %bb.9763:                             ;   in Loop: Header=BB6_8433 Depth=4
	v_and_b32_e32 v50, 0x7fffffff, v2
	v_cmp_gt_u64_e32 vcc, s[78:79], v[50:51]
	v_and_b32_sdwa v1, v2, s96 dst_sel:DWORD dst_unused:UNUSED_PAD src0_sel:BYTE_3 src1_sel:DWORD
                                        ; implicit-def: $vgpr38
	s_and_saveexec_b64 s[28:29], vcc
	s_xor_b64 s[36:37], exec, s[28:29]
	s_cbranch_execz .LBB6_9777
; %bb.9764:                             ;   in Loop: Header=BB6_8433 Depth=4
	v_cmp_ne_u32_e32 vcc, 0, v2
	v_mov_b32_e32 v38, 0
	s_and_saveexec_b64 s[38:39], vcc
	s_cbranch_execz .LBB6_9776
; %bb.9765:                             ;   in Loop: Header=BB6_8433 Depth=4
	v_and_b32_e32 v4, 0x7fffff, v2
	v_bfe_u32 v2, v2, 23, 8
	v_cmp_gt_u32_e64 s[28:29], s97, v2
	v_sub_u32_e32 v3, 0x79, v2
	v_cmp_eq_u32_e32 vcc, 0, v2
	v_cndmask_b32_e64 v3, 0, v3, s[28:29]
	v_mov_b32_e32 v6, 0x78
	v_or_b32_e32 v5, 0x800000, v4
	v_cndmask_b32_e32 v3, v3, v6, vcc
	v_cndmask_b32_e32 v50, v5, v4, vcc
	v_add_u32_e32 v4, 20, v3
	v_lshlrev_b64 v[4:5], v4, -1
	v_add_u32_e32 v6, 19, v3
	v_lshlrev_b64 v[14:15], v6, 1
	v_bfi_b32 v5, v5, 0, 0
	v_bfi_b32 v4, v4, 0, v50
	v_cmp_eq_u64_e64 s[28:29], v[4:5], v[14:15]
	v_lshrrev_b64 v[14:15], v3, v[50:51]
	v_mov_b32_e32 v4, v14
	v_mov_b32_e32 v5, v15
	s_and_saveexec_b64 s[48:49], s[28:29]
; %bb.9766:                             ;   in Loop: Header=BB6_8433 Depth=4
	v_bfe_u32 v4, v14, 20, 1
	v_add_co_u32_e64 v4, s[28:29], v14, v4
	v_add_co_u32_e64 v4, s[28:29], -1, v4
; %bb.9767:                             ;   in Loop: Header=BB6_8433 Depth=4
	s_or_b64 exec, exec, s[48:49]
	v_add_u32_e32 v2, 0xffffff81, v2
	v_mov_b32_e32 v5, 0xffffff82
	v_cndmask_b32_e32 v2, v2, v5, vcc
	v_lshrrev_b32_e32 v5, 23, v14
	v_add3_u32 v5, v3, v2, v5
	v_add_u32_e32 v3, 6, v5
	v_and_b32_e32 v2, 0xfffff, v4
	v_add_u32_e32 v50, v2, v14
	v_cmp_ne_u32_e32 vcc, 0, v3
                                        ; implicit-def: $vgpr14_vgpr15
                                        ; implicit-def: $vgpr2
	s_and_saveexec_b64 s[28:29], vcc
	s_xor_b64 s[28:29], exec, s[28:29]
; %bb.9768:                             ;   in Loop: Header=BB6_8433 Depth=4
	v_cmp_lt_u64_e32 vcc, s[88:89], v[50:51]
	v_add_u32_e32 v2, 7, v5
	v_cndmask_b32_e32 v2, v3, v2, vcc
	v_cndmask_b32_e64 v3, 0, 1, vcc
	v_lshrrev_b64 v[14:15], v3, v[50:51]
; %bb.9769:                             ;   in Loop: Header=BB6_8433 Depth=4
	s_andn2_saveexec_b64 s[28:29], s[28:29]
; %bb.9770:                             ;   in Loop: Header=BB6_8433 Depth=4
	v_mov_b32_e32 v14, v50
	v_mov_b32_e32 v15, v51
	v_bfe_u32 v2, v50, 23, 1
; %bb.9771:                             ;   in Loop: Header=BB6_8433 Depth=4
	s_or_b64 exec, exec, s[28:29]
	v_lshrrev_b64 v[3:4], 20, v[14:15]
	v_cmp_gt_i32_e32 vcc, 16, v2
	v_cndmask_b32_e32 v15, 0, v4, vcc
	v_cndmask_b32_e32 v14, 7, v3, vcc
	v_cmp_ne_u64_e32 vcc, 0, v[14:15]
	v_cmp_ne_u32_e64 s[28:29], 0, v2
	s_or_b64 s[28:29], s[28:29], vcc
                                        ; implicit-def: $vgpr38
	s_and_saveexec_b64 vcc, s[28:29]
	s_xor_b64 s[28:29], exec, vcc
; %bb.9772:                             ;   in Loop: Header=BB6_8433 Depth=4
	v_min_i32_e32 v2, 15, v2
	v_lshl_or_b32 v1, v2, 3, v1
	v_and_or_b32 v38, v14, 7, v1
                                        ; implicit-def: $vgpr1
; %bb.9773:                             ;   in Loop: Header=BB6_8433 Depth=4
	s_andn2_saveexec_b64 s[28:29], s[28:29]
; %bb.9774:                             ;   in Loop: Header=BB6_8433 Depth=4
	v_mov_b32_e32 v38, v1
; %bb.9775:                             ;   in Loop: Header=BB6_8433 Depth=4
	s_or_b64 exec, exec, s[28:29]
.LBB6_9776:                             ;   in Loop: Header=BB6_8433 Depth=4
	s_or_b64 exec, exec, s[38:39]
                                        ; implicit-def: $vgpr1
.LBB6_9777:                             ;   in Loop: Header=BB6_8433 Depth=4
	s_andn2_saveexec_b64 s[28:29], s[36:37]
; %bb.9778:                             ;   in Loop: Header=BB6_8433 Depth=4
	v_or_b32_e32 v38, 0x7e, v1
; %bb.9779:                             ;   in Loop: Header=BB6_8433 Depth=4
	s_or_b64 exec, exec, s[28:29]
                                        ; implicit-def: $vgpr2
.LBB6_9780:                             ;   in Loop: Header=BB6_8433 Depth=4
	s_andn2_saveexec_b64 s[28:29], s[34:35]
; %bb.9781:                             ;   in Loop: Header=BB6_8433 Depth=4
	v_or_b32_sdwa v38, v2, s86 dst_sel:DWORD dst_unused:UNUSED_PAD src0_sel:BYTE_3 src1_sel:DWORD
; %bb.9782:                             ;   in Loop: Header=BB6_8433 Depth=4
	s_or_b64 exec, exec, s[28:29]
	v_and_b32_e32 v14, 0xff, v37
	v_cmp_ne_u16_e32 vcc, 0, v14
	v_mov_b32_e32 v1, 0
	v_mov_b32_e32 v2, 0
	s_and_saveexec_b64 s[28:29], vcc
	s_cbranch_execz .LBB6_9788
; %bb.9783:                             ;   in Loop: Header=BB6_8433 Depth=4
	v_cmp_ne_u16_e32 vcc, s96, v14
	v_bfrev_b32_e32 v2, 1
	s_and_saveexec_b64 s[34:35], vcc
	s_cbranch_execz .LBB6_9787
; %bb.9784:                             ;   in Loop: Header=BB6_8433 Depth=4
	v_and_b32_e32 v3, 0x7f, v37
	v_cmp_ne_u32_e32 vcc, s86, v3
	v_mov_b32_e32 v2, 0x7f800001
	s_and_saveexec_b64 s[36:37], vcc
	s_cbranch_execz .LBB6_9786
; %bb.9785:                             ;   in Loop: Header=BB6_8433 Depth=4
	v_and_b32_e32 v4, 7, v14
	v_ffbh_u32_e32 v2, v4
	v_min_u32_e32 v6, 32, v2
	v_subrev_u32_e32 v2, 28, v6
	v_lshrrev_b32_e32 v5, 3, v3
	v_cmp_gt_u32_e32 vcc, 8, v3
	v_lshlrev_b64 v[2:3], v2, v[14:15]
	v_sub_u32_e32 v3, 29, v6
	v_and_b32_e32 v2, 7, v2
	v_cndmask_b32_e32 v3, v5, v3, vcc
	v_cndmask_b32_e32 v2, v4, v2, vcc
	v_lshlrev_b32_e32 v4, 24, v37
	v_bfrev_b32_e32 v5, 60
	v_lshlrev_b32_e32 v2, 20, v2
	v_and_b32_e32 v4, 0x80000000, v4
	v_lshl_add_u32 v3, v3, 23, v5
	v_or3_b32 v2, v4, v3, v2
.LBB6_9786:                             ;   in Loop: Header=BB6_8433 Depth=4
	s_or_b64 exec, exec, s[36:37]
.LBB6_9787:                             ;   in Loop: Header=BB6_8433 Depth=4
	s_or_b64 exec, exec, s[34:35]
.LBB6_9788:                             ;   in Loop: Header=BB6_8433 Depth=4
	s_or_b64 exec, exec, s[28:29]
	v_and_b32_e32 v14, 0xff, v16
	v_cmp_ne_u16_e32 vcc, 0, v14
	s_and_saveexec_b64 s[28:29], vcc
	s_cbranch_execz .LBB6_9794
; %bb.9789:                             ;   in Loop: Header=BB6_8433 Depth=4
	v_cmp_ne_u16_e32 vcc, s96, v14
	v_bfrev_b32_e32 v1, 1
	s_and_saveexec_b64 s[34:35], vcc
	s_cbranch_execz .LBB6_9793
; %bb.9790:                             ;   in Loop: Header=BB6_8433 Depth=4
	v_and_b32_e32 v3, 0x7f, v16
	v_cmp_ne_u32_e32 vcc, s86, v3
	v_mov_b32_e32 v1, 0x7f800001
	s_and_saveexec_b64 s[36:37], vcc
	s_cbranch_execz .LBB6_9792
; %bb.9791:                             ;   in Loop: Header=BB6_8433 Depth=4
	v_and_b32_e32 v1, 7, v14
	v_lshrrev_b32_e32 v5, 3, v3
	v_cmp_gt_u32_e32 vcc, 8, v3
	v_ffbh_u32_e32 v3, v1
	v_min_u32_e32 v6, 32, v3
	v_subrev_u32_e32 v3, 28, v6
	v_lshlrev_b64 v[3:4], v3, v[14:15]
	v_sub_u32_e32 v4, 29, v6
	v_and_b32_e32 v3, 7, v3
	v_cndmask_b32_e32 v4, v5, v4, vcc
	v_cndmask_b32_e32 v1, v1, v3, vcc
	v_lshlrev_b32_e32 v3, 24, v16
	v_bfrev_b32_e32 v5, 60
	v_lshlrev_b32_e32 v1, 20, v1
	v_and_b32_e32 v3, 0x80000000, v3
	v_lshl_add_u32 v4, v4, 23, v5
	v_or3_b32 v1, v3, v4, v1
.LBB6_9792:                             ;   in Loop: Header=BB6_8433 Depth=4
	s_or_b64 exec, exec, s[36:37]
.LBB6_9793:                             ;   in Loop: Header=BB6_8433 Depth=4
	s_or_b64 exec, exec, s[34:35]
.LBB6_9794:                             ;   in Loop: Header=BB6_8433 Depth=4
	s_or_b64 exec, exec, s[28:29]
	v_add_f32_e32 v2, v2, v1
	v_and_b32_e32 v50, 0x7f800000, v2
	v_cmp_ne_u64_e32 vcc, s[76:77], v[50:51]
                                        ; implicit-def: $vgpr16
	s_and_saveexec_b64 s[28:29], vcc
	s_xor_b64 s[34:35], exec, s[28:29]
	s_cbranch_execz .LBB6_9812
; %bb.9795:                             ;   in Loop: Header=BB6_8433 Depth=4
	v_and_b32_e32 v50, 0x7fffffff, v2
	v_cmp_gt_u64_e32 vcc, s[78:79], v[50:51]
	v_and_b32_sdwa v1, v2, s96 dst_sel:DWORD dst_unused:UNUSED_PAD src0_sel:BYTE_3 src1_sel:DWORD
                                        ; implicit-def: $vgpr16
	s_and_saveexec_b64 s[28:29], vcc
	s_xor_b64 s[36:37], exec, s[28:29]
	s_cbranch_execz .LBB6_9809
; %bb.9796:                             ;   in Loop: Header=BB6_8433 Depth=4
	v_cmp_ne_u32_e32 vcc, 0, v2
	v_mov_b32_e32 v16, 0
	s_and_saveexec_b64 s[38:39], vcc
	s_cbranch_execz .LBB6_9808
; %bb.9797:                             ;   in Loop: Header=BB6_8433 Depth=4
	v_and_b32_e32 v4, 0x7fffff, v2
	v_bfe_u32 v2, v2, 23, 8
	v_cmp_gt_u32_e64 s[28:29], s97, v2
	v_sub_u32_e32 v3, 0x79, v2
	v_cmp_eq_u32_e32 vcc, 0, v2
	v_cndmask_b32_e64 v3, 0, v3, s[28:29]
	v_mov_b32_e32 v6, 0x78
	v_or_b32_e32 v5, 0x800000, v4
	v_cndmask_b32_e32 v3, v3, v6, vcc
	v_cndmask_b32_e32 v50, v5, v4, vcc
	v_add_u32_e32 v4, 20, v3
	v_lshlrev_b64 v[4:5], v4, -1
	v_add_u32_e32 v6, 19, v3
	v_lshlrev_b64 v[14:15], v6, 1
	v_bfi_b32 v5, v5, 0, 0
	v_bfi_b32 v4, v4, 0, v50
	v_cmp_eq_u64_e64 s[28:29], v[4:5], v[14:15]
	v_lshrrev_b64 v[14:15], v3, v[50:51]
	v_mov_b32_e32 v4, v14
	v_mov_b32_e32 v5, v15
	s_and_saveexec_b64 s[48:49], s[28:29]
; %bb.9798:                             ;   in Loop: Header=BB6_8433 Depth=4
	v_bfe_u32 v4, v14, 20, 1
	v_add_co_u32_e64 v4, s[28:29], v14, v4
	v_add_co_u32_e64 v4, s[28:29], -1, v4
; %bb.9799:                             ;   in Loop: Header=BB6_8433 Depth=4
	s_or_b64 exec, exec, s[48:49]
	v_add_u32_e32 v2, 0xffffff81, v2
	v_mov_b32_e32 v5, 0xffffff82
	v_cndmask_b32_e32 v2, v2, v5, vcc
	v_lshrrev_b32_e32 v5, 23, v14
	v_add3_u32 v5, v3, v2, v5
	v_add_u32_e32 v3, 6, v5
	v_and_b32_e32 v2, 0xfffff, v4
	v_add_u32_e32 v50, v2, v14
	v_cmp_ne_u32_e32 vcc, 0, v3
                                        ; implicit-def: $vgpr14_vgpr15
                                        ; implicit-def: $vgpr2
	s_and_saveexec_b64 s[28:29], vcc
	s_xor_b64 s[28:29], exec, s[28:29]
; %bb.9800:                             ;   in Loop: Header=BB6_8433 Depth=4
	v_cmp_lt_u64_e32 vcc, s[88:89], v[50:51]
	v_add_u32_e32 v2, 7, v5
	v_cndmask_b32_e32 v2, v3, v2, vcc
	v_cndmask_b32_e64 v3, 0, 1, vcc
	v_lshrrev_b64 v[14:15], v3, v[50:51]
; %bb.9801:                             ;   in Loop: Header=BB6_8433 Depth=4
	s_andn2_saveexec_b64 s[28:29], s[28:29]
; %bb.9802:                             ;   in Loop: Header=BB6_8433 Depth=4
	v_mov_b32_e32 v14, v50
	v_mov_b32_e32 v15, v51
	v_bfe_u32 v2, v50, 23, 1
; %bb.9803:                             ;   in Loop: Header=BB6_8433 Depth=4
	s_or_b64 exec, exec, s[28:29]
	v_lshrrev_b64 v[3:4], 20, v[14:15]
	v_cmp_gt_i32_e32 vcc, 16, v2
	v_cndmask_b32_e32 v15, 0, v4, vcc
	v_cndmask_b32_e32 v14, 7, v3, vcc
	v_cmp_ne_u64_e32 vcc, 0, v[14:15]
	v_cmp_ne_u32_e64 s[28:29], 0, v2
	s_or_b64 s[28:29], s[28:29], vcc
                                        ; implicit-def: $vgpr16
	s_and_saveexec_b64 vcc, s[28:29]
	s_xor_b64 s[28:29], exec, vcc
; %bb.9804:                             ;   in Loop: Header=BB6_8433 Depth=4
	v_min_i32_e32 v2, 15, v2
	v_lshl_or_b32 v1, v2, 3, v1
	v_and_or_b32 v16, v14, 7, v1
                                        ; implicit-def: $vgpr1
; %bb.9805:                             ;   in Loop: Header=BB6_8433 Depth=4
	s_andn2_saveexec_b64 s[28:29], s[28:29]
; %bb.9806:                             ;   in Loop: Header=BB6_8433 Depth=4
	v_mov_b32_e32 v16, v1
; %bb.9807:                             ;   in Loop: Header=BB6_8433 Depth=4
	s_or_b64 exec, exec, s[28:29]
.LBB6_9808:                             ;   in Loop: Header=BB6_8433 Depth=4
	s_or_b64 exec, exec, s[38:39]
                                        ; implicit-def: $vgpr1
.LBB6_9809:                             ;   in Loop: Header=BB6_8433 Depth=4
	s_andn2_saveexec_b64 s[28:29], s[36:37]
; %bb.9810:                             ;   in Loop: Header=BB6_8433 Depth=4
	v_or_b32_e32 v16, 0x7e, v1
; %bb.9811:                             ;   in Loop: Header=BB6_8433 Depth=4
	s_or_b64 exec, exec, s[28:29]
                                        ; implicit-def: $vgpr2
.LBB6_9812:                             ;   in Loop: Header=BB6_8433 Depth=4
	s_andn2_saveexec_b64 s[28:29], s[34:35]
; %bb.9813:                             ;   in Loop: Header=BB6_8433 Depth=4
	v_or_b32_sdwa v16, v2, s86 dst_sel:DWORD dst_unused:UNUSED_PAD src0_sel:BYTE_3 src1_sel:DWORD
; %bb.9814:                             ;   in Loop: Header=BB6_8433 Depth=4
	s_or_b64 exec, exec, s[28:29]
	v_and_b32_e32 v14, 0xff, v36
	v_cmp_ne_u16_e32 vcc, 0, v14
	v_mov_b32_e32 v1, 0
	v_mov_b32_e32 v2, 0
	s_and_saveexec_b64 s[28:29], vcc
	s_cbranch_execz .LBB6_9820
; %bb.9815:                             ;   in Loop: Header=BB6_8433 Depth=4
	v_cmp_ne_u16_e32 vcc, s96, v14
	v_bfrev_b32_e32 v2, 1
	s_and_saveexec_b64 s[34:35], vcc
	s_cbranch_execz .LBB6_9819
; %bb.9816:                             ;   in Loop: Header=BB6_8433 Depth=4
	v_and_b32_e32 v3, 0x7f, v36
	v_cmp_ne_u32_e32 vcc, s86, v3
	v_mov_b32_e32 v2, 0x7f800001
	s_and_saveexec_b64 s[36:37], vcc
	s_cbranch_execz .LBB6_9818
; %bb.9817:                             ;   in Loop: Header=BB6_8433 Depth=4
	v_and_b32_e32 v4, 7, v14
	v_ffbh_u32_e32 v2, v4
	v_min_u32_e32 v6, 32, v2
	v_subrev_u32_e32 v2, 28, v6
	v_lshrrev_b32_e32 v5, 3, v3
	v_cmp_gt_u32_e32 vcc, 8, v3
	v_lshlrev_b64 v[2:3], v2, v[14:15]
	v_sub_u32_e32 v3, 29, v6
	v_and_b32_e32 v2, 7, v2
	v_cndmask_b32_e32 v3, v5, v3, vcc
	v_cndmask_b32_e32 v2, v4, v2, vcc
	v_lshlrev_b32_e32 v4, 24, v36
	v_bfrev_b32_e32 v5, 60
	v_lshlrev_b32_e32 v2, 20, v2
	v_and_b32_e32 v4, 0x80000000, v4
	v_lshl_add_u32 v3, v3, 23, v5
	v_or3_b32 v2, v4, v3, v2
.LBB6_9818:                             ;   in Loop: Header=BB6_8433 Depth=4
	s_or_b64 exec, exec, s[36:37]
.LBB6_9819:                             ;   in Loop: Header=BB6_8433 Depth=4
	s_or_b64 exec, exec, s[34:35]
.LBB6_9820:                             ;   in Loop: Header=BB6_8433 Depth=4
	s_or_b64 exec, exec, s[28:29]
	v_and_b32_e32 v14, 0xff, v0
	v_cmp_ne_u16_e32 vcc, 0, v14
	s_and_saveexec_b64 s[28:29], vcc
	s_cbranch_execz .LBB6_9826
; %bb.9821:                             ;   in Loop: Header=BB6_8433 Depth=4
	v_cmp_ne_u16_e32 vcc, s96, v14
	v_bfrev_b32_e32 v1, 1
	s_and_saveexec_b64 s[34:35], vcc
	s_cbranch_execz .LBB6_9825
; %bb.9822:                             ;   in Loop: Header=BB6_8433 Depth=4
	v_and_b32_e32 v3, 0x7f, v0
	v_cmp_ne_u32_e32 vcc, s86, v3
	v_mov_b32_e32 v1, 0x7f800001
	s_and_saveexec_b64 s[36:37], vcc
	s_cbranch_execz .LBB6_9824
; %bb.9823:                             ;   in Loop: Header=BB6_8433 Depth=4
	v_and_b32_e32 v1, 7, v14
	v_lshrrev_b32_e32 v5, 3, v3
	v_cmp_gt_u32_e32 vcc, 8, v3
	v_ffbh_u32_e32 v3, v1
	v_min_u32_e32 v6, 32, v3
	v_subrev_u32_e32 v3, 28, v6
	v_lshlrev_b64 v[3:4], v3, v[14:15]
	v_sub_u32_e32 v4, 29, v6
	v_and_b32_e32 v3, 7, v3
	v_cndmask_b32_e32 v4, v5, v4, vcc
	v_cndmask_b32_e32 v1, v1, v3, vcc
	v_lshlrev_b32_e32 v0, 24, v0
	v_bfrev_b32_e32 v3, 60
	v_lshlrev_b32_e32 v1, 20, v1
	v_and_b32_e32 v0, 0x80000000, v0
	v_lshl_add_u32 v3, v4, 23, v3
	v_or3_b32 v1, v0, v3, v1
.LBB6_9824:                             ;   in Loop: Header=BB6_8433 Depth=4
	s_or_b64 exec, exec, s[36:37]
.LBB6_9825:                             ;   in Loop: Header=BB6_8433 Depth=4
	s_or_b64 exec, exec, s[34:35]
.LBB6_9826:                             ;   in Loop: Header=BB6_8433 Depth=4
	s_or_b64 exec, exec, s[28:29]
	v_add_f32_e32 v2, v2, v1
	v_and_b32_e32 v50, 0x7f800000, v2
	v_cmp_ne_u64_e32 vcc, s[76:77], v[50:51]
                                        ; implicit-def: $vgpr0
	s_and_saveexec_b64 s[28:29], vcc
	s_xor_b64 s[34:35], exec, s[28:29]
	s_cbranch_execz .LBB6_9844
; %bb.9827:                             ;   in Loop: Header=BB6_8433 Depth=4
	v_and_b32_e32 v50, 0x7fffffff, v2
	v_cmp_gt_u64_e32 vcc, s[78:79], v[50:51]
	v_and_b32_sdwa v1, v2, s96 dst_sel:DWORD dst_unused:UNUSED_PAD src0_sel:BYTE_3 src1_sel:DWORD
                                        ; implicit-def: $vgpr0
	s_and_saveexec_b64 s[28:29], vcc
	s_xor_b64 s[36:37], exec, s[28:29]
	s_cbranch_execz .LBB6_9841
; %bb.9828:                             ;   in Loop: Header=BB6_8433 Depth=4
	v_cmp_ne_u32_e32 vcc, 0, v2
	v_mov_b32_e32 v0, 0
	s_and_saveexec_b64 s[38:39], vcc
	s_cbranch_execz .LBB6_9840
; %bb.9829:                             ;   in Loop: Header=BB6_8433 Depth=4
	v_bfe_u32 v0, v2, 23, 8
	v_and_b32_e32 v3, 0x7fffff, v2
	v_cmp_gt_u32_e64 s[28:29], s97, v0
	v_sub_u32_e32 v2, 0x79, v0
	v_cmp_eq_u32_e32 vcc, 0, v0
	v_cndmask_b32_e64 v2, 0, v2, s[28:29]
	v_mov_b32_e32 v5, 0x78
	v_or_b32_e32 v4, 0x800000, v3
	v_cndmask_b32_e32 v2, v2, v5, vcc
	v_cndmask_b32_e32 v50, v4, v3, vcc
	v_add_u32_e32 v3, 20, v2
	v_lshlrev_b64 v[3:4], v3, -1
	v_add_u32_e32 v5, 19, v2
	v_lshlrev_b64 v[5:6], v5, 1
	v_bfi_b32 v4, v4, 0, 0
	v_bfi_b32 v3, v3, 0, v50
	v_lshrrev_b64 v[14:15], v2, v[50:51]
	v_cmp_eq_u64_e64 s[28:29], v[3:4], v[5:6]
	v_mov_b32_e32 v4, v14
	v_mov_b32_e32 v5, v15
	s_and_saveexec_b64 s[48:49], s[28:29]
; %bb.9830:                             ;   in Loop: Header=BB6_8433 Depth=4
	v_bfe_u32 v3, v14, 20, 1
	v_add_co_u32_e64 v3, s[28:29], v14, v3
	v_add_co_u32_e64 v4, s[28:29], -1, v3
; %bb.9831:                             ;   in Loop: Header=BB6_8433 Depth=4
	s_or_b64 exec, exec, s[48:49]
	v_add_u32_e32 v0, 0xffffff81, v0
	v_mov_b32_e32 v3, 0xffffff82
	v_cndmask_b32_e32 v0, v0, v3, vcc
	v_lshrrev_b32_e32 v3, 23, v14
	v_add3_u32 v3, v2, v0, v3
	v_add_u32_e32 v0, 6, v3
	v_and_b32_e32 v2, 0xfffff, v4
	v_add_u32_e32 v50, v2, v14
	v_cmp_ne_u32_e32 vcc, 0, v0
                                        ; implicit-def: $vgpr14_vgpr15
                                        ; implicit-def: $vgpr2
	s_and_saveexec_b64 s[28:29], vcc
	s_xor_b64 s[28:29], exec, s[28:29]
; %bb.9832:                             ;   in Loop: Header=BB6_8433 Depth=4
	v_cmp_lt_u64_e32 vcc, s[88:89], v[50:51]
	v_add_u32_e32 v2, 7, v3
	v_cndmask_b32_e32 v2, v0, v2, vcc
	v_cndmask_b32_e64 v0, 0, 1, vcc
	v_lshrrev_b64 v[14:15], v0, v[50:51]
; %bb.9833:                             ;   in Loop: Header=BB6_8433 Depth=4
	s_andn2_saveexec_b64 s[28:29], s[28:29]
; %bb.9834:                             ;   in Loop: Header=BB6_8433 Depth=4
	v_mov_b32_e32 v14, v50
	v_mov_b32_e32 v15, v51
	v_bfe_u32 v2, v50, 23, 1
; %bb.9835:                             ;   in Loop: Header=BB6_8433 Depth=4
	s_or_b64 exec, exec, s[28:29]
	v_lshrrev_b64 v[3:4], 20, v[14:15]
	v_cmp_gt_i32_e32 vcc, 16, v2
	v_cndmask_b32_e32 v15, 0, v4, vcc
	v_cndmask_b32_e32 v14, 7, v3, vcc
	v_cmp_ne_u64_e32 vcc, 0, v[14:15]
	v_cmp_ne_u32_e64 s[28:29], 0, v2
	s_or_b64 s[28:29], s[28:29], vcc
                                        ; implicit-def: $vgpr0
	s_and_saveexec_b64 vcc, s[28:29]
	s_xor_b64 s[28:29], exec, vcc
; %bb.9836:                             ;   in Loop: Header=BB6_8433 Depth=4
	v_min_i32_e32 v0, 15, v2
	v_lshl_or_b32 v0, v0, 3, v1
	v_and_or_b32 v0, v14, 7, v0
                                        ; implicit-def: $vgpr1
; %bb.9837:                             ;   in Loop: Header=BB6_8433 Depth=4
	s_andn2_saveexec_b64 s[28:29], s[28:29]
; %bb.9838:                             ;   in Loop: Header=BB6_8433 Depth=4
	v_mov_b32_e32 v0, v1
; %bb.9839:                             ;   in Loop: Header=BB6_8433 Depth=4
	s_or_b64 exec, exec, s[28:29]
.LBB6_9840:                             ;   in Loop: Header=BB6_8433 Depth=4
	s_or_b64 exec, exec, s[38:39]
                                        ; implicit-def: $vgpr1
.LBB6_9841:                             ;   in Loop: Header=BB6_8433 Depth=4
	s_andn2_saveexec_b64 s[28:29], s[36:37]
; %bb.9842:                             ;   in Loop: Header=BB6_8433 Depth=4
	v_or_b32_e32 v0, 0x7e, v1
; %bb.9843:                             ;   in Loop: Header=BB6_8433 Depth=4
	s_or_b64 exec, exec, s[28:29]
                                        ; implicit-def: $vgpr2
.LBB6_9844:                             ;   in Loop: Header=BB6_8433 Depth=4
	s_andn2_saveexec_b64 s[28:29], s[34:35]
; %bb.9845:                             ;   in Loop: Header=BB6_8433 Depth=4
	v_or_b32_sdwa v0, v2, s86 dst_sel:DWORD dst_unused:UNUSED_PAD src0_sel:BYTE_3 src1_sel:DWORD
; %bb.9846:                             ;   in Loop: Header=BB6_8433 Depth=4
	s_or_b64 exec, exec, s[28:29]
	v_and_b32_e32 v14, 0xff, v35
	v_cmp_ne_u16_e32 vcc, 0, v14
	v_mov_b32_e32 v1, 0
	v_mov_b32_e32 v2, 0
	s_and_saveexec_b64 s[28:29], vcc
	s_cbranch_execz .LBB6_9852
; %bb.9847:                             ;   in Loop: Header=BB6_8433 Depth=4
	v_cmp_ne_u16_e32 vcc, s96, v14
	v_bfrev_b32_e32 v2, 1
	s_and_saveexec_b64 s[34:35], vcc
	s_cbranch_execz .LBB6_9851
; %bb.9848:                             ;   in Loop: Header=BB6_8433 Depth=4
	v_and_b32_e32 v3, 0x7f, v35
	v_cmp_ne_u32_e32 vcc, s86, v3
	v_mov_b32_e32 v2, 0x7f800001
	s_and_saveexec_b64 s[36:37], vcc
	s_cbranch_execz .LBB6_9850
; %bb.9849:                             ;   in Loop: Header=BB6_8433 Depth=4
	v_and_b32_e32 v4, 7, v14
	v_ffbh_u32_e32 v2, v4
	v_min_u32_e32 v6, 32, v2
	v_subrev_u32_e32 v2, 28, v6
	v_lshrrev_b32_e32 v5, 3, v3
	v_cmp_gt_u32_e32 vcc, 8, v3
	v_lshlrev_b64 v[2:3], v2, v[14:15]
	v_sub_u32_e32 v3, 29, v6
	v_and_b32_e32 v2, 7, v2
	v_cndmask_b32_e32 v3, v5, v3, vcc
	v_cndmask_b32_e32 v2, v4, v2, vcc
	v_lshlrev_b32_e32 v4, 24, v35
	v_bfrev_b32_e32 v5, 60
	v_lshlrev_b32_e32 v2, 20, v2
	v_and_b32_e32 v4, 0x80000000, v4
	v_lshl_add_u32 v3, v3, 23, v5
	v_or3_b32 v2, v4, v3, v2
.LBB6_9850:                             ;   in Loop: Header=BB6_8433 Depth=4
	s_or_b64 exec, exec, s[36:37]
.LBB6_9851:                             ;   in Loop: Header=BB6_8433 Depth=4
	s_or_b64 exec, exec, s[34:35]
.LBB6_9852:                             ;   in Loop: Header=BB6_8433 Depth=4
	s_or_b64 exec, exec, s[28:29]
	v_and_b32_e32 v14, 0xff, v18
	v_cmp_ne_u16_e32 vcc, 0, v14
	s_and_saveexec_b64 s[28:29], vcc
	s_cbranch_execz .LBB6_9858
; %bb.9853:                             ;   in Loop: Header=BB6_8433 Depth=4
	v_cmp_ne_u16_e32 vcc, s96, v14
	v_bfrev_b32_e32 v1, 1
	s_and_saveexec_b64 s[34:35], vcc
	s_cbranch_execz .LBB6_9857
; %bb.9854:                             ;   in Loop: Header=BB6_8433 Depth=4
	v_and_b32_e32 v3, 0x7f, v18
	v_cmp_ne_u32_e32 vcc, s86, v3
	v_mov_b32_e32 v1, 0x7f800001
	s_and_saveexec_b64 s[36:37], vcc
	s_cbranch_execz .LBB6_9856
; %bb.9855:                             ;   in Loop: Header=BB6_8433 Depth=4
	v_and_b32_e32 v1, 7, v14
	v_lshrrev_b32_e32 v5, 3, v3
	v_cmp_gt_u32_e32 vcc, 8, v3
	v_ffbh_u32_e32 v3, v1
	v_min_u32_e32 v6, 32, v3
	v_subrev_u32_e32 v3, 28, v6
	v_lshlrev_b64 v[3:4], v3, v[14:15]
	v_sub_u32_e32 v4, 29, v6
	v_and_b32_e32 v3, 7, v3
	v_cndmask_b32_e32 v4, v5, v4, vcc
	v_cndmask_b32_e32 v1, v1, v3, vcc
	v_lshlrev_b32_e32 v3, 24, v18
	v_bfrev_b32_e32 v5, 60
	v_lshlrev_b32_e32 v1, 20, v1
	v_and_b32_e32 v3, 0x80000000, v3
	v_lshl_add_u32 v4, v4, 23, v5
	v_or3_b32 v1, v3, v4, v1
.LBB6_9856:                             ;   in Loop: Header=BB6_8433 Depth=4
	s_or_b64 exec, exec, s[36:37]
.LBB6_9857:                             ;   in Loop: Header=BB6_8433 Depth=4
	s_or_b64 exec, exec, s[34:35]
.LBB6_9858:                             ;   in Loop: Header=BB6_8433 Depth=4
	s_or_b64 exec, exec, s[28:29]
	v_add_f32_e32 v3, v2, v1
	v_and_b32_e32 v50, 0x7f800000, v3
	v_cmp_ne_u64_e32 vcc, s[76:77], v[50:51]
                                        ; implicit-def: $vgpr2
	s_and_saveexec_b64 s[28:29], vcc
	s_xor_b64 s[34:35], exec, s[28:29]
	s_cbranch_execz .LBB6_9876
; %bb.9859:                             ;   in Loop: Header=BB6_8433 Depth=4
	v_and_b32_e32 v50, 0x7fffffff, v3
	v_cmp_gt_u64_e32 vcc, s[78:79], v[50:51]
	v_and_b32_sdwa v1, v3, s96 dst_sel:DWORD dst_unused:UNUSED_PAD src0_sel:BYTE_3 src1_sel:DWORD
                                        ; implicit-def: $vgpr2
	s_and_saveexec_b64 s[28:29], vcc
	s_xor_b64 s[36:37], exec, s[28:29]
	s_cbranch_execz .LBB6_9873
; %bb.9860:                             ;   in Loop: Header=BB6_8433 Depth=4
	v_cmp_ne_u32_e32 vcc, 0, v3
	v_mov_b32_e32 v2, 0
	s_and_saveexec_b64 s[38:39], vcc
	s_cbranch_execz .LBB6_9872
; %bb.9861:                             ;   in Loop: Header=BB6_8433 Depth=4
	v_bfe_u32 v2, v3, 23, 8
	v_and_b32_e32 v4, 0x7fffff, v3
	v_cmp_gt_u32_e64 s[28:29], s97, v2
	v_sub_u32_e32 v3, 0x79, v2
	v_cmp_eq_u32_e32 vcc, 0, v2
	v_cndmask_b32_e64 v3, 0, v3, s[28:29]
	v_mov_b32_e32 v6, 0x78
	v_or_b32_e32 v5, 0x800000, v4
	v_cndmask_b32_e32 v3, v3, v6, vcc
	v_cndmask_b32_e32 v50, v5, v4, vcc
	v_add_u32_e32 v4, 20, v3
	v_lshlrev_b64 v[4:5], v4, -1
	v_add_u32_e32 v6, 19, v3
	v_lshlrev_b64 v[14:15], v6, 1
	v_bfi_b32 v5, v5, 0, 0
	v_bfi_b32 v4, v4, 0, v50
	v_cmp_eq_u64_e64 s[28:29], v[4:5], v[14:15]
	v_lshrrev_b64 v[14:15], v3, v[50:51]
	v_mov_b32_e32 v4, v14
	v_mov_b32_e32 v5, v15
	s_and_saveexec_b64 s[48:49], s[28:29]
; %bb.9862:                             ;   in Loop: Header=BB6_8433 Depth=4
	v_bfe_u32 v4, v14, 20, 1
	v_add_co_u32_e64 v4, s[28:29], v14, v4
	v_add_co_u32_e64 v4, s[28:29], -1, v4
; %bb.9863:                             ;   in Loop: Header=BB6_8433 Depth=4
	s_or_b64 exec, exec, s[48:49]
	v_add_u32_e32 v2, 0xffffff81, v2
	v_mov_b32_e32 v5, 0xffffff82
	v_cndmask_b32_e32 v2, v2, v5, vcc
	v_lshrrev_b32_e32 v5, 23, v14
	v_add3_u32 v5, v3, v2, v5
	v_add_u32_e32 v2, 6, v5
	v_and_b32_e32 v3, 0xfffff, v4
	v_add_u32_e32 v50, v3, v14
	v_cmp_ne_u32_e32 vcc, 0, v2
                                        ; implicit-def: $vgpr14_vgpr15
                                        ; implicit-def: $vgpr3
	s_and_saveexec_b64 s[28:29], vcc
	s_xor_b64 s[28:29], exec, s[28:29]
; %bb.9864:                             ;   in Loop: Header=BB6_8433 Depth=4
	v_cmp_lt_u64_e32 vcc, s[88:89], v[50:51]
	v_add_u32_e32 v3, 7, v5
	v_cndmask_b32_e32 v3, v2, v3, vcc
	v_cndmask_b32_e64 v2, 0, 1, vcc
	v_lshrrev_b64 v[14:15], v2, v[50:51]
; %bb.9865:                             ;   in Loop: Header=BB6_8433 Depth=4
	s_andn2_saveexec_b64 s[28:29], s[28:29]
; %bb.9866:                             ;   in Loop: Header=BB6_8433 Depth=4
	v_mov_b32_e32 v14, v50
	v_mov_b32_e32 v15, v51
	v_bfe_u32 v3, v50, 23, 1
; %bb.9867:                             ;   in Loop: Header=BB6_8433 Depth=4
	s_or_b64 exec, exec, s[28:29]
	v_lshrrev_b64 v[4:5], 20, v[14:15]
	v_cmp_gt_i32_e32 vcc, 16, v3
	v_cndmask_b32_e32 v15, 0, v5, vcc
	v_cndmask_b32_e32 v14, 7, v4, vcc
	v_cmp_ne_u64_e32 vcc, 0, v[14:15]
	v_cmp_ne_u32_e64 s[28:29], 0, v3
	s_or_b64 s[28:29], s[28:29], vcc
                                        ; implicit-def: $vgpr2
	s_and_saveexec_b64 vcc, s[28:29]
	s_xor_b64 s[28:29], exec, vcc
; %bb.9868:                             ;   in Loop: Header=BB6_8433 Depth=4
	v_min_i32_e32 v2, 15, v3
	v_lshl_or_b32 v1, v2, 3, v1
	v_and_or_b32 v2, v14, 7, v1
                                        ; implicit-def: $vgpr1
; %bb.9869:                             ;   in Loop: Header=BB6_8433 Depth=4
	s_andn2_saveexec_b64 s[28:29], s[28:29]
; %bb.9870:                             ;   in Loop: Header=BB6_8433 Depth=4
	v_mov_b32_e32 v2, v1
; %bb.9871:                             ;   in Loop: Header=BB6_8433 Depth=4
	s_or_b64 exec, exec, s[28:29]
.LBB6_9872:                             ;   in Loop: Header=BB6_8433 Depth=4
	s_or_b64 exec, exec, s[38:39]
                                        ; implicit-def: $vgpr1
.LBB6_9873:                             ;   in Loop: Header=BB6_8433 Depth=4
	s_andn2_saveexec_b64 s[28:29], s[36:37]
; %bb.9874:                             ;   in Loop: Header=BB6_8433 Depth=4
	v_or_b32_e32 v2, 0x7e, v1
; %bb.9875:                             ;   in Loop: Header=BB6_8433 Depth=4
	s_or_b64 exec, exec, s[28:29]
                                        ; implicit-def: $vgpr3
.LBB6_9876:                             ;   in Loop: Header=BB6_8433 Depth=4
	s_andn2_saveexec_b64 s[28:29], s[34:35]
; %bb.9877:                             ;   in Loop: Header=BB6_8433 Depth=4
	v_or_b32_sdwa v2, v3, s86 dst_sel:DWORD dst_unused:UNUSED_PAD src0_sel:BYTE_3 src1_sel:DWORD
; %bb.9878:                             ;   in Loop: Header=BB6_8433 Depth=4
	s_or_b64 exec, exec, s[28:29]
	v_and_b32_e32 v14, 0xff, v32
	v_cmp_ne_u16_e32 vcc, 0, v14
	v_mov_b32_e32 v1, 0
	v_mov_b32_e32 v3, 0
	s_and_saveexec_b64 s[28:29], vcc
	s_cbranch_execz .LBB6_9884
; %bb.9879:                             ;   in Loop: Header=BB6_8433 Depth=4
	v_cmp_ne_u16_e32 vcc, s96, v14
	v_bfrev_b32_e32 v3, 1
	s_and_saveexec_b64 s[34:35], vcc
	s_cbranch_execz .LBB6_9883
; %bb.9880:                             ;   in Loop: Header=BB6_8433 Depth=4
	v_and_b32_e32 v4, 0x7f, v32
	v_cmp_ne_u32_e32 vcc, s86, v4
	v_mov_b32_e32 v3, 0x7f800001
	s_and_saveexec_b64 s[36:37], vcc
	s_cbranch_execz .LBB6_9882
; %bb.9881:                             ;   in Loop: Header=BB6_8433 Depth=4
	v_and_b32_e32 v5, 7, v14
	v_ffbh_u32_e32 v3, v5
	v_min_u32_e32 v15, 32, v3
	v_subrev_u32_e32 v3, 28, v15
	v_lshrrev_b32_e32 v6, 3, v4
	v_cmp_gt_u32_e32 vcc, 8, v4
	v_lshlrev_b64 v[3:4], v3, v[14:15]
	v_sub_u32_e32 v4, 29, v15
	v_and_b32_e32 v3, 7, v3
	v_cndmask_b32_e32 v4, v6, v4, vcc
	v_cndmask_b32_e32 v3, v5, v3, vcc
	v_lshlrev_b32_e32 v5, 24, v32
	v_bfrev_b32_e32 v6, 60
	v_lshlrev_b32_e32 v3, 20, v3
	v_and_b32_e32 v5, 0x80000000, v5
	v_lshl_add_u32 v4, v4, 23, v6
	v_or3_b32 v3, v5, v4, v3
.LBB6_9882:                             ;   in Loop: Header=BB6_8433 Depth=4
	s_or_b64 exec, exec, s[36:37]
.LBB6_9883:                             ;   in Loop: Header=BB6_8433 Depth=4
	s_or_b64 exec, exec, s[34:35]
.LBB6_9884:                             ;   in Loop: Header=BB6_8433 Depth=4
	s_or_b64 exec, exec, s[28:29]
	v_and_b32_e32 v14, 0xff, v7
	v_cmp_ne_u16_e32 vcc, 0, v14
	s_and_saveexec_b64 s[28:29], vcc
	s_cbranch_execz .LBB6_9890
; %bb.9885:                             ;   in Loop: Header=BB6_8433 Depth=4
	v_cmp_ne_u16_e32 vcc, s96, v14
	v_bfrev_b32_e32 v1, 1
	s_and_saveexec_b64 s[34:35], vcc
	s_cbranch_execz .LBB6_9889
; %bb.9886:                             ;   in Loop: Header=BB6_8433 Depth=4
	v_and_b32_e32 v4, 0x7f, v7
	v_cmp_ne_u32_e32 vcc, s86, v4
	v_mov_b32_e32 v1, 0x7f800001
	s_and_saveexec_b64 s[36:37], vcc
	s_cbranch_execz .LBB6_9888
; %bb.9887:                             ;   in Loop: Header=BB6_8433 Depth=4
	v_and_b32_e32 v1, 7, v14
	v_lshrrev_b32_e32 v6, 3, v4
	v_cmp_gt_u32_e32 vcc, 8, v4
	v_ffbh_u32_e32 v4, v1
	v_min_u32_e32 v15, 32, v4
	v_subrev_u32_e32 v4, 28, v15
	v_lshlrev_b64 v[4:5], v4, v[14:15]
	v_sub_u32_e32 v5, 29, v15
	v_and_b32_e32 v4, 7, v4
	v_cndmask_b32_e32 v5, v6, v5, vcc
	v_cndmask_b32_e32 v1, v1, v4, vcc
	v_lshlrev_b32_e32 v4, 24, v7
	v_bfrev_b32_e32 v6, 60
	v_lshlrev_b32_e32 v1, 20, v1
	v_and_b32_e32 v4, 0x80000000, v4
	v_lshl_add_u32 v5, v5, 23, v6
	v_or3_b32 v1, v4, v5, v1
.LBB6_9888:                             ;   in Loop: Header=BB6_8433 Depth=4
	s_or_b64 exec, exec, s[36:37]
.LBB6_9889:                             ;   in Loop: Header=BB6_8433 Depth=4
	s_or_b64 exec, exec, s[34:35]
.LBB6_9890:                             ;   in Loop: Header=BB6_8433 Depth=4
	s_or_b64 exec, exec, s[28:29]
	v_add_f32_e32 v3, v3, v1
	v_and_b32_e32 v50, 0x7f800000, v3
	v_cmp_ne_u64_e32 vcc, s[76:77], v[50:51]
                                        ; implicit-def: $vgpr6
	s_and_saveexec_b64 s[28:29], vcc
	s_xor_b64 s[34:35], exec, s[28:29]
	s_cbranch_execz .LBB6_9908
; %bb.9891:                             ;   in Loop: Header=BB6_8433 Depth=4
	v_and_b32_e32 v50, 0x7fffffff, v3
	v_cmp_gt_u64_e32 vcc, s[78:79], v[50:51]
	v_and_b32_sdwa v1, v3, s96 dst_sel:DWORD dst_unused:UNUSED_PAD src0_sel:BYTE_3 src1_sel:DWORD
                                        ; implicit-def: $vgpr6
	s_and_saveexec_b64 s[28:29], vcc
	s_xor_b64 s[36:37], exec, s[28:29]
	s_cbranch_execz .LBB6_9905
; %bb.9892:                             ;   in Loop: Header=BB6_8433 Depth=4
	v_cmp_ne_u32_e32 vcc, 0, v3
	v_mov_b32_e32 v6, 0
	s_and_saveexec_b64 s[38:39], vcc
	s_cbranch_execz .LBB6_9904
; %bb.9893:                             ;   in Loop: Header=BB6_8433 Depth=4
	v_and_b32_e32 v4, 0x7fffff, v3
	v_bfe_u32 v3, v3, 23, 8
	v_cmp_gt_u32_e64 s[28:29], s97, v3
	v_sub_u32_e32 v5, 0x79, v3
	v_cmp_eq_u32_e32 vcc, 0, v3
	v_cndmask_b32_e64 v5, 0, v5, s[28:29]
	v_mov_b32_e32 v6, 0x78
	v_or_b32_e32 v7, 0x800000, v4
	v_cndmask_b32_e32 v6, v5, v6, vcc
	v_cndmask_b32_e32 v50, v7, v4, vcc
	v_add_u32_e32 v4, 20, v6
	v_lshlrev_b64 v[4:5], v4, -1
	v_add_u32_e32 v7, 19, v6
	v_lshlrev_b64 v[14:15], v7, 1
	v_bfi_b32 v5, v5, 0, 0
	v_bfi_b32 v4, v4, 0, v50
	v_cmp_eq_u64_e64 s[28:29], v[4:5], v[14:15]
	v_lshrrev_b64 v[14:15], v6, v[50:51]
	v_mov_b32_e32 v4, v14
	v_mov_b32_e32 v5, v15
	s_and_saveexec_b64 s[48:49], s[28:29]
; %bb.9894:                             ;   in Loop: Header=BB6_8433 Depth=4
	v_bfe_u32 v4, v14, 20, 1
	v_add_co_u32_e64 v4, s[28:29], v14, v4
	v_add_co_u32_e64 v4, s[28:29], -1, v4
; %bb.9895:                             ;   in Loop: Header=BB6_8433 Depth=4
	s_or_b64 exec, exec, s[48:49]
	v_add_u32_e32 v3, 0xffffff81, v3
	v_mov_b32_e32 v5, 0xffffff82
	v_cndmask_b32_e32 v3, v3, v5, vcc
	v_lshrrev_b32_e32 v5, 23, v14
	v_add3_u32 v6, v6, v3, v5
	v_add_u32_e32 v5, 6, v6
	v_and_b32_e32 v3, 0xfffff, v4
	v_add_u32_e32 v50, v3, v14
	v_cmp_ne_u32_e32 vcc, 0, v5
                                        ; implicit-def: $vgpr14_vgpr15
                                        ; implicit-def: $vgpr3
	s_and_saveexec_b64 s[28:29], vcc
	s_xor_b64 s[28:29], exec, s[28:29]
; %bb.9896:                             ;   in Loop: Header=BB6_8433 Depth=4
	v_cmp_lt_u64_e32 vcc, s[88:89], v[50:51]
	v_add_u32_e32 v3, 7, v6
	v_cndmask_b32_e64 v4, 0, 1, vcc
	v_lshrrev_b64 v[14:15], v4, v[50:51]
	v_cndmask_b32_e32 v3, v5, v3, vcc
; %bb.9897:                             ;   in Loop: Header=BB6_8433 Depth=4
	s_andn2_saveexec_b64 s[28:29], s[28:29]
; %bb.9898:                             ;   in Loop: Header=BB6_8433 Depth=4
	v_mov_b32_e32 v14, v50
	v_mov_b32_e32 v15, v51
	v_bfe_u32 v3, v50, 23, 1
; %bb.9899:                             ;   in Loop: Header=BB6_8433 Depth=4
	s_or_b64 exec, exec, s[28:29]
	v_lshrrev_b64 v[4:5], 20, v[14:15]
	v_cmp_gt_i32_e32 vcc, 16, v3
	v_cndmask_b32_e32 v15, 0, v5, vcc
	v_cndmask_b32_e32 v14, 7, v4, vcc
	v_cmp_ne_u64_e32 vcc, 0, v[14:15]
	v_cmp_ne_u32_e64 s[28:29], 0, v3
	s_or_b64 s[28:29], s[28:29], vcc
                                        ; implicit-def: $vgpr6
	s_and_saveexec_b64 vcc, s[28:29]
	s_xor_b64 s[28:29], exec, vcc
; %bb.9900:                             ;   in Loop: Header=BB6_8433 Depth=4
	v_min_i32_e32 v3, 15, v3
	v_lshl_or_b32 v1, v3, 3, v1
	v_and_or_b32 v6, v14, 7, v1
                                        ; implicit-def: $vgpr1
; %bb.9901:                             ;   in Loop: Header=BB6_8433 Depth=4
	s_andn2_saveexec_b64 s[28:29], s[28:29]
; %bb.9902:                             ;   in Loop: Header=BB6_8433 Depth=4
	v_mov_b32_e32 v6, v1
; %bb.9903:                             ;   in Loop: Header=BB6_8433 Depth=4
	s_or_b64 exec, exec, s[28:29]
.LBB6_9904:                             ;   in Loop: Header=BB6_8433 Depth=4
	s_or_b64 exec, exec, s[38:39]
                                        ; implicit-def: $vgpr1
.LBB6_9905:                             ;   in Loop: Header=BB6_8433 Depth=4
	s_andn2_saveexec_b64 s[28:29], s[36:37]
; %bb.9906:                             ;   in Loop: Header=BB6_8433 Depth=4
	v_or_b32_e32 v6, 0x7e, v1
; %bb.9907:                             ;   in Loop: Header=BB6_8433 Depth=4
	s_or_b64 exec, exec, s[28:29]
                                        ; implicit-def: $vgpr3
.LBB6_9908:                             ;   in Loop: Header=BB6_8433 Depth=4
	s_andn2_saveexec_b64 s[28:29], s[34:35]
; %bb.9909:                             ;   in Loop: Header=BB6_8433 Depth=4
	v_or_b32_sdwa v6, v3, s86 dst_sel:DWORD dst_unused:UNUSED_PAD src0_sel:BYTE_3 src1_sel:DWORD
; %bb.9910:                             ;   in Loop: Header=BB6_8433 Depth=4
	s_or_b64 exec, exec, s[28:29]
	buffer_load_dword v1, off, s[0:3], s33 offset:140 ; 4-byte Folded Reload
	v_mov_b32_e32 v3, 0
	s_waitcnt vmcnt(0)
	v_and_b32_e32 v14, 0xff, v1
	v_cmp_ne_u16_e32 vcc, 0, v14
	v_mov_b32_e32 v1, 0
	s_and_saveexec_b64 s[28:29], vcc
	s_cbranch_execz .LBB6_9916
; %bb.9911:                             ;   in Loop: Header=BB6_8433 Depth=4
	v_cmp_ne_u16_e32 vcc, s96, v14
	v_bfrev_b32_e32 v3, 1
	s_and_saveexec_b64 s[34:35], vcc
	s_cbranch_execz .LBB6_9915
; %bb.9912:                             ;   in Loop: Header=BB6_8433 Depth=4
	buffer_load_dword v18, off, s[0:3], s33 offset:140 ; 4-byte Folded Reload
	v_mov_b32_e32 v3, 0x7f800001
	s_waitcnt vmcnt(0)
	v_and_b32_e32 v4, 0x7f, v18
	v_cmp_ne_u32_e32 vcc, s86, v4
	s_and_saveexec_b64 s[36:37], vcc
	s_cbranch_execz .LBB6_9914
; %bb.9913:                             ;   in Loop: Header=BB6_8433 Depth=4
	v_and_b32_e32 v5, 7, v14
	v_ffbh_u32_e32 v3, v5
	v_min_u32_e32 v15, 32, v3
	v_subrev_u32_e32 v3, 28, v15
	v_lshrrev_b32_e32 v7, 3, v4
	v_cmp_gt_u32_e32 vcc, 8, v4
	v_lshlrev_b64 v[3:4], v3, v[14:15]
	v_sub_u32_e32 v4, 29, v15
	v_and_b32_e32 v3, 7, v3
	v_cndmask_b32_e32 v4, v7, v4, vcc
	v_cndmask_b32_e32 v3, v5, v3, vcc
	v_lshlrev_b32_e32 v5, 24, v18
	v_bfrev_b32_e32 v7, 60
	v_lshlrev_b32_e32 v3, 20, v3
	v_and_b32_e32 v5, 0x80000000, v5
	v_lshl_add_u32 v4, v4, 23, v7
	v_or3_b32 v3, v5, v4, v3
.LBB6_9914:                             ;   in Loop: Header=BB6_8433 Depth=4
	s_or_b64 exec, exec, s[36:37]
.LBB6_9915:                             ;   in Loop: Header=BB6_8433 Depth=4
	s_or_b64 exec, exec, s[34:35]
.LBB6_9916:                             ;   in Loop: Header=BB6_8433 Depth=4
	s_or_b64 exec, exec, s[28:29]
	v_and_b32_e32 v14, 0xff, v61
	v_cmp_ne_u16_e32 vcc, 0, v14
	s_and_saveexec_b64 s[28:29], vcc
	s_cbranch_execz .LBB6_9922
; %bb.9917:                             ;   in Loop: Header=BB6_8433 Depth=4
	v_cmp_ne_u16_e32 vcc, s96, v14
	v_bfrev_b32_e32 v1, 1
	s_and_saveexec_b64 s[34:35], vcc
	s_cbranch_execz .LBB6_9921
; %bb.9918:                             ;   in Loop: Header=BB6_8433 Depth=4
	v_and_b32_e32 v4, 0x7f, v61
	v_cmp_ne_u32_e32 vcc, s86, v4
	v_mov_b32_e32 v1, 0x7f800001
	s_and_saveexec_b64 s[36:37], vcc
	s_cbranch_execz .LBB6_9920
; %bb.9919:                             ;   in Loop: Header=BB6_8433 Depth=4
	v_and_b32_e32 v1, 7, v14
	v_lshrrev_b32_e32 v7, 3, v4
	v_cmp_gt_u32_e32 vcc, 8, v4
	v_ffbh_u32_e32 v4, v1
	v_min_u32_e32 v15, 32, v4
	v_subrev_u32_e32 v4, 28, v15
	v_lshlrev_b64 v[4:5], v4, v[14:15]
	v_sub_u32_e32 v5, 29, v15
	v_and_b32_e32 v4, 7, v4
	v_cndmask_b32_e32 v5, v7, v5, vcc
	v_cndmask_b32_e32 v1, v1, v4, vcc
	v_lshlrev_b32_e32 v4, 24, v61
	v_bfrev_b32_e32 v7, 60
	v_lshlrev_b32_e32 v1, 20, v1
	v_and_b32_e32 v4, 0x80000000, v4
	v_lshl_add_u32 v5, v5, 23, v7
	v_or3_b32 v1, v4, v5, v1
.LBB6_9920:                             ;   in Loop: Header=BB6_8433 Depth=4
	s_or_b64 exec, exec, s[36:37]
.LBB6_9921:                             ;   in Loop: Header=BB6_8433 Depth=4
	s_or_b64 exec, exec, s[34:35]
.LBB6_9922:                             ;   in Loop: Header=BB6_8433 Depth=4
	s_or_b64 exec, exec, s[28:29]
	v_add_f32_e32 v4, v3, v1
	v_and_b32_e32 v50, 0x7f800000, v4
	v_cmp_ne_u64_e32 vcc, s[76:77], v[50:51]
                                        ; implicit-def: $vgpr1
	s_and_saveexec_b64 s[28:29], vcc
	s_xor_b64 s[34:35], exec, s[28:29]
	s_cbranch_execz .LBB6_9940
; %bb.9923:                             ;   in Loop: Header=BB6_8433 Depth=4
	v_and_b32_e32 v50, 0x7fffffff, v4
	v_cmp_gt_u64_e32 vcc, s[78:79], v[50:51]
	v_and_b32_sdwa v3, v4, s96 dst_sel:DWORD dst_unused:UNUSED_PAD src0_sel:BYTE_3 src1_sel:DWORD
                                        ; implicit-def: $vgpr1
	s_and_saveexec_b64 s[28:29], vcc
	s_xor_b64 s[36:37], exec, s[28:29]
	s_cbranch_execz .LBB6_9937
; %bb.9924:                             ;   in Loop: Header=BB6_8433 Depth=4
	v_cmp_ne_u32_e32 vcc, 0, v4
	v_mov_b32_e32 v1, 0
	s_and_saveexec_b64 s[38:39], vcc
	s_cbranch_execz .LBB6_9936
; %bb.9925:                             ;   in Loop: Header=BB6_8433 Depth=4
	v_bfe_u32 v1, v4, 23, 8
	v_and_b32_e32 v5, 0x7fffff, v4
	v_cmp_gt_u32_e64 s[28:29], s97, v1
	v_sub_u32_e32 v4, 0x79, v1
	v_cmp_eq_u32_e32 vcc, 0, v1
	v_cndmask_b32_e64 v4, 0, v4, s[28:29]
	v_mov_b32_e32 v7, 0x78
	v_cndmask_b32_e32 v7, v4, v7, vcc
	v_or_b32_e32 v14, 0x800000, v5
	v_add_u32_e32 v4, 20, v7
	v_cndmask_b32_e32 v50, v14, v5, vcc
	v_lshlrev_b64 v[4:5], v4, -1
	v_add_u32_e32 v14, 19, v7
	v_lshlrev_b64 v[14:15], v14, 1
	v_bfi_b32 v5, v5, 0, 0
	v_bfi_b32 v4, v4, 0, v50
	v_cmp_eq_u64_e64 s[28:29], v[4:5], v[14:15]
	v_lshrrev_b64 v[14:15], v7, v[50:51]
	v_mov_b32_e32 v4, v14
	v_mov_b32_e32 v5, v15
	s_and_saveexec_b64 s[48:49], s[28:29]
; %bb.9926:                             ;   in Loop: Header=BB6_8433 Depth=4
	v_bfe_u32 v4, v14, 20, 1
	v_add_co_u32_e64 v4, s[28:29], v14, v4
	v_add_co_u32_e64 v4, s[28:29], -1, v4
; %bb.9927:                             ;   in Loop: Header=BB6_8433 Depth=4
	s_or_b64 exec, exec, s[48:49]
	v_add_u32_e32 v1, 0xffffff81, v1
	v_mov_b32_e32 v5, 0xffffff82
	v_cndmask_b32_e32 v1, v1, v5, vcc
	v_lshrrev_b32_e32 v5, 23, v14
	v_add3_u32 v5, v7, v1, v5
	v_add_u32_e32 v1, 6, v5
	v_and_b32_e32 v4, 0xfffff, v4
	v_add_u32_e32 v50, v4, v14
	v_cmp_ne_u32_e32 vcc, 0, v1
                                        ; implicit-def: $vgpr14_vgpr15
                                        ; implicit-def: $vgpr4
	s_and_saveexec_b64 s[28:29], vcc
	s_xor_b64 s[28:29], exec, s[28:29]
; %bb.9928:                             ;   in Loop: Header=BB6_8433 Depth=4
	v_cmp_lt_u64_e32 vcc, s[88:89], v[50:51]
	v_add_u32_e32 v4, 7, v5
	v_cndmask_b32_e32 v4, v1, v4, vcc
	v_cndmask_b32_e64 v1, 0, 1, vcc
	v_lshrrev_b64 v[14:15], v1, v[50:51]
; %bb.9929:                             ;   in Loop: Header=BB6_8433 Depth=4
	s_andn2_saveexec_b64 s[28:29], s[28:29]
; %bb.9930:                             ;   in Loop: Header=BB6_8433 Depth=4
	v_mov_b32_e32 v14, v50
	v_mov_b32_e32 v15, v51
	v_bfe_u32 v4, v50, 23, 1
; %bb.9931:                             ;   in Loop: Header=BB6_8433 Depth=4
	s_or_b64 exec, exec, s[28:29]
	v_lshrrev_b64 v[14:15], 20, v[14:15]
	v_cmp_gt_i32_e32 vcc, 16, v4
	v_cndmask_b32_e32 v15, 0, v15, vcc
	v_cndmask_b32_e32 v14, 7, v14, vcc
	v_cmp_ne_u64_e32 vcc, 0, v[14:15]
	v_cmp_ne_u32_e64 s[28:29], 0, v4
	s_or_b64 s[28:29], s[28:29], vcc
                                        ; implicit-def: $vgpr1
	s_and_saveexec_b64 vcc, s[28:29]
	s_xor_b64 s[28:29], exec, vcc
; %bb.9932:                             ;   in Loop: Header=BB6_8433 Depth=4
	v_min_i32_e32 v1, 15, v4
	v_lshl_or_b32 v1, v1, 3, v3
	v_and_or_b32 v1, v14, 7, v1
                                        ; implicit-def: $vgpr3
; %bb.9933:                             ;   in Loop: Header=BB6_8433 Depth=4
	s_andn2_saveexec_b64 s[28:29], s[28:29]
; %bb.9934:                             ;   in Loop: Header=BB6_8433 Depth=4
	v_mov_b32_e32 v1, v3
; %bb.9935:                             ;   in Loop: Header=BB6_8433 Depth=4
	s_or_b64 exec, exec, s[28:29]
.LBB6_9936:                             ;   in Loop: Header=BB6_8433 Depth=4
	s_or_b64 exec, exec, s[38:39]
                                        ; implicit-def: $vgpr3
.LBB6_9937:                             ;   in Loop: Header=BB6_8433 Depth=4
	s_andn2_saveexec_b64 s[28:29], s[36:37]
; %bb.9938:                             ;   in Loop: Header=BB6_8433 Depth=4
	v_or_b32_e32 v1, 0x7e, v3
; %bb.9939:                             ;   in Loop: Header=BB6_8433 Depth=4
	s_or_b64 exec, exec, s[28:29]
                                        ; implicit-def: $vgpr4
.LBB6_9940:                             ;   in Loop: Header=BB6_8433 Depth=4
	s_andn2_saveexec_b64 s[28:29], s[34:35]
; %bb.9941:                             ;   in Loop: Header=BB6_8433 Depth=4
	v_or_b32_sdwa v1, v4, s86 dst_sel:DWORD dst_unused:UNUSED_PAD src0_sel:BYTE_3 src1_sel:DWORD
; %bb.9942:                             ;   in Loop: Header=BB6_8433 Depth=4
	s_or_b64 exec, exec, s[28:29]
	buffer_load_dword v3, off, s[0:3], s33 offset:136 ; 4-byte Folded Reload
	v_mov_b32_e32 v4, 0
	s_waitcnt vmcnt(0)
	v_and_b32_e32 v14, 0xff, v3
	v_cmp_ne_u16_e32 vcc, 0, v14
	v_mov_b32_e32 v3, 0
	s_and_saveexec_b64 s[28:29], vcc
	s_cbranch_execz .LBB6_9948
; %bb.9943:                             ;   in Loop: Header=BB6_8433 Depth=4
	v_cmp_ne_u16_e32 vcc, s96, v14
	v_bfrev_b32_e32 v4, 1
	s_and_saveexec_b64 s[34:35], vcc
	s_cbranch_execz .LBB6_9947
; %bb.9944:                             ;   in Loop: Header=BB6_8433 Depth=4
	buffer_load_dword v19, off, s[0:3], s33 offset:136 ; 4-byte Folded Reload
	v_mov_b32_e32 v4, 0x7f800001
	s_waitcnt vmcnt(0)
	v_and_b32_e32 v5, 0x7f, v19
	v_cmp_ne_u32_e32 vcc, s86, v5
	s_and_saveexec_b64 s[36:37], vcc
	s_cbranch_execz .LBB6_9946
; %bb.9945:                             ;   in Loop: Header=BB6_8433 Depth=4
	v_and_b32_e32 v7, 7, v14
	v_ffbh_u32_e32 v4, v7
	v_min_u32_e32 v18, 32, v4
	v_lshrrev_b32_e32 v15, 3, v5
	v_subrev_u32_e32 v4, 28, v18
	v_cmp_gt_u32_e32 vcc, 8, v5
	v_lshlrev_b64 v[4:5], v4, v[14:15]
	v_sub_u32_e32 v5, 29, v18
	v_and_b32_e32 v4, 7, v4
	v_cndmask_b32_e32 v5, v15, v5, vcc
	v_cndmask_b32_e32 v4, v7, v4, vcc
	v_lshlrev_b32_e32 v7, 24, v19
	v_bfrev_b32_e32 v14, 60
	v_lshlrev_b32_e32 v4, 20, v4
	v_and_b32_e32 v7, 0x80000000, v7
	v_lshl_add_u32 v5, v5, 23, v14
	v_or3_b32 v4, v7, v5, v4
.LBB6_9946:                             ;   in Loop: Header=BB6_8433 Depth=4
	s_or_b64 exec, exec, s[36:37]
.LBB6_9947:                             ;   in Loop: Header=BB6_8433 Depth=4
	s_or_b64 exec, exec, s[34:35]
.LBB6_9948:                             ;   in Loop: Header=BB6_8433 Depth=4
	s_or_b64 exec, exec, s[28:29]
	v_and_b32_e32 v14, 0xff, v60
	v_cmp_ne_u16_e32 vcc, 0, v14
	s_and_saveexec_b64 s[28:29], vcc
	s_cbranch_execz .LBB6_9954
; %bb.9949:                             ;   in Loop: Header=BB6_8433 Depth=4
	v_cmp_ne_u16_e32 vcc, s96, v14
	v_bfrev_b32_e32 v3, 1
	s_and_saveexec_b64 s[34:35], vcc
	s_cbranch_execz .LBB6_9953
; %bb.9950:                             ;   in Loop: Header=BB6_8433 Depth=4
	v_and_b32_e32 v5, 0x7f, v60
	v_cmp_ne_u32_e32 vcc, s86, v5
	v_mov_b32_e32 v3, 0x7f800001
	s_and_saveexec_b64 s[36:37], vcc
	s_cbranch_execz .LBB6_9952
; %bb.9951:                             ;   in Loop: Header=BB6_8433 Depth=4
	v_and_b32_e32 v3, 7, v14
	v_lshrrev_b32_e32 v7, 3, v5
	v_cmp_gt_u32_e32 vcc, 8, v5
	v_ffbh_u32_e32 v5, v3
	v_min_u32_e32 v5, 32, v5
	v_subrev_u32_e32 v15, 28, v5
	v_lshlrev_b64 v[14:15], v15, v[14:15]
	v_sub_u32_e32 v5, 29, v5
	v_and_b32_e32 v14, 7, v14
	v_cndmask_b32_e32 v5, v7, v5, vcc
	v_cndmask_b32_e32 v3, v3, v14, vcc
	v_lshlrev_b32_e32 v7, 24, v60
	v_bfrev_b32_e32 v14, 60
	v_lshlrev_b32_e32 v3, 20, v3
	v_and_b32_e32 v7, 0x80000000, v7
	v_lshl_add_u32 v5, v5, 23, v14
	v_or3_b32 v3, v7, v5, v3
.LBB6_9952:                             ;   in Loop: Header=BB6_8433 Depth=4
	s_or_b64 exec, exec, s[36:37]
.LBB6_9953:                             ;   in Loop: Header=BB6_8433 Depth=4
	s_or_b64 exec, exec, s[34:35]
.LBB6_9954:                             ;   in Loop: Header=BB6_8433 Depth=4
	s_or_b64 exec, exec, s[28:29]
	v_add_f32_e32 v4, v4, v3
	v_and_b32_e32 v50, 0x7f800000, v4
	v_cmp_ne_u64_e32 vcc, s[76:77], v[50:51]
                                        ; implicit-def: $vgpr3
	s_and_saveexec_b64 s[28:29], vcc
	s_xor_b64 s[34:35], exec, s[28:29]
	s_cbranch_execz .LBB6_9972
; %bb.9955:                             ;   in Loop: Header=BB6_8433 Depth=4
	v_and_b32_e32 v50, 0x7fffffff, v4
	v_cmp_gt_u64_e32 vcc, s[78:79], v[50:51]
	v_and_b32_sdwa v7, v4, s96 dst_sel:DWORD dst_unused:UNUSED_PAD src0_sel:BYTE_3 src1_sel:DWORD
                                        ; implicit-def: $vgpr3
	s_and_saveexec_b64 s[28:29], vcc
	s_xor_b64 s[36:37], exec, s[28:29]
	s_cbranch_execz .LBB6_9969
; %bb.9956:                             ;   in Loop: Header=BB6_8433 Depth=4
	v_cmp_ne_u32_e32 vcc, 0, v4
	v_mov_b32_e32 v3, 0
	s_and_saveexec_b64 s[38:39], vcc
	s_cbranch_execz .LBB6_9968
; %bb.9957:                             ;   in Loop: Header=BB6_8433 Depth=4
	v_bfe_u32 v3, v4, 23, 8
	v_and_b32_e32 v5, 0x7fffff, v4
	v_cmp_gt_u32_e64 s[28:29], s97, v3
	v_sub_u32_e32 v4, 0x79, v3
	v_cmp_eq_u32_e32 vcc, 0, v3
	v_cndmask_b32_e64 v4, 0, v4, s[28:29]
	v_mov_b32_e32 v15, 0x78
	v_cndmask_b32_e32 v18, v4, v15, vcc
	v_or_b32_e32 v14, 0x800000, v5
	v_add_u32_e32 v4, 20, v18
	v_cndmask_b32_e32 v50, v14, v5, vcc
	v_lshlrev_b64 v[4:5], v4, -1
	v_add_u32_e32 v14, 19, v18
	v_lshlrev_b64 v[14:15], v14, 1
	v_bfi_b32 v5, v5, 0, 0
	v_bfi_b32 v4, v4, 0, v50
	v_cmp_eq_u64_e64 s[28:29], v[4:5], v[14:15]
	v_lshrrev_b64 v[14:15], v18, v[50:51]
	v_mov_b32_e32 v4, v14
	v_mov_b32_e32 v5, v15
	s_and_saveexec_b64 s[48:49], s[28:29]
; %bb.9958:                             ;   in Loop: Header=BB6_8433 Depth=4
	v_bfe_u32 v4, v14, 20, 1
	v_add_co_u32_e64 v4, s[28:29], v14, v4
	v_add_co_u32_e64 v4, s[28:29], -1, v4
; %bb.9959:                             ;   in Loop: Header=BB6_8433 Depth=4
	s_or_b64 exec, exec, s[48:49]
	v_add_u32_e32 v3, 0xffffff81, v3
	v_mov_b32_e32 v5, 0xffffff82
	v_cndmask_b32_e32 v3, v3, v5, vcc
	v_lshrrev_b32_e32 v5, 23, v14
	v_add3_u32 v5, v18, v3, v5
	v_add_u32_e32 v3, 6, v5
	v_and_b32_e32 v4, 0xfffff, v4
	v_add_u32_e32 v50, v4, v14
	v_cmp_ne_u32_e32 vcc, 0, v3
                                        ; implicit-def: $vgpr14_vgpr15
                                        ; implicit-def: $vgpr4
	s_and_saveexec_b64 s[28:29], vcc
	s_xor_b64 s[28:29], exec, s[28:29]
; %bb.9960:                             ;   in Loop: Header=BB6_8433 Depth=4
	v_cmp_lt_u64_e32 vcc, s[88:89], v[50:51]
	v_add_u32_e32 v4, 7, v5
	v_cndmask_b32_e32 v4, v3, v4, vcc
	v_cndmask_b32_e64 v3, 0, 1, vcc
	v_lshrrev_b64 v[14:15], v3, v[50:51]
; %bb.9961:                             ;   in Loop: Header=BB6_8433 Depth=4
	s_andn2_saveexec_b64 s[28:29], s[28:29]
; %bb.9962:                             ;   in Loop: Header=BB6_8433 Depth=4
	v_mov_b32_e32 v14, v50
	v_mov_b32_e32 v15, v51
	v_bfe_u32 v4, v50, 23, 1
; %bb.9963:                             ;   in Loop: Header=BB6_8433 Depth=4
	s_or_b64 exec, exec, s[28:29]
	v_lshrrev_b64 v[14:15], 20, v[14:15]
	v_cmp_gt_i32_e32 vcc, 16, v4
	v_cndmask_b32_e32 v15, 0, v15, vcc
	v_cndmask_b32_e32 v14, 7, v14, vcc
	v_cmp_ne_u64_e32 vcc, 0, v[14:15]
	v_cmp_ne_u32_e64 s[28:29], 0, v4
	s_or_b64 s[28:29], s[28:29], vcc
                                        ; implicit-def: $vgpr3
	s_and_saveexec_b64 vcc, s[28:29]
	s_xor_b64 s[28:29], exec, vcc
; %bb.9964:                             ;   in Loop: Header=BB6_8433 Depth=4
	v_min_i32_e32 v3, 15, v4
	v_lshl_or_b32 v3, v3, 3, v7
	v_and_or_b32 v3, v14, 7, v3
                                        ; implicit-def: $vgpr7
; %bb.9965:                             ;   in Loop: Header=BB6_8433 Depth=4
	s_andn2_saveexec_b64 s[28:29], s[28:29]
; %bb.9966:                             ;   in Loop: Header=BB6_8433 Depth=4
	v_mov_b32_e32 v3, v7
; %bb.9967:                             ;   in Loop: Header=BB6_8433 Depth=4
	s_or_b64 exec, exec, s[28:29]
.LBB6_9968:                             ;   in Loop: Header=BB6_8433 Depth=4
	s_or_b64 exec, exec, s[38:39]
                                        ; implicit-def: $vgpr7
.LBB6_9969:                             ;   in Loop: Header=BB6_8433 Depth=4
	s_andn2_saveexec_b64 s[28:29], s[36:37]
; %bb.9970:                             ;   in Loop: Header=BB6_8433 Depth=4
	v_or_b32_e32 v3, 0x7e, v7
; %bb.9971:                             ;   in Loop: Header=BB6_8433 Depth=4
	s_or_b64 exec, exec, s[28:29]
                                        ; implicit-def: $vgpr4
.LBB6_9972:                             ;   in Loop: Header=BB6_8433 Depth=4
	s_andn2_saveexec_b64 s[28:29], s[34:35]
; %bb.9973:                             ;   in Loop: Header=BB6_8433 Depth=4
	v_or_b32_sdwa v3, v4, s86 dst_sel:DWORD dst_unused:UNUSED_PAD src0_sel:BYTE_3 src1_sel:DWORD
; %bb.9974:                             ;   in Loop: Header=BB6_8433 Depth=4
	s_or_b64 exec, exec, s[28:29]
	buffer_load_dword v4, off, s[0:3], s33 offset:132 ; 4-byte Folded Reload
	v_mov_b32_e32 v5, 0
	s_waitcnt vmcnt(0)
	v_and_b32_e32 v14, 0xff, v4
	v_cmp_ne_u16_e32 vcc, 0, v14
	v_mov_b32_e32 v4, 0
	s_and_saveexec_b64 s[28:29], vcc
	s_cbranch_execz .LBB6_9980
; %bb.9975:                             ;   in Loop: Header=BB6_8433 Depth=4
	v_cmp_ne_u16_e32 vcc, s96, v14
	v_bfrev_b32_e32 v5, 1
	s_and_saveexec_b64 s[34:35], vcc
	s_cbranch_execz .LBB6_9979
; %bb.9976:                             ;   in Loop: Header=BB6_8433 Depth=4
	buffer_load_dword v19, off, s[0:3], s33 offset:132 ; 4-byte Folded Reload
	v_mov_b32_e32 v5, 0x7f800001
	s_waitcnt vmcnt(0)
	v_and_b32_e32 v7, 0x7f, v19
	v_cmp_ne_u32_e32 vcc, s86, v7
	s_and_saveexec_b64 s[36:37], vcc
	s_cbranch_execz .LBB6_9978
; %bb.9977:                             ;   in Loop: Header=BB6_8433 Depth=4
	v_and_b32_e32 v5, 7, v14
	v_lshrrev_b32_e32 v18, 3, v7
	v_cmp_gt_u32_e32 vcc, 8, v7
	v_ffbh_u32_e32 v7, v5
	v_min_u32_e32 v7, 32, v7
	v_subrev_u32_e32 v15, 28, v7
	v_lshlrev_b64 v[14:15], v15, v[14:15]
	v_sub_u32_e32 v7, 29, v7
	v_and_b32_e32 v14, 7, v14
	v_cndmask_b32_e32 v7, v18, v7, vcc
	v_cndmask_b32_e32 v5, v5, v14, vcc
	v_lshlrev_b32_e32 v14, 24, v19
	v_bfrev_b32_e32 v15, 60
	v_lshlrev_b32_e32 v5, 20, v5
	v_and_b32_e32 v14, 0x80000000, v14
	v_lshl_add_u32 v7, v7, 23, v15
	v_or3_b32 v5, v14, v7, v5
.LBB6_9978:                             ;   in Loop: Header=BB6_8433 Depth=4
	s_or_b64 exec, exec, s[36:37]
.LBB6_9979:                             ;   in Loop: Header=BB6_8433 Depth=4
	s_or_b64 exec, exec, s[34:35]
.LBB6_9980:                             ;   in Loop: Header=BB6_8433 Depth=4
	s_or_b64 exec, exec, s[28:29]
	v_and_b32_e32 v14, 0xff, v59
	v_cmp_ne_u16_e32 vcc, 0, v14
	s_and_saveexec_b64 s[28:29], vcc
	s_cbranch_execz .LBB6_9986
; %bb.9981:                             ;   in Loop: Header=BB6_8433 Depth=4
	v_cmp_ne_u16_e32 vcc, s96, v14
	v_bfrev_b32_e32 v4, 1
	s_and_saveexec_b64 s[34:35], vcc
	s_cbranch_execz .LBB6_9985
; %bb.9982:                             ;   in Loop: Header=BB6_8433 Depth=4
	v_and_b32_e32 v7, 0x7f, v59
	v_cmp_ne_u32_e32 vcc, s86, v7
	v_mov_b32_e32 v4, 0x7f800001
	s_and_saveexec_b64 s[36:37], vcc
	s_cbranch_execz .LBB6_9984
; %bb.9983:                             ;   in Loop: Header=BB6_8433 Depth=4
	v_and_b32_e32 v4, 7, v14
	v_lshrrev_b32_e32 v18, 3, v7
	v_cmp_gt_u32_e32 vcc, 8, v7
	v_ffbh_u32_e32 v7, v4
	v_min_u32_e32 v7, 32, v7
	v_subrev_u32_e32 v15, 28, v7
	v_lshlrev_b64 v[14:15], v15, v[14:15]
	v_sub_u32_e32 v7, 29, v7
	v_and_b32_e32 v14, 7, v14
	v_cndmask_b32_e32 v7, v18, v7, vcc
	v_cndmask_b32_e32 v4, v4, v14, vcc
	v_lshlrev_b32_e32 v14, 24, v59
	v_bfrev_b32_e32 v15, 60
	v_lshlrev_b32_e32 v4, 20, v4
	v_and_b32_e32 v14, 0x80000000, v14
	v_lshl_add_u32 v7, v7, 23, v15
	v_or3_b32 v4, v14, v7, v4
.LBB6_9984:                             ;   in Loop: Header=BB6_8433 Depth=4
	s_or_b64 exec, exec, s[36:37]
.LBB6_9985:                             ;   in Loop: Header=BB6_8433 Depth=4
	s_or_b64 exec, exec, s[34:35]
.LBB6_9986:                             ;   in Loop: Header=BB6_8433 Depth=4
	s_or_b64 exec, exec, s[28:29]
	v_add_f32_e32 v4, v5, v4
	v_and_b32_e32 v50, 0x7f800000, v4
	v_cmp_ne_u64_e32 vcc, s[76:77], v[50:51]
                                        ; implicit-def: $vgpr7
	s_and_saveexec_b64 s[28:29], vcc
	s_xor_b64 s[34:35], exec, s[28:29]
	s_cbranch_execz .LBB6_10004
; %bb.9987:                             ;   in Loop: Header=BB6_8433 Depth=4
	v_and_b32_e32 v50, 0x7fffffff, v4
	v_cmp_gt_u64_e32 vcc, s[78:79], v[50:51]
	v_and_b32_sdwa v18, v4, s96 dst_sel:DWORD dst_unused:UNUSED_PAD src0_sel:BYTE_3 src1_sel:DWORD
                                        ; implicit-def: $vgpr7
	s_and_saveexec_b64 s[28:29], vcc
	s_xor_b64 s[36:37], exec, s[28:29]
	s_cbranch_execz .LBB6_10001
; %bb.9988:                             ;   in Loop: Header=BB6_8433 Depth=4
	v_cmp_ne_u32_e32 vcc, 0, v4
	v_mov_b32_e32 v7, 0
	s_and_saveexec_b64 s[38:39], vcc
	s_cbranch_execz .LBB6_10000
; %bb.9989:                             ;   in Loop: Header=BB6_8433 Depth=4
	v_bfe_u32 v7, v4, 23, 8
	v_and_b32_e32 v5, 0x7fffff, v4
	v_cmp_gt_u32_e64 s[28:29], s97, v7
	v_sub_u32_e32 v4, 0x79, v7
	v_cmp_eq_u32_e32 vcc, 0, v7
	v_cndmask_b32_e64 v4, 0, v4, s[28:29]
	v_mov_b32_e32 v15, 0x78
	v_cndmask_b32_e32 v19, v4, v15, vcc
	v_or_b32_e32 v14, 0x800000, v5
	v_add_u32_e32 v4, 20, v19
	v_cndmask_b32_e32 v50, v14, v5, vcc
	v_lshlrev_b64 v[4:5], v4, -1
	v_add_u32_e32 v14, 19, v19
	v_lshlrev_b64 v[14:15], v14, 1
	v_bfi_b32 v5, v5, 0, 0
	v_bfi_b32 v4, v4, 0, v50
	v_cmp_eq_u64_e64 s[28:29], v[4:5], v[14:15]
	v_lshrrev_b64 v[14:15], v19, v[50:51]
	v_mov_b32_e32 v4, v14
	v_mov_b32_e32 v5, v15
	s_and_saveexec_b64 s[48:49], s[28:29]
; %bb.9990:                             ;   in Loop: Header=BB6_8433 Depth=4
	v_bfe_u32 v4, v14, 20, 1
	v_add_co_u32_e64 v4, s[28:29], v14, v4
	v_add_co_u32_e64 v4, s[28:29], -1, v4
; %bb.9991:                             ;   in Loop: Header=BB6_8433 Depth=4
	s_or_b64 exec, exec, s[48:49]
	v_add_u32_e32 v5, 0xffffff81, v7
	v_mov_b32_e32 v7, 0xffffff82
	v_cndmask_b32_e32 v5, v5, v7, vcc
	v_lshrrev_b32_e32 v7, 23, v14
	v_add3_u32 v7, v19, v5, v7
	v_add_u32_e32 v5, 6, v7
	v_and_b32_e32 v4, 0xfffff, v4
	v_add_u32_e32 v50, v4, v14
	v_cmp_ne_u32_e32 vcc, 0, v5
                                        ; implicit-def: $vgpr14_vgpr15
                                        ; implicit-def: $vgpr4
	s_and_saveexec_b64 s[28:29], vcc
	s_xor_b64 s[28:29], exec, s[28:29]
; %bb.9992:                             ;   in Loop: Header=BB6_8433 Depth=4
	v_cmp_lt_u64_e32 vcc, s[88:89], v[50:51]
	v_add_u32_e32 v4, 7, v7
	v_cndmask_b32_e32 v4, v5, v4, vcc
	v_cndmask_b32_e64 v5, 0, 1, vcc
	v_lshrrev_b64 v[14:15], v5, v[50:51]
; %bb.9993:                             ;   in Loop: Header=BB6_8433 Depth=4
	s_andn2_saveexec_b64 s[28:29], s[28:29]
; %bb.9994:                             ;   in Loop: Header=BB6_8433 Depth=4
	v_mov_b32_e32 v14, v50
	v_mov_b32_e32 v15, v51
	v_bfe_u32 v4, v50, 23, 1
; %bb.9995:                             ;   in Loop: Header=BB6_8433 Depth=4
	s_or_b64 exec, exec, s[28:29]
	v_lshrrev_b64 v[14:15], 20, v[14:15]
	v_cmp_gt_i32_e32 vcc, 16, v4
	v_cndmask_b32_e32 v15, 0, v15, vcc
	v_cndmask_b32_e32 v14, 7, v14, vcc
	v_cmp_ne_u64_e32 vcc, 0, v[14:15]
	v_cmp_ne_u32_e64 s[28:29], 0, v4
	s_or_b64 s[28:29], s[28:29], vcc
                                        ; implicit-def: $vgpr7
	s_and_saveexec_b64 vcc, s[28:29]
	s_xor_b64 s[28:29], exec, vcc
; %bb.9996:                             ;   in Loop: Header=BB6_8433 Depth=4
	v_min_i32_e32 v4, 15, v4
	v_lshl_or_b32 v4, v4, 3, v18
	v_and_or_b32 v7, v14, 7, v4
                                        ; implicit-def: $vgpr18
; %bb.9997:                             ;   in Loop: Header=BB6_8433 Depth=4
	s_andn2_saveexec_b64 s[28:29], s[28:29]
; %bb.9998:                             ;   in Loop: Header=BB6_8433 Depth=4
	v_mov_b32_e32 v7, v18
; %bb.9999:                             ;   in Loop: Header=BB6_8433 Depth=4
	s_or_b64 exec, exec, s[28:29]
.LBB6_10000:                            ;   in Loop: Header=BB6_8433 Depth=4
	s_or_b64 exec, exec, s[38:39]
                                        ; implicit-def: $vgpr18
.LBB6_10001:                            ;   in Loop: Header=BB6_8433 Depth=4
	s_andn2_saveexec_b64 s[28:29], s[36:37]
; %bb.10002:                            ;   in Loop: Header=BB6_8433 Depth=4
	v_or_b32_e32 v7, 0x7e, v18
; %bb.10003:                            ;   in Loop: Header=BB6_8433 Depth=4
	s_or_b64 exec, exec, s[28:29]
                                        ; implicit-def: $vgpr4
.LBB6_10004:                            ;   in Loop: Header=BB6_8433 Depth=4
	s_andn2_saveexec_b64 s[28:29], s[34:35]
; %bb.10005:                            ;   in Loop: Header=BB6_8433 Depth=4
	v_or_b32_sdwa v7, v4, s86 dst_sel:DWORD dst_unused:UNUSED_PAD src0_sel:BYTE_3 src1_sel:DWORD
; %bb.10006:                            ;   in Loop: Header=BB6_8433 Depth=4
	s_or_b64 exec, exec, s[28:29]
	buffer_load_dword v4, off, s[0:3], s33 offset:128 ; 4-byte Folded Reload
	v_mov_b32_e32 v5, 0
	s_waitcnt vmcnt(0)
	v_and_b32_e32 v14, 0xff, v4
	v_cmp_ne_u16_e32 vcc, 0, v14
	v_mov_b32_e32 v4, 0
	s_and_saveexec_b64 s[28:29], vcc
	s_cbranch_execz .LBB6_10012
; %bb.10007:                            ;   in Loop: Header=BB6_8433 Depth=4
	v_cmp_ne_u16_e32 vcc, s96, v14
	v_bfrev_b32_e32 v5, 1
	s_and_saveexec_b64 s[34:35], vcc
	s_cbranch_execz .LBB6_10011
; %bb.10008:                            ;   in Loop: Header=BB6_8433 Depth=4
	buffer_load_dword v20, off, s[0:3], s33 offset:128 ; 4-byte Folded Reload
	v_mov_b32_e32 v5, 0x7f800001
	s_waitcnt vmcnt(0)
	v_and_b32_e32 v15, 0x7f, v20
	v_cmp_ne_u32_e32 vcc, s86, v15
	s_and_saveexec_b64 s[36:37], vcc
	s_cbranch_execz .LBB6_10010
; %bb.10009:                            ;   in Loop: Header=BB6_8433 Depth=4
	v_and_b32_e32 v5, 7, v14
	v_lshrrev_b32_e32 v18, 3, v15
	v_cmp_gt_u32_e32 vcc, 8, v15
	v_ffbh_u32_e32 v15, v5
	v_min_u32_e32 v19, 32, v15
	v_subrev_u32_e32 v15, 28, v19
	v_lshlrev_b64 v[14:15], v15, v[14:15]
	v_sub_u32_e32 v15, 29, v19
	v_and_b32_e32 v14, 7, v14
	v_cndmask_b32_e32 v15, v18, v15, vcc
	v_cndmask_b32_e32 v5, v5, v14, vcc
	v_lshlrev_b32_e32 v14, 24, v20
	v_bfrev_b32_e32 v18, 60
	v_lshlrev_b32_e32 v5, 20, v5
	v_and_b32_e32 v14, 0x80000000, v14
	v_lshl_add_u32 v15, v15, 23, v18
	v_or3_b32 v5, v14, v15, v5
.LBB6_10010:                            ;   in Loop: Header=BB6_8433 Depth=4
	s_or_b64 exec, exec, s[36:37]
.LBB6_10011:                            ;   in Loop: Header=BB6_8433 Depth=4
	s_or_b64 exec, exec, s[34:35]
.LBB6_10012:                            ;   in Loop: Header=BB6_8433 Depth=4
	s_or_b64 exec, exec, s[28:29]
	v_and_b32_e32 v14, 0xff, v58
	v_cmp_ne_u16_e32 vcc, 0, v14
	s_and_saveexec_b64 s[28:29], vcc
	s_cbranch_execz .LBB6_10018
; %bb.10013:                            ;   in Loop: Header=BB6_8433 Depth=4
	v_cmp_ne_u16_e32 vcc, s96, v14
	v_bfrev_b32_e32 v4, 1
	s_and_saveexec_b64 s[34:35], vcc
	s_cbranch_execz .LBB6_10017
; %bb.10014:                            ;   in Loop: Header=BB6_8433 Depth=4
	v_and_b32_e32 v15, 0x7f, v58
	v_cmp_ne_u32_e32 vcc, s86, v15
	v_mov_b32_e32 v4, 0x7f800001
	s_and_saveexec_b64 s[36:37], vcc
	s_cbranch_execz .LBB6_10016
; %bb.10015:                            ;   in Loop: Header=BB6_8433 Depth=4
	v_and_b32_e32 v4, 7, v14
	v_lshrrev_b32_e32 v18, 3, v15
	v_cmp_gt_u32_e32 vcc, 8, v15
	v_ffbh_u32_e32 v15, v4
	v_min_u32_e32 v19, 32, v15
	v_subrev_u32_e32 v15, 28, v19
	v_lshlrev_b64 v[14:15], v15, v[14:15]
	v_sub_u32_e32 v15, 29, v19
	v_and_b32_e32 v14, 7, v14
	v_cndmask_b32_e32 v15, v18, v15, vcc
	v_cndmask_b32_e32 v4, v4, v14, vcc
	v_lshlrev_b32_e32 v14, 24, v58
	v_bfrev_b32_e32 v18, 60
	v_lshlrev_b32_e32 v4, 20, v4
	v_and_b32_e32 v14, 0x80000000, v14
	v_lshl_add_u32 v15, v15, 23, v18
	v_or3_b32 v4, v14, v15, v4
.LBB6_10016:                            ;   in Loop: Header=BB6_8433 Depth=4
	s_or_b64 exec, exec, s[36:37]
.LBB6_10017:                            ;   in Loop: Header=BB6_8433 Depth=4
	s_or_b64 exec, exec, s[34:35]
.LBB6_10018:                            ;   in Loop: Header=BB6_8433 Depth=4
	s_or_b64 exec, exec, s[28:29]
	v_add_f32_e32 v4, v5, v4
	v_and_b32_e32 v50, 0x7f800000, v4
	v_cmp_ne_u64_e32 vcc, s[76:77], v[50:51]
                                        ; implicit-def: $vgpr18
	s_and_saveexec_b64 s[28:29], vcc
	s_xor_b64 s[34:35], exec, s[28:29]
	s_cbranch_execz .LBB6_10036
; %bb.10019:                            ;   in Loop: Header=BB6_8433 Depth=4
	v_and_b32_e32 v50, 0x7fffffff, v4
	v_cmp_gt_u64_e32 vcc, s[78:79], v[50:51]
	v_and_b32_sdwa v19, v4, s96 dst_sel:DWORD dst_unused:UNUSED_PAD src0_sel:BYTE_3 src1_sel:DWORD
                                        ; implicit-def: $vgpr18
	s_and_saveexec_b64 s[28:29], vcc
	s_xor_b64 s[36:37], exec, s[28:29]
	s_cbranch_execz .LBB6_10033
; %bb.10020:                            ;   in Loop: Header=BB6_8433 Depth=4
	v_cmp_ne_u32_e32 vcc, 0, v4
	v_mov_b32_e32 v18, 0
	s_and_saveexec_b64 s[38:39], vcc
	s_cbranch_execz .LBB6_10032
; %bb.10021:                            ;   in Loop: Header=BB6_8433 Depth=4
	v_bfe_u32 v18, v4, 23, 8
	v_and_b32_e32 v5, 0x7fffff, v4
	v_cmp_gt_u32_e64 s[28:29], s97, v18
	v_sub_u32_e32 v4, 0x79, v18
	v_cmp_eq_u32_e32 vcc, 0, v18
	v_cndmask_b32_e64 v4, 0, v4, s[28:29]
	v_mov_b32_e32 v15, 0x78
	v_cndmask_b32_e32 v20, v4, v15, vcc
	v_or_b32_e32 v14, 0x800000, v5
	v_add_u32_e32 v4, 20, v20
	v_cndmask_b32_e32 v50, v14, v5, vcc
	v_lshlrev_b64 v[4:5], v4, -1
	v_add_u32_e32 v14, 19, v20
	v_lshlrev_b64 v[14:15], v14, 1
	v_bfi_b32 v5, v5, 0, 0
	v_bfi_b32 v4, v4, 0, v50
	v_cmp_eq_u64_e64 s[28:29], v[4:5], v[14:15]
	v_lshrrev_b64 v[14:15], v20, v[50:51]
	v_mov_b32_e32 v4, v14
	v_mov_b32_e32 v5, v15
	s_and_saveexec_b64 s[48:49], s[28:29]
; %bb.10022:                            ;   in Loop: Header=BB6_8433 Depth=4
	v_bfe_u32 v4, v14, 20, 1
	v_add_co_u32_e64 v4, s[28:29], v14, v4
	v_add_co_u32_e64 v4, s[28:29], -1, v4
; %bb.10023:                            ;   in Loop: Header=BB6_8433 Depth=4
	s_or_b64 exec, exec, s[48:49]
	v_add_u32_e32 v5, 0xffffff81, v18
	v_mov_b32_e32 v15, 0xffffff82
	v_cndmask_b32_e32 v5, v5, v15, vcc
	v_lshrrev_b32_e32 v15, 23, v14
	v_add3_u32 v18, v20, v5, v15
	v_add_u32_e32 v5, 6, v18
	v_and_b32_e32 v4, 0xfffff, v4
	v_add_u32_e32 v50, v4, v14
	v_cmp_ne_u32_e32 vcc, 0, v5
                                        ; implicit-def: $vgpr14_vgpr15
                                        ; implicit-def: $vgpr4
	s_and_saveexec_b64 s[28:29], vcc
	s_xor_b64 s[28:29], exec, s[28:29]
; %bb.10024:                            ;   in Loop: Header=BB6_8433 Depth=4
	v_cmp_lt_u64_e32 vcc, s[88:89], v[50:51]
	v_add_u32_e32 v4, 7, v18
	v_cndmask_b32_e32 v4, v5, v4, vcc
	v_cndmask_b32_e64 v5, 0, 1, vcc
	v_lshrrev_b64 v[14:15], v5, v[50:51]
; %bb.10025:                            ;   in Loop: Header=BB6_8433 Depth=4
	s_andn2_saveexec_b64 s[28:29], s[28:29]
; %bb.10026:                            ;   in Loop: Header=BB6_8433 Depth=4
	v_mov_b32_e32 v14, v50
	v_mov_b32_e32 v15, v51
	v_bfe_u32 v4, v50, 23, 1
; %bb.10027:                            ;   in Loop: Header=BB6_8433 Depth=4
	s_or_b64 exec, exec, s[28:29]
	v_lshrrev_b64 v[14:15], 20, v[14:15]
	v_cmp_gt_i32_e32 vcc, 16, v4
	v_cndmask_b32_e32 v15, 0, v15, vcc
	v_cndmask_b32_e32 v14, 7, v14, vcc
	v_cmp_ne_u64_e32 vcc, 0, v[14:15]
	v_cmp_ne_u32_e64 s[28:29], 0, v4
	s_or_b64 s[28:29], s[28:29], vcc
                                        ; implicit-def: $vgpr18
	s_and_saveexec_b64 vcc, s[28:29]
	s_xor_b64 s[28:29], exec, vcc
; %bb.10028:                            ;   in Loop: Header=BB6_8433 Depth=4
	v_min_i32_e32 v4, 15, v4
	v_lshl_or_b32 v4, v4, 3, v19
	v_and_or_b32 v18, v14, 7, v4
                                        ; implicit-def: $vgpr19
; %bb.10029:                            ;   in Loop: Header=BB6_8433 Depth=4
	s_andn2_saveexec_b64 s[28:29], s[28:29]
; %bb.10030:                            ;   in Loop: Header=BB6_8433 Depth=4
	v_mov_b32_e32 v18, v19
; %bb.10031:                            ;   in Loop: Header=BB6_8433 Depth=4
	s_or_b64 exec, exec, s[28:29]
.LBB6_10032:                            ;   in Loop: Header=BB6_8433 Depth=4
	s_or_b64 exec, exec, s[38:39]
                                        ; implicit-def: $vgpr19
.LBB6_10033:                            ;   in Loop: Header=BB6_8433 Depth=4
	s_andn2_saveexec_b64 s[28:29], s[36:37]
; %bb.10034:                            ;   in Loop: Header=BB6_8433 Depth=4
	v_or_b32_e32 v18, 0x7e, v19
; %bb.10035:                            ;   in Loop: Header=BB6_8433 Depth=4
	s_or_b64 exec, exec, s[28:29]
                                        ; implicit-def: $vgpr4
.LBB6_10036:                            ;   in Loop: Header=BB6_8433 Depth=4
	s_andn2_saveexec_b64 s[28:29], s[34:35]
; %bb.10037:                            ;   in Loop: Header=BB6_8433 Depth=4
	v_or_b32_sdwa v18, v4, s86 dst_sel:DWORD dst_unused:UNUSED_PAD src0_sel:BYTE_3 src1_sel:DWORD
; %bb.10038:                            ;   in Loop: Header=BB6_8433 Depth=4
	s_or_b64 exec, exec, s[28:29]
	buffer_load_dword v4, off, s[0:3], s33 offset:124 ; 4-byte Folded Reload
	v_mov_b32_e32 v5, 0
	s_waitcnt vmcnt(0)
	v_and_b32_e32 v14, 0xff, v4
	v_cmp_ne_u16_e32 vcc, 0, v14
	v_mov_b32_e32 v4, 0
	s_and_saveexec_b64 s[28:29], vcc
	s_cbranch_execz .LBB6_10044
; %bb.10039:                            ;   in Loop: Header=BB6_8433 Depth=4
	v_cmp_ne_u16_e32 vcc, s96, v14
	v_bfrev_b32_e32 v5, 1
	s_and_saveexec_b64 s[34:35], vcc
	s_cbranch_execz .LBB6_10043
; %bb.10040:                            ;   in Loop: Header=BB6_8433 Depth=4
	buffer_load_dword v21, off, s[0:3], s33 offset:124 ; 4-byte Folded Reload
	v_mov_b32_e32 v5, 0x7f800001
	s_waitcnt vmcnt(0)
	v_and_b32_e32 v15, 0x7f, v21
	v_cmp_ne_u32_e32 vcc, s86, v15
	s_and_saveexec_b64 s[36:37], vcc
	s_cbranch_execz .LBB6_10042
; %bb.10041:                            ;   in Loop: Header=BB6_8433 Depth=4
	v_and_b32_e32 v5, 7, v14
	v_lshrrev_b32_e32 v19, 3, v15
	v_cmp_gt_u32_e32 vcc, 8, v15
	v_ffbh_u32_e32 v15, v5
	v_min_u32_e32 v20, 32, v15
	v_subrev_u32_e32 v15, 28, v20
	v_lshlrev_b64 v[14:15], v15, v[14:15]
	v_sub_u32_e32 v15, 29, v20
	v_and_b32_e32 v14, 7, v14
	v_cndmask_b32_e32 v15, v19, v15, vcc
	v_cndmask_b32_e32 v5, v5, v14, vcc
	v_lshlrev_b32_e32 v14, 24, v21
	v_bfrev_b32_e32 v19, 60
	v_lshlrev_b32_e32 v5, 20, v5
	v_and_b32_e32 v14, 0x80000000, v14
	v_lshl_add_u32 v15, v15, 23, v19
	v_or3_b32 v5, v14, v15, v5
.LBB6_10042:                            ;   in Loop: Header=BB6_8433 Depth=4
	s_or_b64 exec, exec, s[36:37]
.LBB6_10043:                            ;   in Loop: Header=BB6_8433 Depth=4
	s_or_b64 exec, exec, s[34:35]
.LBB6_10044:                            ;   in Loop: Header=BB6_8433 Depth=4
	s_or_b64 exec, exec, s[28:29]
	v_and_b32_e32 v14, 0xff, v57
	v_cmp_ne_u16_e32 vcc, 0, v14
	s_and_saveexec_b64 s[28:29], vcc
	s_cbranch_execz .LBB6_10050
; %bb.10045:                            ;   in Loop: Header=BB6_8433 Depth=4
	v_cmp_ne_u16_e32 vcc, s96, v14
	v_bfrev_b32_e32 v4, 1
	s_and_saveexec_b64 s[34:35], vcc
	s_cbranch_execz .LBB6_10049
; %bb.10046:                            ;   in Loop: Header=BB6_8433 Depth=4
	v_and_b32_e32 v15, 0x7f, v57
	v_cmp_ne_u32_e32 vcc, s86, v15
	v_mov_b32_e32 v4, 0x7f800001
	s_and_saveexec_b64 s[36:37], vcc
	s_cbranch_execz .LBB6_10048
; %bb.10047:                            ;   in Loop: Header=BB6_8433 Depth=4
	v_and_b32_e32 v4, 7, v14
	v_lshrrev_b32_e32 v19, 3, v15
	v_cmp_gt_u32_e32 vcc, 8, v15
	v_ffbh_u32_e32 v15, v4
	v_min_u32_e32 v20, 32, v15
	v_subrev_u32_e32 v15, 28, v20
	v_lshlrev_b64 v[14:15], v15, v[14:15]
	v_sub_u32_e32 v15, 29, v20
	v_and_b32_e32 v14, 7, v14
	v_cndmask_b32_e32 v15, v19, v15, vcc
	v_cndmask_b32_e32 v4, v4, v14, vcc
	v_lshlrev_b32_e32 v14, 24, v57
	v_bfrev_b32_e32 v19, 60
	v_lshlrev_b32_e32 v4, 20, v4
	v_and_b32_e32 v14, 0x80000000, v14
	v_lshl_add_u32 v15, v15, 23, v19
	v_or3_b32 v4, v14, v15, v4
.LBB6_10048:                            ;   in Loop: Header=BB6_8433 Depth=4
	s_or_b64 exec, exec, s[36:37]
.LBB6_10049:                            ;   in Loop: Header=BB6_8433 Depth=4
	s_or_b64 exec, exec, s[34:35]
.LBB6_10050:                            ;   in Loop: Header=BB6_8433 Depth=4
	s_or_b64 exec, exec, s[28:29]
	v_add_f32_e32 v4, v5, v4
	v_and_b32_e32 v50, 0x7f800000, v4
	v_cmp_ne_u64_e32 vcc, s[76:77], v[50:51]
                                        ; implicit-def: $vgpr20
	s_and_saveexec_b64 s[28:29], vcc
	s_xor_b64 s[34:35], exec, s[28:29]
	s_cbranch_execz .LBB6_10068
; %bb.10051:                            ;   in Loop: Header=BB6_8433 Depth=4
	v_and_b32_e32 v50, 0x7fffffff, v4
	v_cmp_gt_u64_e32 vcc, s[78:79], v[50:51]
	v_and_b32_sdwa v19, v4, s96 dst_sel:DWORD dst_unused:UNUSED_PAD src0_sel:BYTE_3 src1_sel:DWORD
                                        ; implicit-def: $vgpr20
	s_and_saveexec_b64 s[28:29], vcc
	s_xor_b64 s[36:37], exec, s[28:29]
	s_cbranch_execz .LBB6_10065
; %bb.10052:                            ;   in Loop: Header=BB6_8433 Depth=4
	v_cmp_ne_u32_e32 vcc, 0, v4
	v_mov_b32_e32 v20, 0
	s_and_saveexec_b64 s[38:39], vcc
	s_cbranch_execz .LBB6_10064
; %bb.10053:                            ;   in Loop: Header=BB6_8433 Depth=4
	v_bfe_u32 v20, v4, 23, 8
	v_and_b32_e32 v5, 0x7fffff, v4
	v_cmp_gt_u32_e64 s[28:29], s97, v20
	v_sub_u32_e32 v4, 0x79, v20
	v_cmp_eq_u32_e32 vcc, 0, v20
	v_cndmask_b32_e64 v4, 0, v4, s[28:29]
	v_mov_b32_e32 v15, 0x78
	v_cndmask_b32_e32 v21, v4, v15, vcc
	v_or_b32_e32 v14, 0x800000, v5
	v_add_u32_e32 v4, 20, v21
	v_cndmask_b32_e32 v50, v14, v5, vcc
	v_lshlrev_b64 v[4:5], v4, -1
	v_add_u32_e32 v14, 19, v21
	v_lshlrev_b64 v[14:15], v14, 1
	v_bfi_b32 v5, v5, 0, 0
	v_bfi_b32 v4, v4, 0, v50
	v_cmp_eq_u64_e64 s[28:29], v[4:5], v[14:15]
	v_lshrrev_b64 v[14:15], v21, v[50:51]
	v_mov_b32_e32 v4, v14
	v_mov_b32_e32 v5, v15
	s_and_saveexec_b64 s[48:49], s[28:29]
; %bb.10054:                            ;   in Loop: Header=BB6_8433 Depth=4
	v_bfe_u32 v4, v14, 20, 1
	v_add_co_u32_e64 v4, s[28:29], v14, v4
	v_add_co_u32_e64 v4, s[28:29], -1, v4
; %bb.10055:                            ;   in Loop: Header=BB6_8433 Depth=4
	s_or_b64 exec, exec, s[48:49]
	v_add_u32_e32 v5, 0xffffff81, v20
	v_mov_b32_e32 v15, 0xffffff82
	v_cndmask_b32_e32 v5, v5, v15, vcc
	v_lshrrev_b32_e32 v15, 23, v14
	v_add3_u32 v20, v21, v5, v15
	v_add_u32_e32 v5, 6, v20
	v_and_b32_e32 v4, 0xfffff, v4
	v_add_u32_e32 v50, v4, v14
	v_cmp_ne_u32_e32 vcc, 0, v5
                                        ; implicit-def: $vgpr14_vgpr15
                                        ; implicit-def: $vgpr4
	s_and_saveexec_b64 s[28:29], vcc
	s_xor_b64 s[28:29], exec, s[28:29]
; %bb.10056:                            ;   in Loop: Header=BB6_8433 Depth=4
	v_cmp_lt_u64_e32 vcc, s[88:89], v[50:51]
	v_add_u32_e32 v4, 7, v20
	v_cndmask_b32_e32 v4, v5, v4, vcc
	v_cndmask_b32_e64 v5, 0, 1, vcc
	v_lshrrev_b64 v[14:15], v5, v[50:51]
; %bb.10057:                            ;   in Loop: Header=BB6_8433 Depth=4
	s_andn2_saveexec_b64 s[28:29], s[28:29]
; %bb.10058:                            ;   in Loop: Header=BB6_8433 Depth=4
	v_mov_b32_e32 v14, v50
	v_mov_b32_e32 v15, v51
	v_bfe_u32 v4, v50, 23, 1
; %bb.10059:                            ;   in Loop: Header=BB6_8433 Depth=4
	s_or_b64 exec, exec, s[28:29]
	v_lshrrev_b64 v[14:15], 20, v[14:15]
	v_cmp_gt_i32_e32 vcc, 16, v4
	v_cndmask_b32_e32 v15, 0, v15, vcc
	v_cndmask_b32_e32 v14, 7, v14, vcc
	v_cmp_ne_u64_e32 vcc, 0, v[14:15]
	v_cmp_ne_u32_e64 s[28:29], 0, v4
	s_or_b64 s[28:29], s[28:29], vcc
                                        ; implicit-def: $vgpr20
	s_and_saveexec_b64 vcc, s[28:29]
	s_xor_b64 s[28:29], exec, vcc
; %bb.10060:                            ;   in Loop: Header=BB6_8433 Depth=4
	v_min_i32_e32 v4, 15, v4
	v_lshl_or_b32 v4, v4, 3, v19
	v_and_or_b32 v20, v14, 7, v4
                                        ; implicit-def: $vgpr19
; %bb.10061:                            ;   in Loop: Header=BB6_8433 Depth=4
	s_andn2_saveexec_b64 s[28:29], s[28:29]
; %bb.10062:                            ;   in Loop: Header=BB6_8433 Depth=4
	v_mov_b32_e32 v20, v19
; %bb.10063:                            ;   in Loop: Header=BB6_8433 Depth=4
	s_or_b64 exec, exec, s[28:29]
.LBB6_10064:                            ;   in Loop: Header=BB6_8433 Depth=4
	s_or_b64 exec, exec, s[38:39]
                                        ; implicit-def: $vgpr19
.LBB6_10065:                            ;   in Loop: Header=BB6_8433 Depth=4
	s_andn2_saveexec_b64 s[28:29], s[36:37]
; %bb.10066:                            ;   in Loop: Header=BB6_8433 Depth=4
	v_or_b32_e32 v20, 0x7e, v19
; %bb.10067:                            ;   in Loop: Header=BB6_8433 Depth=4
	s_or_b64 exec, exec, s[28:29]
                                        ; implicit-def: $vgpr4
.LBB6_10068:                            ;   in Loop: Header=BB6_8433 Depth=4
	s_andn2_saveexec_b64 s[28:29], s[34:35]
; %bb.10069:                            ;   in Loop: Header=BB6_8433 Depth=4
	v_or_b32_sdwa v20, v4, s86 dst_sel:DWORD dst_unused:UNUSED_PAD src0_sel:BYTE_3 src1_sel:DWORD
; %bb.10070:                            ;   in Loop: Header=BB6_8433 Depth=4
	s_or_b64 exec, exec, s[28:29]
	buffer_load_dword v4, off, s[0:3], s33 offset:120 ; 4-byte Folded Reload
	v_mov_b32_e32 v5, 0
	s_waitcnt vmcnt(0)
	v_and_b32_e32 v14, 0xff, v4
	v_cmp_ne_u16_e32 vcc, 0, v14
	v_mov_b32_e32 v4, 0
	s_and_saveexec_b64 s[28:29], vcc
	s_cbranch_execz .LBB6_10076
; %bb.10071:                            ;   in Loop: Header=BB6_8433 Depth=4
	v_cmp_ne_u16_e32 vcc, s96, v14
	v_bfrev_b32_e32 v5, 1
	s_and_saveexec_b64 s[34:35], vcc
	s_cbranch_execz .LBB6_10075
; %bb.10072:                            ;   in Loop: Header=BB6_8433 Depth=4
	buffer_load_dword v22, off, s[0:3], s33 offset:120 ; 4-byte Folded Reload
	v_mov_b32_e32 v5, 0x7f800001
	s_waitcnt vmcnt(0)
	v_and_b32_e32 v15, 0x7f, v22
	v_cmp_ne_u32_e32 vcc, s86, v15
	s_and_saveexec_b64 s[36:37], vcc
	s_cbranch_execz .LBB6_10074
; %bb.10073:                            ;   in Loop: Header=BB6_8433 Depth=4
	v_and_b32_e32 v5, 7, v14
	v_lshrrev_b32_e32 v19, 3, v15
	v_cmp_gt_u32_e32 vcc, 8, v15
	v_ffbh_u32_e32 v15, v5
	v_min_u32_e32 v21, 32, v15
	v_subrev_u32_e32 v15, 28, v21
	v_lshlrev_b64 v[14:15], v15, v[14:15]
	v_sub_u32_e32 v15, 29, v21
	v_and_b32_e32 v14, 7, v14
	v_cndmask_b32_e32 v15, v19, v15, vcc
	v_cndmask_b32_e32 v5, v5, v14, vcc
	v_lshlrev_b32_e32 v14, 24, v22
	v_bfrev_b32_e32 v19, 60
	v_lshlrev_b32_e32 v5, 20, v5
	v_and_b32_e32 v14, 0x80000000, v14
	v_lshl_add_u32 v15, v15, 23, v19
	v_or3_b32 v5, v14, v15, v5
.LBB6_10074:                            ;   in Loop: Header=BB6_8433 Depth=4
	s_or_b64 exec, exec, s[36:37]
.LBB6_10075:                            ;   in Loop: Header=BB6_8433 Depth=4
	s_or_b64 exec, exec, s[34:35]
.LBB6_10076:                            ;   in Loop: Header=BB6_8433 Depth=4
	s_or_b64 exec, exec, s[28:29]
	v_and_b32_e32 v14, 0xff, v56
	v_cmp_ne_u16_e32 vcc, 0, v14
	s_and_saveexec_b64 s[28:29], vcc
	s_cbranch_execz .LBB6_10082
; %bb.10077:                            ;   in Loop: Header=BB6_8433 Depth=4
	v_cmp_ne_u16_e32 vcc, s96, v14
	v_bfrev_b32_e32 v4, 1
	s_and_saveexec_b64 s[34:35], vcc
	s_cbranch_execz .LBB6_10081
; %bb.10078:                            ;   in Loop: Header=BB6_8433 Depth=4
	v_and_b32_e32 v15, 0x7f, v56
	v_cmp_ne_u32_e32 vcc, s86, v15
	v_mov_b32_e32 v4, 0x7f800001
	s_and_saveexec_b64 s[36:37], vcc
	s_cbranch_execz .LBB6_10080
; %bb.10079:                            ;   in Loop: Header=BB6_8433 Depth=4
	v_and_b32_e32 v4, 7, v14
	v_lshrrev_b32_e32 v19, 3, v15
	v_cmp_gt_u32_e32 vcc, 8, v15
	v_ffbh_u32_e32 v15, v4
	v_min_u32_e32 v21, 32, v15
	v_subrev_u32_e32 v15, 28, v21
	v_lshlrev_b64 v[14:15], v15, v[14:15]
	v_sub_u32_e32 v15, 29, v21
	v_and_b32_e32 v14, 7, v14
	v_cndmask_b32_e32 v15, v19, v15, vcc
	v_cndmask_b32_e32 v4, v4, v14, vcc
	v_lshlrev_b32_e32 v14, 24, v56
	v_bfrev_b32_e32 v19, 60
	v_lshlrev_b32_e32 v4, 20, v4
	v_and_b32_e32 v14, 0x80000000, v14
	v_lshl_add_u32 v15, v15, 23, v19
	v_or3_b32 v4, v14, v15, v4
.LBB6_10080:                            ;   in Loop: Header=BB6_8433 Depth=4
	s_or_b64 exec, exec, s[36:37]
.LBB6_10081:                            ;   in Loop: Header=BB6_8433 Depth=4
	s_or_b64 exec, exec, s[34:35]
.LBB6_10082:                            ;   in Loop: Header=BB6_8433 Depth=4
	s_or_b64 exec, exec, s[28:29]
	v_add_f32_e32 v4, v5, v4
	v_and_b32_e32 v50, 0x7f800000, v4
	v_cmp_ne_u64_e32 vcc, s[76:77], v[50:51]
                                        ; implicit-def: $vgpr21
	s_and_saveexec_b64 s[28:29], vcc
	s_xor_b64 s[34:35], exec, s[28:29]
	s_cbranch_execz .LBB6_10100
; %bb.10083:                            ;   in Loop: Header=BB6_8433 Depth=4
	v_and_b32_e32 v50, 0x7fffffff, v4
	v_cmp_gt_u64_e32 vcc, s[78:79], v[50:51]
	v_and_b32_sdwa v19, v4, s96 dst_sel:DWORD dst_unused:UNUSED_PAD src0_sel:BYTE_3 src1_sel:DWORD
                                        ; implicit-def: $vgpr21
	s_and_saveexec_b64 s[28:29], vcc
	s_xor_b64 s[36:37], exec, s[28:29]
	s_cbranch_execz .LBB6_10097
; %bb.10084:                            ;   in Loop: Header=BB6_8433 Depth=4
	v_cmp_ne_u32_e32 vcc, 0, v4
	v_mov_b32_e32 v21, 0
	s_and_saveexec_b64 s[38:39], vcc
	s_cbranch_execz .LBB6_10096
; %bb.10085:                            ;   in Loop: Header=BB6_8433 Depth=4
	v_bfe_u32 v21, v4, 23, 8
	v_and_b32_e32 v5, 0x7fffff, v4
	v_cmp_gt_u32_e64 s[28:29], s97, v21
	v_sub_u32_e32 v4, 0x79, v21
	v_cmp_eq_u32_e32 vcc, 0, v21
	v_cndmask_b32_e64 v4, 0, v4, s[28:29]
	v_mov_b32_e32 v15, 0x78
	v_cndmask_b32_e32 v22, v4, v15, vcc
	v_or_b32_e32 v14, 0x800000, v5
	v_add_u32_e32 v4, 20, v22
	v_cndmask_b32_e32 v50, v14, v5, vcc
	v_lshlrev_b64 v[4:5], v4, -1
	v_add_u32_e32 v14, 19, v22
	v_lshlrev_b64 v[14:15], v14, 1
	v_bfi_b32 v5, v5, 0, 0
	v_bfi_b32 v4, v4, 0, v50
	v_cmp_eq_u64_e64 s[28:29], v[4:5], v[14:15]
	v_lshrrev_b64 v[14:15], v22, v[50:51]
	v_mov_b32_e32 v4, v14
	v_mov_b32_e32 v5, v15
	s_and_saveexec_b64 s[48:49], s[28:29]
; %bb.10086:                            ;   in Loop: Header=BB6_8433 Depth=4
	v_bfe_u32 v4, v14, 20, 1
	v_add_co_u32_e64 v4, s[28:29], v14, v4
	v_add_co_u32_e64 v4, s[28:29], -1, v4
; %bb.10087:                            ;   in Loop: Header=BB6_8433 Depth=4
	s_or_b64 exec, exec, s[48:49]
	v_add_u32_e32 v5, 0xffffff81, v21
	v_mov_b32_e32 v15, 0xffffff82
	v_cndmask_b32_e32 v5, v5, v15, vcc
	v_lshrrev_b32_e32 v15, 23, v14
	v_add3_u32 v21, v22, v5, v15
	v_add_u32_e32 v5, 6, v21
	v_and_b32_e32 v4, 0xfffff, v4
	v_add_u32_e32 v50, v4, v14
	v_cmp_ne_u32_e32 vcc, 0, v5
                                        ; implicit-def: $vgpr14_vgpr15
                                        ; implicit-def: $vgpr4
	s_and_saveexec_b64 s[28:29], vcc
	s_xor_b64 s[28:29], exec, s[28:29]
; %bb.10088:                            ;   in Loop: Header=BB6_8433 Depth=4
	v_cmp_lt_u64_e32 vcc, s[88:89], v[50:51]
	v_add_u32_e32 v4, 7, v21
	v_cndmask_b32_e32 v4, v5, v4, vcc
	v_cndmask_b32_e64 v5, 0, 1, vcc
	v_lshrrev_b64 v[14:15], v5, v[50:51]
; %bb.10089:                            ;   in Loop: Header=BB6_8433 Depth=4
	s_andn2_saveexec_b64 s[28:29], s[28:29]
; %bb.10090:                            ;   in Loop: Header=BB6_8433 Depth=4
	v_mov_b32_e32 v14, v50
	v_mov_b32_e32 v15, v51
	v_bfe_u32 v4, v50, 23, 1
; %bb.10091:                            ;   in Loop: Header=BB6_8433 Depth=4
	s_or_b64 exec, exec, s[28:29]
	v_lshrrev_b64 v[14:15], 20, v[14:15]
	v_cmp_gt_i32_e32 vcc, 16, v4
	v_cndmask_b32_e32 v15, 0, v15, vcc
	v_cndmask_b32_e32 v14, 7, v14, vcc
	v_cmp_ne_u64_e32 vcc, 0, v[14:15]
	v_cmp_ne_u32_e64 s[28:29], 0, v4
	s_or_b64 s[28:29], s[28:29], vcc
                                        ; implicit-def: $vgpr21
	s_and_saveexec_b64 vcc, s[28:29]
	s_xor_b64 s[28:29], exec, vcc
; %bb.10092:                            ;   in Loop: Header=BB6_8433 Depth=4
	v_min_i32_e32 v4, 15, v4
	v_lshl_or_b32 v4, v4, 3, v19
	v_and_or_b32 v21, v14, 7, v4
                                        ; implicit-def: $vgpr19
; %bb.10093:                            ;   in Loop: Header=BB6_8433 Depth=4
	s_andn2_saveexec_b64 s[28:29], s[28:29]
; %bb.10094:                            ;   in Loop: Header=BB6_8433 Depth=4
	v_mov_b32_e32 v21, v19
; %bb.10095:                            ;   in Loop: Header=BB6_8433 Depth=4
	s_or_b64 exec, exec, s[28:29]
.LBB6_10096:                            ;   in Loop: Header=BB6_8433 Depth=4
	s_or_b64 exec, exec, s[38:39]
                                        ; implicit-def: $vgpr19
.LBB6_10097:                            ;   in Loop: Header=BB6_8433 Depth=4
	s_andn2_saveexec_b64 s[28:29], s[36:37]
; %bb.10098:                            ;   in Loop: Header=BB6_8433 Depth=4
	v_or_b32_e32 v21, 0x7e, v19
; %bb.10099:                            ;   in Loop: Header=BB6_8433 Depth=4
	s_or_b64 exec, exec, s[28:29]
                                        ; implicit-def: $vgpr4
.LBB6_10100:                            ;   in Loop: Header=BB6_8433 Depth=4
	s_andn2_saveexec_b64 s[28:29], s[34:35]
; %bb.10101:                            ;   in Loop: Header=BB6_8433 Depth=4
	v_or_b32_sdwa v21, v4, s86 dst_sel:DWORD dst_unused:UNUSED_PAD src0_sel:BYTE_3 src1_sel:DWORD
; %bb.10102:                            ;   in Loop: Header=BB6_8433 Depth=4
	s_or_b64 exec, exec, s[28:29]
	buffer_load_dword v4, off, s[0:3], s33 offset:116 ; 4-byte Folded Reload
	v_mov_b32_e32 v5, 0
	s_waitcnt vmcnt(0)
	v_and_b32_e32 v14, 0xff, v4
	v_cmp_ne_u16_e32 vcc, 0, v14
	v_mov_b32_e32 v4, 0
	s_and_saveexec_b64 s[28:29], vcc
	s_cbranch_execz .LBB6_10108
; %bb.10103:                            ;   in Loop: Header=BB6_8433 Depth=4
	v_cmp_ne_u16_e32 vcc, s96, v14
	v_bfrev_b32_e32 v5, 1
	s_and_saveexec_b64 s[34:35], vcc
	s_cbranch_execz .LBB6_10107
; %bb.10104:                            ;   in Loop: Header=BB6_8433 Depth=4
	buffer_load_dword v23, off, s[0:3], s33 offset:116 ; 4-byte Folded Reload
	v_mov_b32_e32 v5, 0x7f800001
	s_waitcnt vmcnt(0)
	v_and_b32_e32 v15, 0x7f, v23
	v_cmp_ne_u32_e32 vcc, s86, v15
	s_and_saveexec_b64 s[36:37], vcc
	s_cbranch_execz .LBB6_10106
; %bb.10105:                            ;   in Loop: Header=BB6_8433 Depth=4
	v_and_b32_e32 v5, 7, v14
	v_lshrrev_b32_e32 v19, 3, v15
	v_cmp_gt_u32_e32 vcc, 8, v15
	v_ffbh_u32_e32 v15, v5
	v_min_u32_e32 v22, 32, v15
	v_subrev_u32_e32 v15, 28, v22
	v_lshlrev_b64 v[14:15], v15, v[14:15]
	v_sub_u32_e32 v15, 29, v22
	v_and_b32_e32 v14, 7, v14
	v_cndmask_b32_e32 v15, v19, v15, vcc
	v_cndmask_b32_e32 v5, v5, v14, vcc
	v_lshlrev_b32_e32 v14, 24, v23
	v_bfrev_b32_e32 v19, 60
	v_lshlrev_b32_e32 v5, 20, v5
	v_and_b32_e32 v14, 0x80000000, v14
	v_lshl_add_u32 v15, v15, 23, v19
	v_or3_b32 v5, v14, v15, v5
.LBB6_10106:                            ;   in Loop: Header=BB6_8433 Depth=4
	s_or_b64 exec, exec, s[36:37]
.LBB6_10107:                            ;   in Loop: Header=BB6_8433 Depth=4
	s_or_b64 exec, exec, s[34:35]
.LBB6_10108:                            ;   in Loop: Header=BB6_8433 Depth=4
	s_or_b64 exec, exec, s[28:29]
	v_and_b32_e32 v14, 0xff, v47
	v_cmp_ne_u16_e32 vcc, 0, v14
	s_and_saveexec_b64 s[28:29], vcc
	s_cbranch_execz .LBB6_10114
; %bb.10109:                            ;   in Loop: Header=BB6_8433 Depth=4
	v_cmp_ne_u16_e32 vcc, s96, v14
	v_bfrev_b32_e32 v4, 1
	s_and_saveexec_b64 s[34:35], vcc
	s_cbranch_execz .LBB6_10113
; %bb.10110:                            ;   in Loop: Header=BB6_8433 Depth=4
	v_and_b32_e32 v15, 0x7f, v47
	v_cmp_ne_u32_e32 vcc, s86, v15
	v_mov_b32_e32 v4, 0x7f800001
	s_and_saveexec_b64 s[36:37], vcc
	s_cbranch_execz .LBB6_10112
; %bb.10111:                            ;   in Loop: Header=BB6_8433 Depth=4
	v_and_b32_e32 v4, 7, v14
	v_lshrrev_b32_e32 v19, 3, v15
	v_cmp_gt_u32_e32 vcc, 8, v15
	v_ffbh_u32_e32 v15, v4
	v_min_u32_e32 v22, 32, v15
	v_subrev_u32_e32 v15, 28, v22
	v_lshlrev_b64 v[14:15], v15, v[14:15]
	v_sub_u32_e32 v15, 29, v22
	v_and_b32_e32 v14, 7, v14
	v_cndmask_b32_e32 v15, v19, v15, vcc
	v_cndmask_b32_e32 v4, v4, v14, vcc
	v_lshlrev_b32_e32 v14, 24, v47
	v_bfrev_b32_e32 v19, 60
	v_lshlrev_b32_e32 v4, 20, v4
	v_and_b32_e32 v14, 0x80000000, v14
	v_lshl_add_u32 v15, v15, 23, v19
	v_or3_b32 v4, v14, v15, v4
.LBB6_10112:                            ;   in Loop: Header=BB6_8433 Depth=4
	s_or_b64 exec, exec, s[36:37]
.LBB6_10113:                            ;   in Loop: Header=BB6_8433 Depth=4
	s_or_b64 exec, exec, s[34:35]
.LBB6_10114:                            ;   in Loop: Header=BB6_8433 Depth=4
	s_or_b64 exec, exec, s[28:29]
	v_add_f32_e32 v4, v5, v4
	v_and_b32_e32 v50, 0x7f800000, v4
	v_cmp_ne_u64_e32 vcc, s[76:77], v[50:51]
                                        ; implicit-def: $vgpr22
	s_and_saveexec_b64 s[28:29], vcc
	s_xor_b64 s[34:35], exec, s[28:29]
	s_cbranch_execz .LBB6_10132
; %bb.10115:                            ;   in Loop: Header=BB6_8433 Depth=4
	v_and_b32_e32 v50, 0x7fffffff, v4
	v_cmp_gt_u64_e32 vcc, s[78:79], v[50:51]
	v_and_b32_sdwa v19, v4, s96 dst_sel:DWORD dst_unused:UNUSED_PAD src0_sel:BYTE_3 src1_sel:DWORD
                                        ; implicit-def: $vgpr22
	s_and_saveexec_b64 s[28:29], vcc
	s_xor_b64 s[36:37], exec, s[28:29]
	s_cbranch_execz .LBB6_10129
; %bb.10116:                            ;   in Loop: Header=BB6_8433 Depth=4
	v_cmp_ne_u32_e32 vcc, 0, v4
	v_mov_b32_e32 v22, 0
	s_and_saveexec_b64 s[38:39], vcc
	s_cbranch_execz .LBB6_10128
; %bb.10117:                            ;   in Loop: Header=BB6_8433 Depth=4
	v_bfe_u32 v22, v4, 23, 8
	v_and_b32_e32 v5, 0x7fffff, v4
	v_cmp_gt_u32_e64 s[28:29], s97, v22
	v_sub_u32_e32 v4, 0x79, v22
	v_cmp_eq_u32_e32 vcc, 0, v22
	v_cndmask_b32_e64 v4, 0, v4, s[28:29]
	v_mov_b32_e32 v15, 0x78
	v_cndmask_b32_e32 v23, v4, v15, vcc
	v_or_b32_e32 v14, 0x800000, v5
	v_add_u32_e32 v4, 20, v23
	v_cndmask_b32_e32 v50, v14, v5, vcc
	v_lshlrev_b64 v[4:5], v4, -1
	v_add_u32_e32 v14, 19, v23
	v_lshlrev_b64 v[14:15], v14, 1
	v_bfi_b32 v5, v5, 0, 0
	v_bfi_b32 v4, v4, 0, v50
	v_cmp_eq_u64_e64 s[28:29], v[4:5], v[14:15]
	v_lshrrev_b64 v[14:15], v23, v[50:51]
	v_mov_b32_e32 v4, v14
	v_mov_b32_e32 v5, v15
	s_and_saveexec_b64 s[48:49], s[28:29]
; %bb.10118:                            ;   in Loop: Header=BB6_8433 Depth=4
	v_bfe_u32 v4, v14, 20, 1
	v_add_co_u32_e64 v4, s[28:29], v14, v4
	v_add_co_u32_e64 v4, s[28:29], -1, v4
; %bb.10119:                            ;   in Loop: Header=BB6_8433 Depth=4
	s_or_b64 exec, exec, s[48:49]
	v_add_u32_e32 v5, 0xffffff81, v22
	v_mov_b32_e32 v15, 0xffffff82
	v_cndmask_b32_e32 v5, v5, v15, vcc
	v_lshrrev_b32_e32 v15, 23, v14
	v_add3_u32 v22, v23, v5, v15
	v_add_u32_e32 v5, 6, v22
	v_and_b32_e32 v4, 0xfffff, v4
	v_add_u32_e32 v50, v4, v14
	v_cmp_ne_u32_e32 vcc, 0, v5
                                        ; implicit-def: $vgpr14_vgpr15
                                        ; implicit-def: $vgpr4
	s_and_saveexec_b64 s[28:29], vcc
	s_xor_b64 s[28:29], exec, s[28:29]
; %bb.10120:                            ;   in Loop: Header=BB6_8433 Depth=4
	v_cmp_lt_u64_e32 vcc, s[88:89], v[50:51]
	v_add_u32_e32 v4, 7, v22
	v_cndmask_b32_e32 v4, v5, v4, vcc
	v_cndmask_b32_e64 v5, 0, 1, vcc
	v_lshrrev_b64 v[14:15], v5, v[50:51]
; %bb.10121:                            ;   in Loop: Header=BB6_8433 Depth=4
	s_andn2_saveexec_b64 s[28:29], s[28:29]
; %bb.10122:                            ;   in Loop: Header=BB6_8433 Depth=4
	v_mov_b32_e32 v14, v50
	v_mov_b32_e32 v15, v51
	v_bfe_u32 v4, v50, 23, 1
; %bb.10123:                            ;   in Loop: Header=BB6_8433 Depth=4
	s_or_b64 exec, exec, s[28:29]
	v_lshrrev_b64 v[14:15], 20, v[14:15]
	v_cmp_gt_i32_e32 vcc, 16, v4
	v_cndmask_b32_e32 v15, 0, v15, vcc
	v_cndmask_b32_e32 v14, 7, v14, vcc
	v_cmp_ne_u64_e32 vcc, 0, v[14:15]
	v_cmp_ne_u32_e64 s[28:29], 0, v4
	s_or_b64 s[28:29], s[28:29], vcc
                                        ; implicit-def: $vgpr22
	s_and_saveexec_b64 vcc, s[28:29]
	s_xor_b64 s[28:29], exec, vcc
; %bb.10124:                            ;   in Loop: Header=BB6_8433 Depth=4
	v_min_i32_e32 v4, 15, v4
	v_lshl_or_b32 v4, v4, 3, v19
	v_and_or_b32 v22, v14, 7, v4
                                        ; implicit-def: $vgpr19
; %bb.10125:                            ;   in Loop: Header=BB6_8433 Depth=4
	s_andn2_saveexec_b64 s[28:29], s[28:29]
; %bb.10126:                            ;   in Loop: Header=BB6_8433 Depth=4
	v_mov_b32_e32 v22, v19
; %bb.10127:                            ;   in Loop: Header=BB6_8433 Depth=4
	s_or_b64 exec, exec, s[28:29]
.LBB6_10128:                            ;   in Loop: Header=BB6_8433 Depth=4
	s_or_b64 exec, exec, s[38:39]
                                        ; implicit-def: $vgpr19
.LBB6_10129:                            ;   in Loop: Header=BB6_8433 Depth=4
	s_andn2_saveexec_b64 s[28:29], s[36:37]
; %bb.10130:                            ;   in Loop: Header=BB6_8433 Depth=4
	v_or_b32_e32 v22, 0x7e, v19
; %bb.10131:                            ;   in Loop: Header=BB6_8433 Depth=4
	s_or_b64 exec, exec, s[28:29]
                                        ; implicit-def: $vgpr4
.LBB6_10132:                            ;   in Loop: Header=BB6_8433 Depth=4
	s_andn2_saveexec_b64 s[28:29], s[34:35]
; %bb.10133:                            ;   in Loop: Header=BB6_8433 Depth=4
	v_or_b32_sdwa v22, v4, s86 dst_sel:DWORD dst_unused:UNUSED_PAD src0_sel:BYTE_3 src1_sel:DWORD
; %bb.10134:                            ;   in Loop: Header=BB6_8433 Depth=4
	s_or_b64 exec, exec, s[28:29]
	buffer_load_dword v4, off, s[0:3], s33 offset:112 ; 4-byte Folded Reload
	v_mov_b32_e32 v5, 0
	s_waitcnt vmcnt(0)
	v_and_b32_e32 v14, 0xff, v4
	v_cmp_ne_u16_e32 vcc, 0, v14
	v_mov_b32_e32 v4, 0
	s_and_saveexec_b64 s[28:29], vcc
	s_cbranch_execz .LBB6_10140
; %bb.10135:                            ;   in Loop: Header=BB6_8433 Depth=4
	v_cmp_ne_u16_e32 vcc, s96, v14
	v_bfrev_b32_e32 v5, 1
	s_and_saveexec_b64 s[34:35], vcc
	s_cbranch_execz .LBB6_10139
; %bb.10136:                            ;   in Loop: Header=BB6_8433 Depth=4
	buffer_load_dword v24, off, s[0:3], s33 offset:112 ; 4-byte Folded Reload
	v_mov_b32_e32 v5, 0x7f800001
	s_waitcnt vmcnt(0)
	v_and_b32_e32 v15, 0x7f, v24
	v_cmp_ne_u32_e32 vcc, s86, v15
	s_and_saveexec_b64 s[36:37], vcc
	s_cbranch_execz .LBB6_10138
; %bb.10137:                            ;   in Loop: Header=BB6_8433 Depth=4
	v_and_b32_e32 v5, 7, v14
	v_lshrrev_b32_e32 v19, 3, v15
	v_cmp_gt_u32_e32 vcc, 8, v15
	v_ffbh_u32_e32 v15, v5
	v_min_u32_e32 v23, 32, v15
	v_subrev_u32_e32 v15, 28, v23
	v_lshlrev_b64 v[14:15], v15, v[14:15]
	v_sub_u32_e32 v15, 29, v23
	v_and_b32_e32 v14, 7, v14
	v_cndmask_b32_e32 v15, v19, v15, vcc
	v_cndmask_b32_e32 v5, v5, v14, vcc
	v_lshlrev_b32_e32 v14, 24, v24
	v_bfrev_b32_e32 v19, 60
	v_lshlrev_b32_e32 v5, 20, v5
	v_and_b32_e32 v14, 0x80000000, v14
	v_lshl_add_u32 v15, v15, 23, v19
	v_or3_b32 v5, v14, v15, v5
.LBB6_10138:                            ;   in Loop: Header=BB6_8433 Depth=4
	s_or_b64 exec, exec, s[36:37]
.LBB6_10139:                            ;   in Loop: Header=BB6_8433 Depth=4
	s_or_b64 exec, exec, s[34:35]
.LBB6_10140:                            ;   in Loop: Header=BB6_8433 Depth=4
	s_or_b64 exec, exec, s[28:29]
	v_and_b32_e32 v14, 0xff, v44
	v_cmp_ne_u16_e32 vcc, 0, v14
	s_and_saveexec_b64 s[28:29], vcc
	s_cbranch_execz .LBB6_10146
; %bb.10141:                            ;   in Loop: Header=BB6_8433 Depth=4
	v_cmp_ne_u16_e32 vcc, s96, v14
	v_bfrev_b32_e32 v4, 1
	s_and_saveexec_b64 s[34:35], vcc
	s_cbranch_execz .LBB6_10145
; %bb.10142:                            ;   in Loop: Header=BB6_8433 Depth=4
	v_and_b32_e32 v15, 0x7f, v44
	v_cmp_ne_u32_e32 vcc, s86, v15
	v_mov_b32_e32 v4, 0x7f800001
	s_and_saveexec_b64 s[36:37], vcc
	s_cbranch_execz .LBB6_10144
; %bb.10143:                            ;   in Loop: Header=BB6_8433 Depth=4
	v_and_b32_e32 v4, 7, v14
	v_lshrrev_b32_e32 v19, 3, v15
	v_cmp_gt_u32_e32 vcc, 8, v15
	v_ffbh_u32_e32 v15, v4
	v_min_u32_e32 v23, 32, v15
	v_subrev_u32_e32 v15, 28, v23
	v_lshlrev_b64 v[14:15], v15, v[14:15]
	v_sub_u32_e32 v15, 29, v23
	v_and_b32_e32 v14, 7, v14
	v_cndmask_b32_e32 v15, v19, v15, vcc
	v_cndmask_b32_e32 v4, v4, v14, vcc
	v_lshlrev_b32_e32 v14, 24, v44
	v_bfrev_b32_e32 v19, 60
	v_lshlrev_b32_e32 v4, 20, v4
	v_and_b32_e32 v14, 0x80000000, v14
	v_lshl_add_u32 v15, v15, 23, v19
	v_or3_b32 v4, v14, v15, v4
.LBB6_10144:                            ;   in Loop: Header=BB6_8433 Depth=4
	s_or_b64 exec, exec, s[36:37]
.LBB6_10145:                            ;   in Loop: Header=BB6_8433 Depth=4
	s_or_b64 exec, exec, s[34:35]
.LBB6_10146:                            ;   in Loop: Header=BB6_8433 Depth=4
	s_or_b64 exec, exec, s[28:29]
	v_add_f32_e32 v4, v5, v4
	v_and_b32_e32 v50, 0x7f800000, v4
	v_cmp_ne_u64_e32 vcc, s[76:77], v[50:51]
                                        ; implicit-def: $vgpr23
	s_and_saveexec_b64 s[28:29], vcc
	s_xor_b64 s[34:35], exec, s[28:29]
	s_cbranch_execz .LBB6_10164
; %bb.10147:                            ;   in Loop: Header=BB6_8433 Depth=4
	v_and_b32_e32 v50, 0x7fffffff, v4
	v_cmp_gt_u64_e32 vcc, s[78:79], v[50:51]
	v_and_b32_sdwa v19, v4, s96 dst_sel:DWORD dst_unused:UNUSED_PAD src0_sel:BYTE_3 src1_sel:DWORD
                                        ; implicit-def: $vgpr23
	s_and_saveexec_b64 s[28:29], vcc
	s_xor_b64 s[36:37], exec, s[28:29]
	s_cbranch_execz .LBB6_10161
; %bb.10148:                            ;   in Loop: Header=BB6_8433 Depth=4
	v_cmp_ne_u32_e32 vcc, 0, v4
	v_mov_b32_e32 v23, 0
	s_and_saveexec_b64 s[38:39], vcc
	s_cbranch_execz .LBB6_10160
; %bb.10149:                            ;   in Loop: Header=BB6_8433 Depth=4
	v_bfe_u32 v23, v4, 23, 8
	v_and_b32_e32 v5, 0x7fffff, v4
	v_cmp_gt_u32_e64 s[28:29], s97, v23
	v_sub_u32_e32 v4, 0x79, v23
	v_cmp_eq_u32_e32 vcc, 0, v23
	v_cndmask_b32_e64 v4, 0, v4, s[28:29]
	v_mov_b32_e32 v15, 0x78
	v_cndmask_b32_e32 v24, v4, v15, vcc
	v_or_b32_e32 v14, 0x800000, v5
	v_add_u32_e32 v4, 20, v24
	v_cndmask_b32_e32 v50, v14, v5, vcc
	v_lshlrev_b64 v[4:5], v4, -1
	v_add_u32_e32 v14, 19, v24
	v_lshlrev_b64 v[14:15], v14, 1
	v_bfi_b32 v5, v5, 0, 0
	v_bfi_b32 v4, v4, 0, v50
	v_cmp_eq_u64_e64 s[28:29], v[4:5], v[14:15]
	v_lshrrev_b64 v[14:15], v24, v[50:51]
	v_mov_b32_e32 v4, v14
	v_mov_b32_e32 v5, v15
	s_and_saveexec_b64 s[48:49], s[28:29]
; %bb.10150:                            ;   in Loop: Header=BB6_8433 Depth=4
	v_bfe_u32 v4, v14, 20, 1
	v_add_co_u32_e64 v4, s[28:29], v14, v4
	v_add_co_u32_e64 v4, s[28:29], -1, v4
; %bb.10151:                            ;   in Loop: Header=BB6_8433 Depth=4
	s_or_b64 exec, exec, s[48:49]
	v_add_u32_e32 v5, 0xffffff81, v23
	v_mov_b32_e32 v15, 0xffffff82
	v_cndmask_b32_e32 v5, v5, v15, vcc
	v_lshrrev_b32_e32 v15, 23, v14
	v_add3_u32 v23, v24, v5, v15
	v_add_u32_e32 v5, 6, v23
	v_and_b32_e32 v4, 0xfffff, v4
	v_add_u32_e32 v50, v4, v14
	v_cmp_ne_u32_e32 vcc, 0, v5
                                        ; implicit-def: $vgpr14_vgpr15
                                        ; implicit-def: $vgpr4
	s_and_saveexec_b64 s[28:29], vcc
	s_xor_b64 s[28:29], exec, s[28:29]
; %bb.10152:                            ;   in Loop: Header=BB6_8433 Depth=4
	v_cmp_lt_u64_e32 vcc, s[88:89], v[50:51]
	v_add_u32_e32 v4, 7, v23
	v_cndmask_b32_e32 v4, v5, v4, vcc
	v_cndmask_b32_e64 v5, 0, 1, vcc
	v_lshrrev_b64 v[14:15], v5, v[50:51]
; %bb.10153:                            ;   in Loop: Header=BB6_8433 Depth=4
	s_andn2_saveexec_b64 s[28:29], s[28:29]
; %bb.10154:                            ;   in Loop: Header=BB6_8433 Depth=4
	v_mov_b32_e32 v14, v50
	v_mov_b32_e32 v15, v51
	v_bfe_u32 v4, v50, 23, 1
; %bb.10155:                            ;   in Loop: Header=BB6_8433 Depth=4
	s_or_b64 exec, exec, s[28:29]
	v_lshrrev_b64 v[14:15], 20, v[14:15]
	v_cmp_gt_i32_e32 vcc, 16, v4
	v_cndmask_b32_e32 v15, 0, v15, vcc
	v_cndmask_b32_e32 v14, 7, v14, vcc
	v_cmp_ne_u64_e32 vcc, 0, v[14:15]
	v_cmp_ne_u32_e64 s[28:29], 0, v4
	s_or_b64 s[28:29], s[28:29], vcc
                                        ; implicit-def: $vgpr23
	s_and_saveexec_b64 vcc, s[28:29]
	s_xor_b64 s[28:29], exec, vcc
; %bb.10156:                            ;   in Loop: Header=BB6_8433 Depth=4
	v_min_i32_e32 v4, 15, v4
	v_lshl_or_b32 v4, v4, 3, v19
	v_and_or_b32 v23, v14, 7, v4
                                        ; implicit-def: $vgpr19
; %bb.10157:                            ;   in Loop: Header=BB6_8433 Depth=4
	s_andn2_saveexec_b64 s[28:29], s[28:29]
; %bb.10158:                            ;   in Loop: Header=BB6_8433 Depth=4
	v_mov_b32_e32 v23, v19
; %bb.10159:                            ;   in Loop: Header=BB6_8433 Depth=4
	s_or_b64 exec, exec, s[28:29]
.LBB6_10160:                            ;   in Loop: Header=BB6_8433 Depth=4
	s_or_b64 exec, exec, s[38:39]
                                        ; implicit-def: $vgpr19
.LBB6_10161:                            ;   in Loop: Header=BB6_8433 Depth=4
	s_andn2_saveexec_b64 s[28:29], s[36:37]
; %bb.10162:                            ;   in Loop: Header=BB6_8433 Depth=4
	v_or_b32_e32 v23, 0x7e, v19
; %bb.10163:                            ;   in Loop: Header=BB6_8433 Depth=4
	s_or_b64 exec, exec, s[28:29]
                                        ; implicit-def: $vgpr4
.LBB6_10164:                            ;   in Loop: Header=BB6_8433 Depth=4
	s_andn2_saveexec_b64 s[28:29], s[34:35]
; %bb.10165:                            ;   in Loop: Header=BB6_8433 Depth=4
	v_or_b32_sdwa v23, v4, s86 dst_sel:DWORD dst_unused:UNUSED_PAD src0_sel:BYTE_3 src1_sel:DWORD
; %bb.10166:                            ;   in Loop: Header=BB6_8433 Depth=4
	s_or_b64 exec, exec, s[28:29]
	buffer_load_dword v4, off, s[0:3], s33 offset:108 ; 4-byte Folded Reload
	v_mov_b32_e32 v5, 0
	s_waitcnt vmcnt(0)
	v_and_b32_e32 v14, 0xff, v4
	v_cmp_ne_u16_e32 vcc, 0, v14
	v_mov_b32_e32 v4, 0
	s_and_saveexec_b64 s[28:29], vcc
	s_cbranch_execz .LBB6_10172
; %bb.10167:                            ;   in Loop: Header=BB6_8433 Depth=4
	v_cmp_ne_u16_e32 vcc, s96, v14
	v_bfrev_b32_e32 v5, 1
	s_and_saveexec_b64 s[34:35], vcc
	s_cbranch_execz .LBB6_10171
; %bb.10168:                            ;   in Loop: Header=BB6_8433 Depth=4
	buffer_load_dword v25, off, s[0:3], s33 offset:108 ; 4-byte Folded Reload
	v_mov_b32_e32 v5, 0x7f800001
	s_waitcnt vmcnt(0)
	v_and_b32_e32 v15, 0x7f, v25
	v_cmp_ne_u32_e32 vcc, s86, v15
	s_and_saveexec_b64 s[36:37], vcc
	s_cbranch_execz .LBB6_10170
; %bb.10169:                            ;   in Loop: Header=BB6_8433 Depth=4
	v_and_b32_e32 v5, 7, v14
	v_lshrrev_b32_e32 v19, 3, v15
	v_cmp_gt_u32_e32 vcc, 8, v15
	v_ffbh_u32_e32 v15, v5
	v_min_u32_e32 v24, 32, v15
	v_subrev_u32_e32 v15, 28, v24
	v_lshlrev_b64 v[14:15], v15, v[14:15]
	v_sub_u32_e32 v15, 29, v24
	v_and_b32_e32 v14, 7, v14
	v_cndmask_b32_e32 v15, v19, v15, vcc
	v_cndmask_b32_e32 v5, v5, v14, vcc
	v_lshlrev_b32_e32 v14, 24, v25
	v_bfrev_b32_e32 v19, 60
	v_lshlrev_b32_e32 v5, 20, v5
	v_and_b32_e32 v14, 0x80000000, v14
	v_lshl_add_u32 v15, v15, 23, v19
	v_or3_b32 v5, v14, v15, v5
.LBB6_10170:                            ;   in Loop: Header=BB6_8433 Depth=4
	s_or_b64 exec, exec, s[36:37]
.LBB6_10171:                            ;   in Loop: Header=BB6_8433 Depth=4
	s_or_b64 exec, exec, s[34:35]
.LBB6_10172:                            ;   in Loop: Header=BB6_8433 Depth=4
	s_or_b64 exec, exec, s[28:29]
	buffer_load_dword v14, off, s[0:3], s33 offset:156 ; 4-byte Folded Reload
	s_waitcnt vmcnt(0)
	v_and_b32_e32 v14, 0xff, v14
	v_cmp_ne_u16_e32 vcc, 0, v14
	s_and_saveexec_b64 s[28:29], vcc
	s_cbranch_execz .LBB6_10178
; %bb.10173:                            ;   in Loop: Header=BB6_8433 Depth=4
	v_cmp_ne_u16_e32 vcc, s96, v14
	v_bfrev_b32_e32 v4, 1
	s_and_saveexec_b64 s[34:35], vcc
	s_cbranch_execz .LBB6_10177
; %bb.10174:                            ;   in Loop: Header=BB6_8433 Depth=4
	buffer_load_dword v25, off, s[0:3], s33 offset:156 ; 4-byte Folded Reload
	v_mov_b32_e32 v4, 0x7f800001
	s_waitcnt vmcnt(0)
	v_and_b32_e32 v15, 0x7f, v25
	v_cmp_ne_u32_e32 vcc, s86, v15
	s_and_saveexec_b64 s[36:37], vcc
	s_cbranch_execz .LBB6_10176
; %bb.10175:                            ;   in Loop: Header=BB6_8433 Depth=4
	v_and_b32_e32 v4, 7, v14
	v_lshrrev_b32_e32 v19, 3, v15
	v_cmp_gt_u32_e32 vcc, 8, v15
	v_ffbh_u32_e32 v15, v4
	v_min_u32_e32 v24, 32, v15
	v_subrev_u32_e32 v15, 28, v24
	v_lshlrev_b64 v[14:15], v15, v[14:15]
	v_sub_u32_e32 v15, 29, v24
	v_and_b32_e32 v14, 7, v14
	v_cndmask_b32_e32 v15, v19, v15, vcc
	v_cndmask_b32_e32 v4, v4, v14, vcc
	v_lshlrev_b32_e32 v14, 24, v25
	v_bfrev_b32_e32 v19, 60
	v_lshlrev_b32_e32 v4, 20, v4
	v_and_b32_e32 v14, 0x80000000, v14
	v_lshl_add_u32 v15, v15, 23, v19
	v_or3_b32 v4, v14, v15, v4
.LBB6_10176:                            ;   in Loop: Header=BB6_8433 Depth=4
	s_or_b64 exec, exec, s[36:37]
.LBB6_10177:                            ;   in Loop: Header=BB6_8433 Depth=4
	s_or_b64 exec, exec, s[34:35]
.LBB6_10178:                            ;   in Loop: Header=BB6_8433 Depth=4
	s_or_b64 exec, exec, s[28:29]
	v_add_f32_e32 v4, v5, v4
	v_and_b32_e32 v50, 0x7f800000, v4
	v_cmp_ne_u64_e32 vcc, s[76:77], v[50:51]
                                        ; implicit-def: $vgpr24
	s_and_saveexec_b64 s[28:29], vcc
	s_xor_b64 s[34:35], exec, s[28:29]
	s_cbranch_execz .LBB6_10196
; %bb.10179:                            ;   in Loop: Header=BB6_8433 Depth=4
	v_and_b32_e32 v50, 0x7fffffff, v4
	v_cmp_gt_u64_e32 vcc, s[78:79], v[50:51]
	v_and_b32_sdwa v19, v4, s96 dst_sel:DWORD dst_unused:UNUSED_PAD src0_sel:BYTE_3 src1_sel:DWORD
                                        ; implicit-def: $vgpr24
	s_and_saveexec_b64 s[28:29], vcc
	s_xor_b64 s[36:37], exec, s[28:29]
	s_cbranch_execz .LBB6_10193
; %bb.10180:                            ;   in Loop: Header=BB6_8433 Depth=4
	v_cmp_ne_u32_e32 vcc, 0, v4
	v_mov_b32_e32 v24, 0
	s_and_saveexec_b64 s[38:39], vcc
	s_cbranch_execz .LBB6_10192
; %bb.10181:                            ;   in Loop: Header=BB6_8433 Depth=4
	v_bfe_u32 v24, v4, 23, 8
	v_and_b32_e32 v5, 0x7fffff, v4
	v_cmp_gt_u32_e64 s[28:29], s97, v24
	v_sub_u32_e32 v4, 0x79, v24
	v_cmp_eq_u32_e32 vcc, 0, v24
	v_cndmask_b32_e64 v4, 0, v4, s[28:29]
	v_mov_b32_e32 v15, 0x78
	v_cndmask_b32_e32 v25, v4, v15, vcc
	v_or_b32_e32 v14, 0x800000, v5
	v_add_u32_e32 v4, 20, v25
	v_cndmask_b32_e32 v50, v14, v5, vcc
	v_lshlrev_b64 v[4:5], v4, -1
	v_add_u32_e32 v14, 19, v25
	v_lshlrev_b64 v[14:15], v14, 1
	v_bfi_b32 v5, v5, 0, 0
	v_bfi_b32 v4, v4, 0, v50
	v_cmp_eq_u64_e64 s[28:29], v[4:5], v[14:15]
	v_lshrrev_b64 v[14:15], v25, v[50:51]
	v_mov_b32_e32 v4, v14
	v_mov_b32_e32 v5, v15
	s_and_saveexec_b64 s[48:49], s[28:29]
; %bb.10182:                            ;   in Loop: Header=BB6_8433 Depth=4
	v_bfe_u32 v4, v14, 20, 1
	v_add_co_u32_e64 v4, s[28:29], v14, v4
	v_add_co_u32_e64 v4, s[28:29], -1, v4
; %bb.10183:                            ;   in Loop: Header=BB6_8433 Depth=4
	s_or_b64 exec, exec, s[48:49]
	v_add_u32_e32 v5, 0xffffff81, v24
	v_mov_b32_e32 v15, 0xffffff82
	v_cndmask_b32_e32 v5, v5, v15, vcc
	v_lshrrev_b32_e32 v15, 23, v14
	v_add3_u32 v24, v25, v5, v15
	v_add_u32_e32 v5, 6, v24
	v_and_b32_e32 v4, 0xfffff, v4
	v_add_u32_e32 v50, v4, v14
	v_cmp_ne_u32_e32 vcc, 0, v5
                                        ; implicit-def: $vgpr14_vgpr15
                                        ; implicit-def: $vgpr4
	s_and_saveexec_b64 s[28:29], vcc
	s_xor_b64 s[28:29], exec, s[28:29]
; %bb.10184:                            ;   in Loop: Header=BB6_8433 Depth=4
	v_cmp_lt_u64_e32 vcc, s[88:89], v[50:51]
	v_add_u32_e32 v4, 7, v24
	v_cndmask_b32_e32 v4, v5, v4, vcc
	v_cndmask_b32_e64 v5, 0, 1, vcc
	v_lshrrev_b64 v[14:15], v5, v[50:51]
; %bb.10185:                            ;   in Loop: Header=BB6_8433 Depth=4
	s_andn2_saveexec_b64 s[28:29], s[28:29]
; %bb.10186:                            ;   in Loop: Header=BB6_8433 Depth=4
	v_mov_b32_e32 v14, v50
	v_mov_b32_e32 v15, v51
	v_bfe_u32 v4, v50, 23, 1
; %bb.10187:                            ;   in Loop: Header=BB6_8433 Depth=4
	s_or_b64 exec, exec, s[28:29]
	v_lshrrev_b64 v[14:15], 20, v[14:15]
	v_cmp_gt_i32_e32 vcc, 16, v4
	v_cndmask_b32_e32 v15, 0, v15, vcc
	v_cndmask_b32_e32 v14, 7, v14, vcc
	v_cmp_ne_u64_e32 vcc, 0, v[14:15]
	v_cmp_ne_u32_e64 s[28:29], 0, v4
	s_or_b64 s[28:29], s[28:29], vcc
                                        ; implicit-def: $vgpr24
	s_and_saveexec_b64 vcc, s[28:29]
	s_xor_b64 s[28:29], exec, vcc
; %bb.10188:                            ;   in Loop: Header=BB6_8433 Depth=4
	v_min_i32_e32 v4, 15, v4
	v_lshl_or_b32 v4, v4, 3, v19
	v_and_or_b32 v24, v14, 7, v4
                                        ; implicit-def: $vgpr19
; %bb.10189:                            ;   in Loop: Header=BB6_8433 Depth=4
	s_andn2_saveexec_b64 s[28:29], s[28:29]
; %bb.10190:                            ;   in Loop: Header=BB6_8433 Depth=4
	v_mov_b32_e32 v24, v19
; %bb.10191:                            ;   in Loop: Header=BB6_8433 Depth=4
	s_or_b64 exec, exec, s[28:29]
.LBB6_10192:                            ;   in Loop: Header=BB6_8433 Depth=4
	s_or_b64 exec, exec, s[38:39]
                                        ; implicit-def: $vgpr19
.LBB6_10193:                            ;   in Loop: Header=BB6_8433 Depth=4
	s_andn2_saveexec_b64 s[28:29], s[36:37]
; %bb.10194:                            ;   in Loop: Header=BB6_8433 Depth=4
	v_or_b32_e32 v24, 0x7e, v19
; %bb.10195:                            ;   in Loop: Header=BB6_8433 Depth=4
	s_or_b64 exec, exec, s[28:29]
                                        ; implicit-def: $vgpr4
.LBB6_10196:                            ;   in Loop: Header=BB6_8433 Depth=4
	s_andn2_saveexec_b64 s[28:29], s[34:35]
; %bb.10197:                            ;   in Loop: Header=BB6_8433 Depth=4
	v_or_b32_sdwa v24, v4, s86 dst_sel:DWORD dst_unused:UNUSED_PAD src0_sel:BYTE_3 src1_sel:DWORD
; %bb.10198:                            ;   in Loop: Header=BB6_8433 Depth=4
	s_or_b64 exec, exec, s[28:29]
	buffer_load_dword v4, off, s[0:3], s33 offset:104 ; 4-byte Folded Reload
	v_mov_b32_e32 v5, 0
	s_waitcnt vmcnt(0)
	v_and_b32_e32 v14, 0xff, v4
	v_cmp_ne_u16_e32 vcc, 0, v14
	v_mov_b32_e32 v4, 0
	s_and_saveexec_b64 s[28:29], vcc
	s_cbranch_execz .LBB6_10204
; %bb.10199:                            ;   in Loop: Header=BB6_8433 Depth=4
	v_cmp_ne_u16_e32 vcc, s96, v14
	v_bfrev_b32_e32 v5, 1
	s_and_saveexec_b64 s[34:35], vcc
	s_cbranch_execz .LBB6_10203
; %bb.10200:                            ;   in Loop: Header=BB6_8433 Depth=4
	buffer_load_dword v26, off, s[0:3], s33 offset:104 ; 4-byte Folded Reload
	v_mov_b32_e32 v5, 0x7f800001
	s_waitcnt vmcnt(0)
	v_and_b32_e32 v15, 0x7f, v26
	v_cmp_ne_u32_e32 vcc, s86, v15
	s_and_saveexec_b64 s[36:37], vcc
	s_cbranch_execz .LBB6_10202
; %bb.10201:                            ;   in Loop: Header=BB6_8433 Depth=4
	v_and_b32_e32 v5, 7, v14
	v_lshrrev_b32_e32 v19, 3, v15
	v_cmp_gt_u32_e32 vcc, 8, v15
	v_ffbh_u32_e32 v15, v5
	v_min_u32_e32 v25, 32, v15
	v_subrev_u32_e32 v15, 28, v25
	v_lshlrev_b64 v[14:15], v15, v[14:15]
	v_sub_u32_e32 v15, 29, v25
	v_and_b32_e32 v14, 7, v14
	v_cndmask_b32_e32 v15, v19, v15, vcc
	v_cndmask_b32_e32 v5, v5, v14, vcc
	v_lshlrev_b32_e32 v14, 24, v26
	v_bfrev_b32_e32 v19, 60
	v_lshlrev_b32_e32 v5, 20, v5
	v_and_b32_e32 v14, 0x80000000, v14
	v_lshl_add_u32 v15, v15, 23, v19
	v_or3_b32 v5, v14, v15, v5
.LBB6_10202:                            ;   in Loop: Header=BB6_8433 Depth=4
	s_or_b64 exec, exec, s[36:37]
.LBB6_10203:                            ;   in Loop: Header=BB6_8433 Depth=4
	s_or_b64 exec, exec, s[34:35]
.LBB6_10204:                            ;   in Loop: Header=BB6_8433 Depth=4
	s_or_b64 exec, exec, s[28:29]
	buffer_load_dword v14, off, s[0:3], s33 offset:152 ; 4-byte Folded Reload
	s_waitcnt vmcnt(0)
	v_and_b32_e32 v14, 0xff, v14
	v_cmp_ne_u16_e32 vcc, 0, v14
	s_and_saveexec_b64 s[28:29], vcc
	s_cbranch_execz .LBB6_10210
; %bb.10205:                            ;   in Loop: Header=BB6_8433 Depth=4
	v_cmp_ne_u16_e32 vcc, s96, v14
	v_bfrev_b32_e32 v4, 1
	s_and_saveexec_b64 s[34:35], vcc
	s_cbranch_execz .LBB6_10209
; %bb.10206:                            ;   in Loop: Header=BB6_8433 Depth=4
	buffer_load_dword v26, off, s[0:3], s33 offset:152 ; 4-byte Folded Reload
	v_mov_b32_e32 v4, 0x7f800001
	s_waitcnt vmcnt(0)
	v_and_b32_e32 v15, 0x7f, v26
	v_cmp_ne_u32_e32 vcc, s86, v15
	s_and_saveexec_b64 s[36:37], vcc
	s_cbranch_execz .LBB6_10208
; %bb.10207:                            ;   in Loop: Header=BB6_8433 Depth=4
	v_and_b32_e32 v4, 7, v14
	v_lshrrev_b32_e32 v19, 3, v15
	v_cmp_gt_u32_e32 vcc, 8, v15
	v_ffbh_u32_e32 v15, v4
	v_min_u32_e32 v25, 32, v15
	v_subrev_u32_e32 v15, 28, v25
	v_lshlrev_b64 v[14:15], v15, v[14:15]
	v_sub_u32_e32 v15, 29, v25
	v_and_b32_e32 v14, 7, v14
	v_cndmask_b32_e32 v15, v19, v15, vcc
	v_cndmask_b32_e32 v4, v4, v14, vcc
	v_lshlrev_b32_e32 v14, 24, v26
	v_bfrev_b32_e32 v19, 60
	v_lshlrev_b32_e32 v4, 20, v4
	v_and_b32_e32 v14, 0x80000000, v14
	v_lshl_add_u32 v15, v15, 23, v19
	v_or3_b32 v4, v14, v15, v4
.LBB6_10208:                            ;   in Loop: Header=BB6_8433 Depth=4
	s_or_b64 exec, exec, s[36:37]
.LBB6_10209:                            ;   in Loop: Header=BB6_8433 Depth=4
	s_or_b64 exec, exec, s[34:35]
.LBB6_10210:                            ;   in Loop: Header=BB6_8433 Depth=4
	s_or_b64 exec, exec, s[28:29]
	v_add_f32_e32 v4, v5, v4
	v_and_b32_e32 v50, 0x7f800000, v4
	v_cmp_ne_u64_e32 vcc, s[76:77], v[50:51]
                                        ; implicit-def: $vgpr25
	s_and_saveexec_b64 s[28:29], vcc
	s_xor_b64 s[34:35], exec, s[28:29]
	s_cbranch_execz .LBB6_10228
; %bb.10211:                            ;   in Loop: Header=BB6_8433 Depth=4
	v_and_b32_e32 v50, 0x7fffffff, v4
	v_cmp_gt_u64_e32 vcc, s[78:79], v[50:51]
	v_and_b32_sdwa v19, v4, s96 dst_sel:DWORD dst_unused:UNUSED_PAD src0_sel:BYTE_3 src1_sel:DWORD
                                        ; implicit-def: $vgpr25
	s_and_saveexec_b64 s[28:29], vcc
	s_xor_b64 s[36:37], exec, s[28:29]
	s_cbranch_execz .LBB6_10225
; %bb.10212:                            ;   in Loop: Header=BB6_8433 Depth=4
	v_cmp_ne_u32_e32 vcc, 0, v4
	v_mov_b32_e32 v25, 0
	s_and_saveexec_b64 s[38:39], vcc
	s_cbranch_execz .LBB6_10224
; %bb.10213:                            ;   in Loop: Header=BB6_8433 Depth=4
	v_bfe_u32 v25, v4, 23, 8
	v_and_b32_e32 v5, 0x7fffff, v4
	v_cmp_gt_u32_e64 s[28:29], s97, v25
	v_sub_u32_e32 v4, 0x79, v25
	v_cmp_eq_u32_e32 vcc, 0, v25
	v_cndmask_b32_e64 v4, 0, v4, s[28:29]
	v_mov_b32_e32 v15, 0x78
	v_cndmask_b32_e32 v26, v4, v15, vcc
	v_or_b32_e32 v14, 0x800000, v5
	v_add_u32_e32 v4, 20, v26
	v_cndmask_b32_e32 v50, v14, v5, vcc
	v_lshlrev_b64 v[4:5], v4, -1
	v_add_u32_e32 v14, 19, v26
	v_lshlrev_b64 v[14:15], v14, 1
	v_bfi_b32 v5, v5, 0, 0
	v_bfi_b32 v4, v4, 0, v50
	v_cmp_eq_u64_e64 s[28:29], v[4:5], v[14:15]
	v_lshrrev_b64 v[14:15], v26, v[50:51]
	v_mov_b32_e32 v4, v14
	v_mov_b32_e32 v5, v15
	s_and_saveexec_b64 s[48:49], s[28:29]
; %bb.10214:                            ;   in Loop: Header=BB6_8433 Depth=4
	v_bfe_u32 v4, v14, 20, 1
	v_add_co_u32_e64 v4, s[28:29], v14, v4
	v_add_co_u32_e64 v4, s[28:29], -1, v4
; %bb.10215:                            ;   in Loop: Header=BB6_8433 Depth=4
	s_or_b64 exec, exec, s[48:49]
	v_add_u32_e32 v5, 0xffffff81, v25
	v_mov_b32_e32 v15, 0xffffff82
	v_cndmask_b32_e32 v5, v5, v15, vcc
	v_lshrrev_b32_e32 v15, 23, v14
	v_add3_u32 v25, v26, v5, v15
	v_add_u32_e32 v5, 6, v25
	v_and_b32_e32 v4, 0xfffff, v4
	v_add_u32_e32 v50, v4, v14
	v_cmp_ne_u32_e32 vcc, 0, v5
                                        ; implicit-def: $vgpr14_vgpr15
                                        ; implicit-def: $vgpr4
	s_and_saveexec_b64 s[28:29], vcc
	s_xor_b64 s[28:29], exec, s[28:29]
; %bb.10216:                            ;   in Loop: Header=BB6_8433 Depth=4
	v_cmp_lt_u64_e32 vcc, s[88:89], v[50:51]
	v_add_u32_e32 v4, 7, v25
	v_cndmask_b32_e32 v4, v5, v4, vcc
	v_cndmask_b32_e64 v5, 0, 1, vcc
	v_lshrrev_b64 v[14:15], v5, v[50:51]
; %bb.10217:                            ;   in Loop: Header=BB6_8433 Depth=4
	s_andn2_saveexec_b64 s[28:29], s[28:29]
; %bb.10218:                            ;   in Loop: Header=BB6_8433 Depth=4
	v_mov_b32_e32 v14, v50
	v_mov_b32_e32 v15, v51
	v_bfe_u32 v4, v50, 23, 1
; %bb.10219:                            ;   in Loop: Header=BB6_8433 Depth=4
	s_or_b64 exec, exec, s[28:29]
	v_lshrrev_b64 v[14:15], 20, v[14:15]
	v_cmp_gt_i32_e32 vcc, 16, v4
	v_cndmask_b32_e32 v15, 0, v15, vcc
	v_cndmask_b32_e32 v14, 7, v14, vcc
	v_cmp_ne_u64_e32 vcc, 0, v[14:15]
	v_cmp_ne_u32_e64 s[28:29], 0, v4
	s_or_b64 s[28:29], s[28:29], vcc
                                        ; implicit-def: $vgpr25
	s_and_saveexec_b64 vcc, s[28:29]
	s_xor_b64 s[28:29], exec, vcc
; %bb.10220:                            ;   in Loop: Header=BB6_8433 Depth=4
	v_min_i32_e32 v4, 15, v4
	v_lshl_or_b32 v4, v4, 3, v19
	v_and_or_b32 v25, v14, 7, v4
                                        ; implicit-def: $vgpr19
; %bb.10221:                            ;   in Loop: Header=BB6_8433 Depth=4
	s_andn2_saveexec_b64 s[28:29], s[28:29]
; %bb.10222:                            ;   in Loop: Header=BB6_8433 Depth=4
	v_mov_b32_e32 v25, v19
; %bb.10223:                            ;   in Loop: Header=BB6_8433 Depth=4
	s_or_b64 exec, exec, s[28:29]
.LBB6_10224:                            ;   in Loop: Header=BB6_8433 Depth=4
	s_or_b64 exec, exec, s[38:39]
                                        ; implicit-def: $vgpr19
.LBB6_10225:                            ;   in Loop: Header=BB6_8433 Depth=4
	s_andn2_saveexec_b64 s[28:29], s[36:37]
; %bb.10226:                            ;   in Loop: Header=BB6_8433 Depth=4
	v_or_b32_e32 v25, 0x7e, v19
; %bb.10227:                            ;   in Loop: Header=BB6_8433 Depth=4
	s_or_b64 exec, exec, s[28:29]
                                        ; implicit-def: $vgpr4
.LBB6_10228:                            ;   in Loop: Header=BB6_8433 Depth=4
	s_andn2_saveexec_b64 s[28:29], s[34:35]
; %bb.10229:                            ;   in Loop: Header=BB6_8433 Depth=4
	v_or_b32_sdwa v25, v4, s86 dst_sel:DWORD dst_unused:UNUSED_PAD src0_sel:BYTE_3 src1_sel:DWORD
; %bb.10230:                            ;   in Loop: Header=BB6_8433 Depth=4
	s_or_b64 exec, exec, s[28:29]
	buffer_load_dword v4, off, s[0:3], s33 offset:100 ; 4-byte Folded Reload
	v_mov_b32_e32 v5, 0
	s_waitcnt vmcnt(0)
	v_and_b32_e32 v14, 0xff, v4
	v_cmp_ne_u16_e32 vcc, 0, v14
	v_mov_b32_e32 v4, 0
	s_and_saveexec_b64 s[28:29], vcc
	s_cbranch_execz .LBB6_10236
; %bb.10231:                            ;   in Loop: Header=BB6_8433 Depth=4
	v_cmp_ne_u16_e32 vcc, s96, v14
	v_bfrev_b32_e32 v5, 1
	s_and_saveexec_b64 s[34:35], vcc
	s_cbranch_execz .LBB6_10235
; %bb.10232:                            ;   in Loop: Header=BB6_8433 Depth=4
	buffer_load_dword v28, off, s[0:3], s33 offset:100 ; 4-byte Folded Reload
	v_mov_b32_e32 v5, 0x7f800001
	s_waitcnt vmcnt(0)
	v_and_b32_e32 v15, 0x7f, v28
	v_cmp_ne_u32_e32 vcc, s86, v15
	s_and_saveexec_b64 s[36:37], vcc
	s_cbranch_execz .LBB6_10234
; %bb.10233:                            ;   in Loop: Header=BB6_8433 Depth=4
	v_and_b32_e32 v5, 7, v14
	v_lshrrev_b32_e32 v19, 3, v15
	v_cmp_gt_u32_e32 vcc, 8, v15
	v_ffbh_u32_e32 v15, v5
	v_min_u32_e32 v26, 32, v15
	v_subrev_u32_e32 v15, 28, v26
	v_lshlrev_b64 v[14:15], v15, v[14:15]
	v_sub_u32_e32 v15, 29, v26
	v_and_b32_e32 v14, 7, v14
	v_cndmask_b32_e32 v15, v19, v15, vcc
	v_cndmask_b32_e32 v5, v5, v14, vcc
	v_lshlrev_b32_e32 v14, 24, v28
	v_bfrev_b32_e32 v19, 60
	v_lshlrev_b32_e32 v5, 20, v5
	v_and_b32_e32 v14, 0x80000000, v14
	v_lshl_add_u32 v15, v15, 23, v19
	v_or3_b32 v5, v14, v15, v5
.LBB6_10234:                            ;   in Loop: Header=BB6_8433 Depth=4
	s_or_b64 exec, exec, s[36:37]
.LBB6_10235:                            ;   in Loop: Header=BB6_8433 Depth=4
	s_or_b64 exec, exec, s[34:35]
.LBB6_10236:                            ;   in Loop: Header=BB6_8433 Depth=4
	s_or_b64 exec, exec, s[28:29]
	buffer_load_dword v14, off, s[0:3], s33 offset:148 ; 4-byte Folded Reload
	s_waitcnt vmcnt(0)
	v_and_b32_e32 v14, 0xff, v14
	v_cmp_ne_u16_e32 vcc, 0, v14
	s_and_saveexec_b64 s[28:29], vcc
	s_cbranch_execz .LBB6_10242
; %bb.10237:                            ;   in Loop: Header=BB6_8433 Depth=4
	v_cmp_ne_u16_e32 vcc, s96, v14
	v_bfrev_b32_e32 v4, 1
	s_and_saveexec_b64 s[34:35], vcc
	s_cbranch_execz .LBB6_10241
; %bb.10238:                            ;   in Loop: Header=BB6_8433 Depth=4
	buffer_load_dword v28, off, s[0:3], s33 offset:148 ; 4-byte Folded Reload
	v_mov_b32_e32 v4, 0x7f800001
	s_waitcnt vmcnt(0)
	v_and_b32_e32 v15, 0x7f, v28
	v_cmp_ne_u32_e32 vcc, s86, v15
	s_and_saveexec_b64 s[36:37], vcc
	s_cbranch_execz .LBB6_10240
; %bb.10239:                            ;   in Loop: Header=BB6_8433 Depth=4
	v_and_b32_e32 v4, 7, v14
	v_lshrrev_b32_e32 v19, 3, v15
	v_cmp_gt_u32_e32 vcc, 8, v15
	v_ffbh_u32_e32 v15, v4
	v_min_u32_e32 v26, 32, v15
	v_subrev_u32_e32 v15, 28, v26
	v_lshlrev_b64 v[14:15], v15, v[14:15]
	v_sub_u32_e32 v15, 29, v26
	v_and_b32_e32 v14, 7, v14
	v_cndmask_b32_e32 v15, v19, v15, vcc
	v_cndmask_b32_e32 v4, v4, v14, vcc
	v_lshlrev_b32_e32 v14, 24, v28
	v_bfrev_b32_e32 v19, 60
	v_lshlrev_b32_e32 v4, 20, v4
	v_and_b32_e32 v14, 0x80000000, v14
	v_lshl_add_u32 v15, v15, 23, v19
	v_or3_b32 v4, v14, v15, v4
.LBB6_10240:                            ;   in Loop: Header=BB6_8433 Depth=4
	s_or_b64 exec, exec, s[36:37]
.LBB6_10241:                            ;   in Loop: Header=BB6_8433 Depth=4
	s_or_b64 exec, exec, s[34:35]
.LBB6_10242:                            ;   in Loop: Header=BB6_8433 Depth=4
	s_or_b64 exec, exec, s[28:29]
	v_add_f32_e32 v4, v5, v4
	v_and_b32_e32 v50, 0x7f800000, v4
	v_cmp_ne_u64_e32 vcc, s[76:77], v[50:51]
                                        ; implicit-def: $vgpr26
	s_and_saveexec_b64 s[28:29], vcc
	s_xor_b64 s[34:35], exec, s[28:29]
	s_cbranch_execz .LBB6_10260
; %bb.10243:                            ;   in Loop: Header=BB6_8433 Depth=4
	v_and_b32_e32 v50, 0x7fffffff, v4
	v_cmp_gt_u64_e32 vcc, s[78:79], v[50:51]
	v_and_b32_sdwa v19, v4, s96 dst_sel:DWORD dst_unused:UNUSED_PAD src0_sel:BYTE_3 src1_sel:DWORD
                                        ; implicit-def: $vgpr26
	s_and_saveexec_b64 s[28:29], vcc
	s_xor_b64 s[36:37], exec, s[28:29]
	s_cbranch_execz .LBB6_10257
; %bb.10244:                            ;   in Loop: Header=BB6_8433 Depth=4
	v_cmp_ne_u32_e32 vcc, 0, v4
	v_mov_b32_e32 v26, 0
	s_and_saveexec_b64 s[38:39], vcc
	s_cbranch_execz .LBB6_10256
; %bb.10245:                            ;   in Loop: Header=BB6_8433 Depth=4
	v_bfe_u32 v26, v4, 23, 8
	v_and_b32_e32 v5, 0x7fffff, v4
	v_cmp_gt_u32_e64 s[28:29], s97, v26
	v_sub_u32_e32 v4, 0x79, v26
	v_cmp_eq_u32_e32 vcc, 0, v26
	v_cndmask_b32_e64 v4, 0, v4, s[28:29]
	v_mov_b32_e32 v15, 0x78
	v_cndmask_b32_e32 v28, v4, v15, vcc
	v_or_b32_e32 v14, 0x800000, v5
	v_add_u32_e32 v4, 20, v28
	v_cndmask_b32_e32 v50, v14, v5, vcc
	v_lshlrev_b64 v[4:5], v4, -1
	v_add_u32_e32 v14, 19, v28
	v_lshlrev_b64 v[14:15], v14, 1
	v_bfi_b32 v5, v5, 0, 0
	v_bfi_b32 v4, v4, 0, v50
	v_cmp_eq_u64_e64 s[28:29], v[4:5], v[14:15]
	v_lshrrev_b64 v[14:15], v28, v[50:51]
	v_mov_b32_e32 v4, v14
	v_mov_b32_e32 v5, v15
	s_and_saveexec_b64 s[48:49], s[28:29]
; %bb.10246:                            ;   in Loop: Header=BB6_8433 Depth=4
	v_bfe_u32 v4, v14, 20, 1
	v_add_co_u32_e64 v4, s[28:29], v14, v4
	v_add_co_u32_e64 v4, s[28:29], -1, v4
; %bb.10247:                            ;   in Loop: Header=BB6_8433 Depth=4
	s_or_b64 exec, exec, s[48:49]
	v_add_u32_e32 v5, 0xffffff81, v26
	v_mov_b32_e32 v15, 0xffffff82
	v_cndmask_b32_e32 v5, v5, v15, vcc
	v_lshrrev_b32_e32 v15, 23, v14
	v_add3_u32 v26, v28, v5, v15
	v_add_u32_e32 v5, 6, v26
	v_and_b32_e32 v4, 0xfffff, v4
	v_add_u32_e32 v50, v4, v14
	v_cmp_ne_u32_e32 vcc, 0, v5
                                        ; implicit-def: $vgpr14_vgpr15
                                        ; implicit-def: $vgpr4
	s_and_saveexec_b64 s[28:29], vcc
	s_xor_b64 s[28:29], exec, s[28:29]
; %bb.10248:                            ;   in Loop: Header=BB6_8433 Depth=4
	v_cmp_lt_u64_e32 vcc, s[88:89], v[50:51]
	v_add_u32_e32 v4, 7, v26
	v_cndmask_b32_e32 v4, v5, v4, vcc
	v_cndmask_b32_e64 v5, 0, 1, vcc
	v_lshrrev_b64 v[14:15], v5, v[50:51]
; %bb.10249:                            ;   in Loop: Header=BB6_8433 Depth=4
	s_andn2_saveexec_b64 s[28:29], s[28:29]
; %bb.10250:                            ;   in Loop: Header=BB6_8433 Depth=4
	v_mov_b32_e32 v14, v50
	v_mov_b32_e32 v15, v51
	v_bfe_u32 v4, v50, 23, 1
; %bb.10251:                            ;   in Loop: Header=BB6_8433 Depth=4
	s_or_b64 exec, exec, s[28:29]
	v_lshrrev_b64 v[14:15], 20, v[14:15]
	v_cmp_gt_i32_e32 vcc, 16, v4
	v_cndmask_b32_e32 v15, 0, v15, vcc
	v_cndmask_b32_e32 v14, 7, v14, vcc
	v_cmp_ne_u64_e32 vcc, 0, v[14:15]
	v_cmp_ne_u32_e64 s[28:29], 0, v4
	s_or_b64 s[28:29], s[28:29], vcc
                                        ; implicit-def: $vgpr26
	s_and_saveexec_b64 vcc, s[28:29]
	s_xor_b64 s[28:29], exec, vcc
; %bb.10252:                            ;   in Loop: Header=BB6_8433 Depth=4
	v_min_i32_e32 v4, 15, v4
	v_lshl_or_b32 v4, v4, 3, v19
	v_and_or_b32 v26, v14, 7, v4
                                        ; implicit-def: $vgpr19
; %bb.10253:                            ;   in Loop: Header=BB6_8433 Depth=4
	s_andn2_saveexec_b64 s[28:29], s[28:29]
; %bb.10254:                            ;   in Loop: Header=BB6_8433 Depth=4
	v_mov_b32_e32 v26, v19
; %bb.10255:                            ;   in Loop: Header=BB6_8433 Depth=4
	s_or_b64 exec, exec, s[28:29]
.LBB6_10256:                            ;   in Loop: Header=BB6_8433 Depth=4
	s_or_b64 exec, exec, s[38:39]
                                        ; implicit-def: $vgpr19
.LBB6_10257:                            ;   in Loop: Header=BB6_8433 Depth=4
	s_andn2_saveexec_b64 s[28:29], s[36:37]
; %bb.10258:                            ;   in Loop: Header=BB6_8433 Depth=4
	v_or_b32_e32 v26, 0x7e, v19
; %bb.10259:                            ;   in Loop: Header=BB6_8433 Depth=4
	s_or_b64 exec, exec, s[28:29]
                                        ; implicit-def: $vgpr4
.LBB6_10260:                            ;   in Loop: Header=BB6_8433 Depth=4
	s_andn2_saveexec_b64 s[28:29], s[34:35]
; %bb.10261:                            ;   in Loop: Header=BB6_8433 Depth=4
	v_or_b32_sdwa v26, v4, s86 dst_sel:DWORD dst_unused:UNUSED_PAD src0_sel:BYTE_3 src1_sel:DWORD
; %bb.10262:                            ;   in Loop: Header=BB6_8433 Depth=4
	s_or_b64 exec, exec, s[28:29]
	buffer_load_dword v4, off, s[0:3], s33 offset:96 ; 4-byte Folded Reload
	v_mov_b32_e32 v5, 0
	s_waitcnt vmcnt(0)
	v_and_b32_e32 v14, 0xff, v4
	v_cmp_ne_u16_e32 vcc, 0, v14
	v_mov_b32_e32 v4, 0
	s_and_saveexec_b64 s[28:29], vcc
	s_cbranch_execz .LBB6_10268
; %bb.10263:                            ;   in Loop: Header=BB6_8433 Depth=4
	v_cmp_ne_u16_e32 vcc, s96, v14
	v_bfrev_b32_e32 v5, 1
	s_and_saveexec_b64 s[34:35], vcc
	s_cbranch_execz .LBB6_10267
; %bb.10264:                            ;   in Loop: Header=BB6_8433 Depth=4
	buffer_load_dword v29, off, s[0:3], s33 offset:96 ; 4-byte Folded Reload
	v_mov_b32_e32 v5, 0x7f800001
	s_waitcnt vmcnt(0)
	v_and_b32_e32 v15, 0x7f, v29
	v_cmp_ne_u32_e32 vcc, s86, v15
	s_and_saveexec_b64 s[36:37], vcc
	s_cbranch_execz .LBB6_10266
; %bb.10265:                            ;   in Loop: Header=BB6_8433 Depth=4
	v_and_b32_e32 v5, 7, v14
	v_lshrrev_b32_e32 v19, 3, v15
	v_cmp_gt_u32_e32 vcc, 8, v15
	v_ffbh_u32_e32 v15, v5
	v_min_u32_e32 v28, 32, v15
	v_subrev_u32_e32 v15, 28, v28
	v_lshlrev_b64 v[14:15], v15, v[14:15]
	v_sub_u32_e32 v15, 29, v28
	v_and_b32_e32 v14, 7, v14
	v_cndmask_b32_e32 v15, v19, v15, vcc
	v_cndmask_b32_e32 v5, v5, v14, vcc
	v_lshlrev_b32_e32 v14, 24, v29
	v_bfrev_b32_e32 v19, 60
	v_lshlrev_b32_e32 v5, 20, v5
	v_and_b32_e32 v14, 0x80000000, v14
	v_lshl_add_u32 v15, v15, 23, v19
	v_or3_b32 v5, v14, v15, v5
.LBB6_10266:                            ;   in Loop: Header=BB6_8433 Depth=4
	s_or_b64 exec, exec, s[36:37]
.LBB6_10267:                            ;   in Loop: Header=BB6_8433 Depth=4
	s_or_b64 exec, exec, s[34:35]
.LBB6_10268:                            ;   in Loop: Header=BB6_8433 Depth=4
	s_or_b64 exec, exec, s[28:29]
	buffer_load_dword v14, off, s[0:3], s33 offset:144 ; 4-byte Folded Reload
	s_waitcnt vmcnt(0)
	v_and_b32_e32 v14, 0xff, v14
	v_cmp_ne_u16_e32 vcc, 0, v14
	s_and_saveexec_b64 s[28:29], vcc
	s_cbranch_execz .LBB6_10274
; %bb.10269:                            ;   in Loop: Header=BB6_8433 Depth=4
	v_cmp_ne_u16_e32 vcc, s96, v14
	v_bfrev_b32_e32 v4, 1
	s_and_saveexec_b64 s[34:35], vcc
	s_cbranch_execz .LBB6_10273
; %bb.10270:                            ;   in Loop: Header=BB6_8433 Depth=4
	buffer_load_dword v29, off, s[0:3], s33 offset:144 ; 4-byte Folded Reload
	v_mov_b32_e32 v4, 0x7f800001
	s_waitcnt vmcnt(0)
	v_and_b32_e32 v15, 0x7f, v29
	v_cmp_ne_u32_e32 vcc, s86, v15
	s_and_saveexec_b64 s[36:37], vcc
	s_cbranch_execz .LBB6_10272
; %bb.10271:                            ;   in Loop: Header=BB6_8433 Depth=4
	v_and_b32_e32 v4, 7, v14
	v_lshrrev_b32_e32 v19, 3, v15
	v_cmp_gt_u32_e32 vcc, 8, v15
	v_ffbh_u32_e32 v15, v4
	v_min_u32_e32 v28, 32, v15
	v_subrev_u32_e32 v15, 28, v28
	v_lshlrev_b64 v[14:15], v15, v[14:15]
	v_sub_u32_e32 v15, 29, v28
	v_and_b32_e32 v14, 7, v14
	v_cndmask_b32_e32 v15, v19, v15, vcc
	v_cndmask_b32_e32 v4, v4, v14, vcc
	v_lshlrev_b32_e32 v14, 24, v29
	v_bfrev_b32_e32 v19, 60
	v_lshlrev_b32_e32 v4, 20, v4
	v_and_b32_e32 v14, 0x80000000, v14
	v_lshl_add_u32 v15, v15, 23, v19
	v_or3_b32 v4, v14, v15, v4
.LBB6_10272:                            ;   in Loop: Header=BB6_8433 Depth=4
	s_or_b64 exec, exec, s[36:37]
.LBB6_10273:                            ;   in Loop: Header=BB6_8433 Depth=4
	s_or_b64 exec, exec, s[34:35]
.LBB6_10274:                            ;   in Loop: Header=BB6_8433 Depth=4
	s_or_b64 exec, exec, s[28:29]
	v_add_f32_e32 v5, v5, v4
	v_and_b32_e32 v50, 0x7f800000, v5
	v_cmp_ne_u64_e32 vcc, s[76:77], v[50:51]
                                        ; implicit-def: $vgpr4
	s_and_saveexec_b64 s[28:29], vcc
	s_xor_b64 s[34:35], exec, s[28:29]
	s_cbranch_execz .LBB6_10292
; %bb.10275:                            ;   in Loop: Header=BB6_8433 Depth=4
	v_and_b32_e32 v50, 0x7fffffff, v5
	v_cmp_gt_u64_e32 vcc, s[78:79], v[50:51]
	v_and_b32_sdwa v19, v5, s96 dst_sel:DWORD dst_unused:UNUSED_PAD src0_sel:BYTE_3 src1_sel:DWORD
                                        ; implicit-def: $vgpr4
	s_and_saveexec_b64 s[28:29], vcc
	s_xor_b64 s[36:37], exec, s[28:29]
	s_cbranch_execz .LBB6_10289
; %bb.10276:                            ;   in Loop: Header=BB6_8433 Depth=4
	v_cmp_ne_u32_e32 vcc, 0, v5
	v_mov_b32_e32 v4, 0
	s_and_saveexec_b64 s[38:39], vcc
	s_cbranch_execz .LBB6_10288
; %bb.10277:                            ;   in Loop: Header=BB6_8433 Depth=4
	v_bfe_u32 v28, v5, 23, 8
	v_and_b32_e32 v4, 0x7fffff, v5
	v_cmp_gt_u32_e64 s[28:29], s97, v28
	v_sub_u32_e32 v5, 0x79, v28
	v_cmp_eq_u32_e32 vcc, 0, v28
	v_cndmask_b32_e64 v5, 0, v5, s[28:29]
	v_mov_b32_e32 v15, 0x78
	v_or_b32_e32 v14, 0x800000, v4
	v_cndmask_b32_e32 v29, v5, v15, vcc
	v_cndmask_b32_e32 v50, v14, v4, vcc
	v_add_u32_e32 v4, 20, v29
	v_lshlrev_b64 v[4:5], v4, -1
	v_add_u32_e32 v14, 19, v29
	v_lshlrev_b64 v[14:15], v14, 1
	v_bfi_b32 v5, v5, 0, 0
	v_bfi_b32 v4, v4, 0, v50
	v_cmp_eq_u64_e64 s[28:29], v[4:5], v[14:15]
	v_lshrrev_b64 v[14:15], v29, v[50:51]
	v_mov_b32_e32 v4, v14
	v_mov_b32_e32 v5, v15
	s_and_saveexec_b64 s[48:49], s[28:29]
; %bb.10278:                            ;   in Loop: Header=BB6_8433 Depth=4
	v_bfe_u32 v4, v14, 20, 1
	v_add_co_u32_e64 v4, s[28:29], v14, v4
	v_add_co_u32_e64 v4, s[28:29], -1, v4
; %bb.10279:                            ;   in Loop: Header=BB6_8433 Depth=4
	s_or_b64 exec, exec, s[48:49]
	v_add_u32_e32 v5, 0xffffff81, v28
	v_mov_b32_e32 v15, 0xffffff82
	v_cndmask_b32_e32 v5, v5, v15, vcc
	v_lshrrev_b32_e32 v15, 23, v14
	v_add3_u32 v29, v29, v5, v15
	v_add_u32_e32 v28, 6, v29
	v_and_b32_e32 v4, 0xfffff, v4
	v_add_u32_e32 v50, v4, v14
	v_cmp_ne_u32_e32 vcc, 0, v28
                                        ; implicit-def: $vgpr14_vgpr15
                                        ; implicit-def: $vgpr5
	s_and_saveexec_b64 s[28:29], vcc
	s_xor_b64 s[28:29], exec, s[28:29]
; %bb.10280:                            ;   in Loop: Header=BB6_8433 Depth=4
	v_cmp_lt_u64_e32 vcc, s[88:89], v[50:51]
	v_add_u32_e32 v4, 7, v29
	v_cndmask_b32_e32 v5, v28, v4, vcc
	v_cndmask_b32_e64 v4, 0, 1, vcc
	v_lshrrev_b64 v[14:15], v4, v[50:51]
; %bb.10281:                            ;   in Loop: Header=BB6_8433 Depth=4
	s_andn2_saveexec_b64 s[28:29], s[28:29]
; %bb.10282:                            ;   in Loop: Header=BB6_8433 Depth=4
	v_mov_b32_e32 v14, v50
	v_mov_b32_e32 v15, v51
	v_bfe_u32 v5, v50, 23, 1
; %bb.10283:                            ;   in Loop: Header=BB6_8433 Depth=4
	s_or_b64 exec, exec, s[28:29]
	v_lshrrev_b64 v[14:15], 20, v[14:15]
	v_cmp_gt_i32_e32 vcc, 16, v5
	v_cndmask_b32_e32 v15, 0, v15, vcc
	v_cndmask_b32_e32 v14, 7, v14, vcc
	v_cmp_ne_u64_e32 vcc, 0, v[14:15]
	v_cmp_ne_u32_e64 s[28:29], 0, v5
	s_or_b64 s[28:29], s[28:29], vcc
                                        ; implicit-def: $vgpr4
	s_and_saveexec_b64 vcc, s[28:29]
	s_xor_b64 s[28:29], exec, vcc
; %bb.10284:                            ;   in Loop: Header=BB6_8433 Depth=4
	v_min_i32_e32 v4, 15, v5
	v_lshl_or_b32 v4, v4, 3, v19
	v_and_or_b32 v4, v14, 7, v4
                                        ; implicit-def: $vgpr19
; %bb.10285:                            ;   in Loop: Header=BB6_8433 Depth=4
	s_andn2_saveexec_b64 s[28:29], s[28:29]
; %bb.10286:                            ;   in Loop: Header=BB6_8433 Depth=4
	v_mov_b32_e32 v4, v19
; %bb.10287:                            ;   in Loop: Header=BB6_8433 Depth=4
	s_or_b64 exec, exec, s[28:29]
.LBB6_10288:                            ;   in Loop: Header=BB6_8433 Depth=4
	s_or_b64 exec, exec, s[38:39]
                                        ; implicit-def: $vgpr19
.LBB6_10289:                            ;   in Loop: Header=BB6_8433 Depth=4
	s_andn2_saveexec_b64 s[28:29], s[36:37]
; %bb.10290:                            ;   in Loop: Header=BB6_8433 Depth=4
	v_or_b32_e32 v4, 0x7e, v19
; %bb.10291:                            ;   in Loop: Header=BB6_8433 Depth=4
	s_or_b64 exec, exec, s[28:29]
                                        ; implicit-def: $vgpr5
.LBB6_10292:                            ;   in Loop: Header=BB6_8433 Depth=4
	s_andn2_saveexec_b64 s[28:29], s[34:35]
	s_cbranch_execz .LBB6_8432
; %bb.10293:                            ;   in Loop: Header=BB6_8433 Depth=4
	v_or_b32_sdwa v4, v5, s86 dst_sel:DWORD dst_unused:UNUSED_PAD src0_sel:BYTE_3 src1_sel:DWORD
	s_branch .LBB6_8432
.LBB6_10294:                            ;   in Loop: Header=BB6_4324 Depth=3
	s_or_b64 exec, exec, s[30:31]
	buffer_load_dword v5, off, s[0:3], s33 offset:160 ; 4-byte Folded Reload
	buffer_load_dword v3, off, s[0:3], s33 offset:164 ; 4-byte Folded Reload
	;; [unrolled: 1-line block ×5, first 2 shown]
.LBB6_10295:                            ;   in Loop: Header=BB6_4324 Depth=3
	s_or_b64 exec, exec, s[94:95]
	s_waitcnt vmcnt(0)
	v_lshlrev_b32_e32 v0, 11, v1
	v_cmp_ne_u32_e32 vcc, v3, v0
	s_and_b64 exec, exec, vcc
	s_cbranch_execz .LBB6_10362
; %bb.10296:                            ;   in Loop: Header=BB6_4324 Depth=3
	v_lshlrev_b32_e32 v1, 6, v4
	v_sub_u32_e32 v1, v2, v1
	v_lshlrev_b32_e32 v2, 6, v17
	v_sub_u32_e32 v1, v1, v2
	v_add_u32_e32 v1, v0, v1
	v_sub_u32_e32 v0, v3, v1
	v_cmp_lt_i32_e32 vcc, 0, v0
	s_and_b64 exec, exec, vcc
	s_cbranch_execz .LBB6_10362
; %bb.10297:                            ;   in Loop: Header=BB6_4324 Depth=3
	v_add_u32_e32 v5, v1, v5
	s_trap 2
	ds_read_b128 v[1:4], v0
	v_ashrrev_i32_e32 v6, 31, v5
	s_mov_b64 s[94:95], 0
	s_waitcnt lgkmcnt(0)
	v_add_co_u32_e32 v8, vcc, v1, v5
	v_addc_co_u32_e32 v9, vcc, v2, v6, vcc
	ds_read_b64 v[1:2], v0
	v_add_co_u32_e32 v10, vcc, v3, v5
	v_addc_co_u32_e32 v11, vcc, v4, v6, vcc
	s_waitcnt lgkmcnt(0)
	v_add_co_u32_e32 v12, vcc, v1, v5
	v_addc_co_u32_e32 v13, vcc, v2, v6, vcc
	s_branch .LBB6_10299
.LBB6_10298:                            ;   in Loop: Header=BB6_10299 Depth=4
	s_or_b64 exec, exec, s[28:29]
	buffer_load_dword v1, off, s[0:3], s33 offset:316 ; 4-byte Folded Reload
	s_waitcnt vmcnt(0)
	v_add_co_u32_e32 v8, vcc, v8, v1
	v_addc_co_u32_e32 v9, vcc, 0, v9, vcc
	v_add_co_u32_e32 v10, vcc, v10, v1
	v_addc_co_u32_e32 v11, vcc, 0, v11, vcc
	v_sub_u32_e32 v0, v0, v1
	v_cmp_gt_i32_e32 vcc, 1, v0
	flat_store_byte v[12:13], v2 glc slc
	s_or_b64 s[94:95], vcc, s[94:95]
	v_add_co_u32_e32 v12, vcc, v12, v1
	v_addc_co_u32_e32 v13, vcc, 0, v13, vcc
	s_andn2_b64 exec, exec, s[94:95]
	s_cbranch_execz .LBB6_10362
.LBB6_10299:                            ;   Parent Loop BB6_47 Depth=1
                                        ;     Parent Loop BB6_4321 Depth=2
                                        ;       Parent Loop BB6_4324 Depth=3
                                        ; =>      This Inner Loop Header: Depth=4
	s_trap 2
	ds_read_b64 v[4:5], v0
	s_waitcnt lgkmcnt(0)
	v_cmp_eq_u32_sdwa vcc, v4, v51 src0_sel:BYTE_0 src1_sel:DWORD
	v_readfirstlane_b32 s28, v4
	v_readfirstlane_b32 s29, v5
	s_and_b64 vcc, exec, vcc
	s_cbranch_vccnz .LBB6_10303
; %bb.10300:                            ;   in Loop: Header=BB6_10299 Depth=4
	v_cmp_eq_u32_sdwa vcc, v4, s96 src0_sel:BYTE_0 src1_sel:DWORD
	s_brev_b32 s9, 1
	s_and_b64 vcc, exec, vcc
	s_cbranch_vccnz .LBB6_10304
; %bb.10301:                            ;   in Loop: Header=BB6_10299 Depth=4
	s_and_b32 vcc_lo, s28, 0x7f
	s_cmpk_eq_i32 vcc_lo, 0x7f
	s_mov_b32 s9, 0x7f800001
	s_cbranch_scc1 .LBB6_10304
; %bb.10302:                            ;   in Loop: Header=BB6_10299 Depth=4
	s_and_b32 s9, s28, 7
	s_flbit_i32_b32 s9, s9
	s_min_u32 s9, s9, 32
	s_lshr_b32 vcc_hi, vcc_lo, 3
	s_sub_i32 s30, s9, 28
	s_sub_i32 s9, 29, s9
	s_cmp_lt_u32 vcc_lo, 8
	s_cselect_b32 s9, s9, vcc_hi
	s_cselect_b32 vcc_lo, s30, 0
	s_lshl_b64 vcc, s[28:29], vcc_lo
	s_lshl_b32 s28, s28, 24
	s_lshl_b32 s9, s9, 23
	s_lshl_b32 s29, vcc_lo, 20
	s_and_b32 s28, s28, 0x80000000
	s_add_i32 s9, s9, 0x3c000000
	s_and_b32 s29, s29, 0x700000
	s_or_b32 s9, s28, s9
	s_or_b32 s9, s9, s29
	s_branch .LBB6_10304
.LBB6_10303:                            ;   in Loop: Header=BB6_10299 Depth=4
	s_mov_b32 s9, 0
.LBB6_10304:                            ;   in Loop: Header=BB6_10299 Depth=4
	flat_load_ubyte v1, v[8:9] glc slc
	v_mov_b32_e32 v2, 0
	s_waitcnt vmcnt(0) lgkmcnt(0)
	v_cmp_ne_u16_e32 vcc, 0, v1
	s_and_saveexec_b64 s[28:29], vcc
	s_cbranch_execz .LBB6_10310
; %bb.10305:                            ;   in Loop: Header=BB6_10299 Depth=4
	v_cmp_ne_u16_e32 vcc, s96, v1
	v_bfrev_b32_e32 v2, 1
	s_and_saveexec_b64 s[30:31], vcc
	s_cbranch_execz .LBB6_10309
; %bb.10306:                            ;   in Loop: Header=BB6_10299 Depth=4
	v_and_b32_e32 v14, 0xffff, v1
	v_and_b32_e32 v3, 0x7f, v14
	v_cmp_ne_u32_e32 vcc, s86, v3
	v_mov_b32_e32 v2, 0x7f800001
	s_and_saveexec_b64 s[34:35], vcc
	s_cbranch_execz .LBB6_10308
; %bb.10307:                            ;   in Loop: Header=BB6_10299 Depth=4
	v_and_b32_e32 v4, 7, v14
	v_ffbh_u32_e32 v2, v4
	v_min_u32_e32 v6, 32, v2
	v_subrev_u32_e32 v2, 28, v6
	v_lshrrev_b32_e32 v5, 3, v3
	v_cmp_gt_u32_e32 vcc, 8, v3
	v_lshlrev_b64 v[2:3], v2, v[14:15]
	v_sub_u32_e32 v3, 29, v6
	v_and_b32_e32 v2, 7, v2
	v_cndmask_b32_e32 v3, v5, v3, vcc
	v_cndmask_b32_e32 v2, v4, v2, vcc
	v_lshlrev_b32_e32 v1, 24, v1
	v_bfrev_b32_e32 v4, 60
	v_lshlrev_b32_e32 v2, 20, v2
	v_and_b32_e32 v1, 0x80000000, v1
	v_lshl_add_u32 v3, v3, 23, v4
	v_or3_b32 v2, v1, v3, v2
.LBB6_10308:                            ;   in Loop: Header=BB6_10299 Depth=4
	s_or_b64 exec, exec, s[34:35]
.LBB6_10309:                            ;   in Loop: Header=BB6_10299 Depth=4
	s_or_b64 exec, exec, s[30:31]
.LBB6_10310:                            ;   in Loop: Header=BB6_10299 Depth=4
	s_or_b64 exec, exec, s[28:29]
	v_mul_f32_e32 v3, s9, v2
	v_and_b32_e32 v50, 0x7f800000, v3
	v_cmp_ne_u64_e32 vcc, s[76:77], v[50:51]
                                        ; implicit-def: $vgpr2
	s_and_saveexec_b64 s[28:29], vcc
	s_xor_b64 s[30:31], exec, s[28:29]
	s_cbranch_execz .LBB6_10328
; %bb.10311:                            ;   in Loop: Header=BB6_10299 Depth=4
	v_and_b32_e32 v50, 0x7fffffff, v3
	v_cmp_gt_u64_e32 vcc, s[78:79], v[50:51]
	v_and_b32_sdwa v1, v3, s96 dst_sel:DWORD dst_unused:UNUSED_PAD src0_sel:BYTE_3 src1_sel:DWORD
                                        ; implicit-def: $vgpr2
	s_and_saveexec_b64 s[28:29], vcc
	s_xor_b64 s[34:35], exec, s[28:29]
	s_cbranch_execz .LBB6_10325
; %bb.10312:                            ;   in Loop: Header=BB6_10299 Depth=4
	v_cmp_ne_u32_e32 vcc, 0, v3
	v_mov_b32_e32 v2, 0
	s_and_saveexec_b64 s[36:37], vcc
	s_cbranch_execz .LBB6_10324
; %bb.10313:                            ;   in Loop: Header=BB6_10299 Depth=4
	v_bfe_u32 v2, v3, 23, 8
	v_and_b32_e32 v4, 0x7fffff, v3
	v_cmp_gt_u32_e64 s[28:29], s97, v2
	v_sub_u32_e32 v3, 0x79, v2
	v_cmp_eq_u32_e32 vcc, 0, v2
	v_cndmask_b32_e64 v3, 0, v3, s[28:29]
	v_mov_b32_e32 v6, 0x78
	v_or_b32_e32 v5, 0x800000, v4
	v_cndmask_b32_e32 v3, v3, v6, vcc
	v_cndmask_b32_e32 v50, v5, v4, vcc
	v_add_u32_e32 v4, 20, v3
	v_lshlrev_b64 v[4:5], v4, -1
	v_add_u32_e32 v6, 19, v3
	v_lshlrev_b64 v[6:7], v6, 1
	v_bfi_b32 v5, v5, 0, 0
	v_bfi_b32 v4, v4, 0, v50
	v_lshrrev_b64 v[14:15], v3, v[50:51]
	v_cmp_eq_u64_e64 s[28:29], v[4:5], v[6:7]
	v_mov_b32_e32 v4, v14
	v_mov_b32_e32 v5, v15
	s_and_saveexec_b64 s[38:39], s[28:29]
; %bb.10314:                            ;   in Loop: Header=BB6_10299 Depth=4
	v_bfe_u32 v4, v14, 20, 1
	v_add_co_u32_e64 v4, s[28:29], v14, v4
	v_add_co_u32_e64 v4, s[28:29], -1, v4
; %bb.10315:                            ;   in Loop: Header=BB6_10299 Depth=4
	s_or_b64 exec, exec, s[38:39]
	v_add_u32_e32 v2, 0xffffff81, v2
	v_mov_b32_e32 v5, 0xffffff82
	v_cndmask_b32_e32 v2, v2, v5, vcc
	v_lshrrev_b32_e32 v5, 23, v14
	v_add3_u32 v5, v3, v2, v5
	v_add_u32_e32 v2, 6, v5
	v_and_b32_e32 v3, 0xfffff, v4
	v_add_u32_e32 v50, v3, v14
	v_cmp_ne_u32_e32 vcc, 0, v2
                                        ; implicit-def: $vgpr14_vgpr15
                                        ; implicit-def: $vgpr3
	s_and_saveexec_b64 s[28:29], vcc
	s_xor_b64 s[28:29], exec, s[28:29]
; %bb.10316:                            ;   in Loop: Header=BB6_10299 Depth=4
	v_cmp_lt_u64_e32 vcc, s[88:89], v[50:51]
	v_add_u32_e32 v3, 7, v5
	v_cndmask_b32_e32 v3, v2, v3, vcc
	v_cndmask_b32_e64 v2, 0, 1, vcc
	v_lshrrev_b64 v[14:15], v2, v[50:51]
; %bb.10317:                            ;   in Loop: Header=BB6_10299 Depth=4
	s_andn2_saveexec_b64 s[28:29], s[28:29]
; %bb.10318:                            ;   in Loop: Header=BB6_10299 Depth=4
	v_mov_b32_e32 v14, v50
	v_mov_b32_e32 v15, v51
	v_bfe_u32 v3, v50, 23, 1
; %bb.10319:                            ;   in Loop: Header=BB6_10299 Depth=4
	s_or_b64 exec, exec, s[28:29]
	v_lshrrev_b64 v[4:5], 20, v[14:15]
	v_cmp_gt_i32_e32 vcc, 16, v3
	v_cndmask_b32_e32 v15, 0, v5, vcc
	v_cndmask_b32_e32 v14, 7, v4, vcc
	v_cmp_ne_u64_e32 vcc, 0, v[14:15]
	v_cmp_ne_u32_e64 s[28:29], 0, v3
	s_or_b64 s[28:29], s[28:29], vcc
                                        ; implicit-def: $vgpr2
	s_and_saveexec_b64 vcc, s[28:29]
	s_xor_b64 s[28:29], exec, vcc
; %bb.10320:                            ;   in Loop: Header=BB6_10299 Depth=4
	v_min_i32_e32 v2, 15, v3
	v_lshl_or_b32 v1, v2, 3, v1
	v_and_or_b32 v2, v14, 7, v1
                                        ; implicit-def: $vgpr1
; %bb.10321:                            ;   in Loop: Header=BB6_10299 Depth=4
	s_andn2_saveexec_b64 s[28:29], s[28:29]
; %bb.10322:                            ;   in Loop: Header=BB6_10299 Depth=4
	v_mov_b32_e32 v2, v1
; %bb.10323:                            ;   in Loop: Header=BB6_10299 Depth=4
	s_or_b64 exec, exec, s[28:29]
.LBB6_10324:                            ;   in Loop: Header=BB6_10299 Depth=4
	s_or_b64 exec, exec, s[36:37]
                                        ; implicit-def: $vgpr1
.LBB6_10325:                            ;   in Loop: Header=BB6_10299 Depth=4
	s_andn2_saveexec_b64 s[28:29], s[34:35]
; %bb.10326:                            ;   in Loop: Header=BB6_10299 Depth=4
	v_or_b32_e32 v2, 0x7e, v1
; %bb.10327:                            ;   in Loop: Header=BB6_10299 Depth=4
	s_or_b64 exec, exec, s[28:29]
                                        ; implicit-def: $vgpr3
.LBB6_10328:                            ;   in Loop: Header=BB6_10299 Depth=4
	s_andn2_saveexec_b64 s[28:29], s[30:31]
; %bb.10329:                            ;   in Loop: Header=BB6_10299 Depth=4
	v_or_b32_sdwa v2, v3, s86 dst_sel:DWORD dst_unused:UNUSED_PAD src0_sel:BYTE_3 src1_sel:DWORD
; %bb.10330:                            ;   in Loop: Header=BB6_10299 Depth=4
	s_or_b64 exec, exec, s[28:29]
	flat_load_ubyte v3, v[10:11] glc slc
	v_and_b32_e32 v14, 0xff, v2
	v_cmp_ne_u16_e32 vcc, 0, v14
	v_mov_b32_e32 v1, 0
	v_mov_b32_e32 v4, 0
	s_and_saveexec_b64 s[28:29], vcc
	s_cbranch_execz .LBB6_10336
; %bb.10331:                            ;   in Loop: Header=BB6_10299 Depth=4
	v_cmp_ne_u16_e32 vcc, s96, v14
	v_bfrev_b32_e32 v4, 1
	s_and_saveexec_b64 s[30:31], vcc
	s_cbranch_execz .LBB6_10335
; %bb.10332:                            ;   in Loop: Header=BB6_10299 Depth=4
	v_and_b32_e32 v5, 0x7f, v2
	v_cmp_ne_u32_e32 vcc, s86, v5
	v_mov_b32_e32 v4, 0x7f800001
	s_and_saveexec_b64 s[34:35], vcc
	s_cbranch_execz .LBB6_10334
; %bb.10333:                            ;   in Loop: Header=BB6_10299 Depth=4
	v_and_b32_e32 v6, 7, v14
	v_ffbh_u32_e32 v4, v6
	v_min_u32_e32 v15, 32, v4
	v_subrev_u32_e32 v4, 28, v15
	v_lshrrev_b32_e32 v7, 3, v5
	v_cmp_gt_u32_e32 vcc, 8, v5
	v_lshlrev_b64 v[4:5], v4, v[14:15]
	v_sub_u32_e32 v5, 29, v15
	v_and_b32_e32 v4, 7, v4
	v_cndmask_b32_e32 v5, v7, v5, vcc
	v_cndmask_b32_e32 v4, v6, v4, vcc
	v_lshlrev_b32_e32 v2, 24, v2
	v_bfrev_b32_e32 v6, 60
	v_lshlrev_b32_e32 v4, 20, v4
	v_and_b32_e32 v2, 0x80000000, v2
	v_lshl_add_u32 v5, v5, 23, v6
	v_or3_b32 v4, v2, v5, v4
.LBB6_10334:                            ;   in Loop: Header=BB6_10299 Depth=4
	s_or_b64 exec, exec, s[34:35]
.LBB6_10335:                            ;   in Loop: Header=BB6_10299 Depth=4
	s_or_b64 exec, exec, s[30:31]
.LBB6_10336:                            ;   in Loop: Header=BB6_10299 Depth=4
	s_or_b64 exec, exec, s[28:29]
	s_waitcnt vmcnt(0) lgkmcnt(0)
	v_and_b32_e32 v14, 0xff, v3
	v_cmp_ne_u16_e32 vcc, 0, v14
	s_and_saveexec_b64 s[28:29], vcc
	s_cbranch_execz .LBB6_10342
; %bb.10337:                            ;   in Loop: Header=BB6_10299 Depth=4
	v_cmp_ne_u16_e32 vcc, s96, v14
	v_bfrev_b32_e32 v1, 1
	s_and_saveexec_b64 s[30:31], vcc
	s_cbranch_execz .LBB6_10341
; %bb.10338:                            ;   in Loop: Header=BB6_10299 Depth=4
	v_and_b32_e32 v2, 0x7f, v3
	v_cmp_ne_u32_e32 vcc, s86, v2
	v_mov_b32_e32 v1, 0x7f800001
	s_and_saveexec_b64 s[34:35], vcc
	s_cbranch_execz .LBB6_10340
; %bb.10339:                            ;   in Loop: Header=BB6_10299 Depth=4
	v_and_b32_e32 v5, 7, v14
	v_lshlrev_b32_e32 v1, 24, v3
	v_and_b32_e32 v3, 0x80000000, v1
	v_ffbh_u32_e32 v1, v5
	v_min_u32_e32 v7, 32, v1
	v_subrev_u32_e32 v1, 28, v7
	v_lshrrev_b32_e32 v6, 3, v2
	v_cmp_gt_u32_e32 vcc, 8, v2
	v_lshlrev_b64 v[1:2], v1, v[14:15]
	v_sub_u32_e32 v2, 29, v7
	v_and_b32_e32 v1, 7, v1
	v_cndmask_b32_e32 v2, v6, v2, vcc
	v_cndmask_b32_e32 v1, v5, v1, vcc
	v_bfrev_b32_e32 v5, 60
	v_lshlrev_b32_e32 v1, 20, v1
	v_lshl_add_u32 v2, v2, 23, v5
	v_or3_b32 v1, v3, v2, v1
.LBB6_10340:                            ;   in Loop: Header=BB6_10299 Depth=4
	s_or_b64 exec, exec, s[34:35]
.LBB6_10341:                            ;   in Loop: Header=BB6_10299 Depth=4
	s_or_b64 exec, exec, s[30:31]
.LBB6_10342:                            ;   in Loop: Header=BB6_10299 Depth=4
	s_or_b64 exec, exec, s[28:29]
	v_add_f32_e32 v3, v4, v1
	v_and_b32_e32 v50, 0x7f800000, v3
	v_cmp_ne_u64_e32 vcc, s[76:77], v[50:51]
                                        ; implicit-def: $vgpr2
	s_and_saveexec_b64 s[28:29], vcc
	s_xor_b64 s[30:31], exec, s[28:29]
	s_cbranch_execz .LBB6_10360
; %bb.10343:                            ;   in Loop: Header=BB6_10299 Depth=4
	v_and_b32_e32 v50, 0x7fffffff, v3
	v_cmp_gt_u64_e32 vcc, s[78:79], v[50:51]
	v_and_b32_sdwa v1, v3, s96 dst_sel:DWORD dst_unused:UNUSED_PAD src0_sel:BYTE_3 src1_sel:DWORD
                                        ; implicit-def: $vgpr2
	s_and_saveexec_b64 s[28:29], vcc
	s_xor_b64 s[34:35], exec, s[28:29]
	s_cbranch_execz .LBB6_10357
; %bb.10344:                            ;   in Loop: Header=BB6_10299 Depth=4
	v_cmp_ne_u32_e32 vcc, 0, v3
	v_mov_b32_e32 v2, 0
	s_and_saveexec_b64 s[36:37], vcc
	s_cbranch_execz .LBB6_10356
; %bb.10345:                            ;   in Loop: Header=BB6_10299 Depth=4
	v_bfe_u32 v2, v3, 23, 8
	v_and_b32_e32 v4, 0x7fffff, v3
	v_cmp_gt_u32_e64 s[28:29], s97, v2
	v_sub_u32_e32 v3, 0x79, v2
	v_cmp_eq_u32_e32 vcc, 0, v2
	v_cndmask_b32_e64 v3, 0, v3, s[28:29]
	v_mov_b32_e32 v6, 0x78
	v_or_b32_e32 v5, 0x800000, v4
	v_cndmask_b32_e32 v3, v3, v6, vcc
	v_cndmask_b32_e32 v50, v5, v4, vcc
	v_add_u32_e32 v4, 20, v3
	v_lshlrev_b64 v[4:5], v4, -1
	v_add_u32_e32 v6, 19, v3
	v_lshlrev_b64 v[6:7], v6, 1
	v_bfi_b32 v5, v5, 0, 0
	v_bfi_b32 v4, v4, 0, v50
	v_lshrrev_b64 v[14:15], v3, v[50:51]
	v_cmp_eq_u64_e64 s[28:29], v[4:5], v[6:7]
	v_mov_b32_e32 v4, v14
	v_mov_b32_e32 v5, v15
	s_and_saveexec_b64 s[38:39], s[28:29]
; %bb.10346:                            ;   in Loop: Header=BB6_10299 Depth=4
	v_bfe_u32 v4, v14, 20, 1
	v_add_co_u32_e64 v4, s[28:29], v14, v4
	v_add_co_u32_e64 v4, s[28:29], -1, v4
; %bb.10347:                            ;   in Loop: Header=BB6_10299 Depth=4
	s_or_b64 exec, exec, s[38:39]
	v_add_u32_e32 v2, 0xffffff81, v2
	v_mov_b32_e32 v5, 0xffffff82
	v_cndmask_b32_e32 v2, v2, v5, vcc
	v_lshrrev_b32_e32 v5, 23, v14
	v_add3_u32 v5, v3, v2, v5
	v_add_u32_e32 v2, 6, v5
	v_and_b32_e32 v3, 0xfffff, v4
	v_add_u32_e32 v50, v3, v14
	v_cmp_ne_u32_e32 vcc, 0, v2
                                        ; implicit-def: $vgpr14_vgpr15
                                        ; implicit-def: $vgpr3
	s_and_saveexec_b64 s[28:29], vcc
	s_xor_b64 s[28:29], exec, s[28:29]
; %bb.10348:                            ;   in Loop: Header=BB6_10299 Depth=4
	v_cmp_lt_u64_e32 vcc, s[88:89], v[50:51]
	v_add_u32_e32 v3, 7, v5
	v_cndmask_b32_e32 v3, v2, v3, vcc
	v_cndmask_b32_e64 v2, 0, 1, vcc
	v_lshrrev_b64 v[14:15], v2, v[50:51]
; %bb.10349:                            ;   in Loop: Header=BB6_10299 Depth=4
	s_andn2_saveexec_b64 s[28:29], s[28:29]
; %bb.10350:                            ;   in Loop: Header=BB6_10299 Depth=4
	v_mov_b32_e32 v14, v50
	v_mov_b32_e32 v15, v51
	v_bfe_u32 v3, v50, 23, 1
; %bb.10351:                            ;   in Loop: Header=BB6_10299 Depth=4
	s_or_b64 exec, exec, s[28:29]
	v_lshrrev_b64 v[4:5], 20, v[14:15]
	v_cmp_gt_i32_e32 vcc, 16, v3
	v_cndmask_b32_e32 v15, 0, v5, vcc
	v_cndmask_b32_e32 v14, 7, v4, vcc
	v_cmp_ne_u64_e32 vcc, 0, v[14:15]
	v_cmp_ne_u32_e64 s[28:29], 0, v3
	s_or_b64 s[28:29], s[28:29], vcc
                                        ; implicit-def: $vgpr2
	s_and_saveexec_b64 vcc, s[28:29]
	s_xor_b64 s[28:29], exec, vcc
; %bb.10352:                            ;   in Loop: Header=BB6_10299 Depth=4
	v_min_i32_e32 v2, 15, v3
	v_lshl_or_b32 v1, v2, 3, v1
	v_and_or_b32 v2, v14, 7, v1
                                        ; implicit-def: $vgpr1
; %bb.10353:                            ;   in Loop: Header=BB6_10299 Depth=4
	s_andn2_saveexec_b64 s[28:29], s[28:29]
; %bb.10354:                            ;   in Loop: Header=BB6_10299 Depth=4
	v_mov_b32_e32 v2, v1
; %bb.10355:                            ;   in Loop: Header=BB6_10299 Depth=4
	s_or_b64 exec, exec, s[28:29]
.LBB6_10356:                            ;   in Loop: Header=BB6_10299 Depth=4
	s_or_b64 exec, exec, s[36:37]
                                        ; implicit-def: $vgpr1
.LBB6_10357:                            ;   in Loop: Header=BB6_10299 Depth=4
	s_andn2_saveexec_b64 s[28:29], s[34:35]
; %bb.10358:                            ;   in Loop: Header=BB6_10299 Depth=4
	v_or_b32_e32 v2, 0x7e, v1
; %bb.10359:                            ;   in Loop: Header=BB6_10299 Depth=4
	s_or_b64 exec, exec, s[28:29]
                                        ; implicit-def: $vgpr3
.LBB6_10360:                            ;   in Loop: Header=BB6_10299 Depth=4
	s_andn2_saveexec_b64 s[28:29], s[30:31]
	s_cbranch_execz .LBB6_10298
; %bb.10361:                            ;   in Loop: Header=BB6_10299 Depth=4
	v_or_b32_sdwa v2, v3, s86 dst_sel:DWORD dst_unused:UNUSED_PAD src0_sel:BYTE_3 src1_sel:DWORD
	s_branch .LBB6_10298
.LBB6_10362:                            ;   in Loop: Header=BB6_4324 Depth=3
	s_or_b64 exec, exec, s[40:41]
	buffer_load_dword v0, off, s[0:3], s33 offset:364 ; 4-byte Folded Reload
	s_waitcnt vmcnt(0)
	v_cmp_lt_i32_e64 s[28:29], 0, v0
	s_and_saveexec_b64 s[40:41], s[12:13]
	s_cbranch_execnz .LBB6_10363
; %bb.23151:                            ;   in Loop: Header=BB6_4324 Depth=3
	s_getpc_b64 s[98:99]
.Lpost_getpc39:
	s_add_u32 s98, s98, (.LBB6_4399-.Lpost_getpc39)&4294967295
	s_addc_u32 s99, s99, (.LBB6_4399-.Lpost_getpc39)>>32
	s_setpc_b64 s[98:99]
.LBB6_10363:                            ;   in Loop: Header=BB6_4324 Depth=3
	s_and_saveexec_b64 s[94:95], s[58:59]
	s_xor_b64 s[94:95], exec, s[94:95]
	s_cbranch_execz .LBB6_10378
; %bb.10364:                            ;   in Loop: Header=BB6_4324 Depth=3
	s_and_saveexec_b64 s[30:31], s[6:7]
	s_cbranch_execz .LBB6_10377
; %bb.10365:                            ;   in Loop: Header=BB6_4324 Depth=3
	s_mov_b64 s[36:37], exec
	v_mbcnt_lo_u32_b32 v0, s36, 0
	v_mbcnt_hi_u32_b32 v0, s37, v0
	v_cmp_eq_u32_e32 vcc, 0, v0
	s_waitcnt vmcnt(0) lgkmcnt(0)
	buffer_wbinvl1_vol
	s_and_saveexec_b64 s[34:35], vcc
	s_cbranch_execz .LBB6_10367
; %bb.10366:                            ;   in Loop: Header=BB6_4324 Depth=3
	s_bcnt1_i32_b64 s9, s[36:37]
	v_mov_b32_e32 v0, s9
	v_mov_b32_e32 v1, v51
	ds_add_u64 v0, v[0:1]
	s_trap 2
.LBB6_10367:                            ;   in Loop: Header=BB6_4324 Depth=3
	s_or_b64 exec, exec, s[34:35]
	s_trap 2
	ds_read_b64 v[0:1], v0
	s_waitcnt lgkmcnt(0)
	buffer_load_dword v2, off, s[0:3], s33 offset:76 ; 4-byte Folded Reload
	buffer_load_dword v3, off, s[0:3], s33 offset:80 ; 4-byte Folded Reload
	buffer_load_dword v4, off, s[0:3], s33 offset:92 ; 4-byte Folded Reload
	s_waitcnt vmcnt(0)
	v_add_co_u32_e32 v2, vcc, v2, v4
	v_addc_co_u32_e32 v3, vcc, 0, v3, vcc
	buffer_store_dword v2, off, s[0:3], s33 offset:76 ; 4-byte Folded Spill
	s_nop 0
	buffer_store_dword v3, off, s[0:3], s33 offset:80 ; 4-byte Folded Spill
	v_cmp_lt_u64_e32 vcc, v[0:1], v[2:3]
	s_and_saveexec_b64 s[34:35], vcc
	s_cbranch_execz .LBB6_10376
; %bb.10368:                            ;   in Loop: Header=BB6_4324 Depth=3
	s_mov_b32 s9, 0
	s_mov_b64 s[36:37], 0
                                        ; implicit-def: $sgpr38_sgpr39
                                        ; implicit-def: $sgpr48_sgpr49
	s_branch .LBB6_10370
.LBB6_10369:                            ;   in Loop: Header=BB6_10370 Depth=4
	s_or_b64 exec, exec, s[52:53]
	s_and_b64 vcc, exec, vcc
	s_or_b64 s[36:37], vcc, s[36:37]
	s_andn2_b64 vcc, s[38:39], exec
	s_and_b64 s[38:39], s[48:49], exec
	s_or_b64 s[38:39], vcc, s[38:39]
	s_andn2_b64 exec, exec, s[36:37]
	s_cbranch_execz .LBB6_10374
.LBB6_10370:                            ;   Parent Loop BB6_47 Depth=1
                                        ;     Parent Loop BB6_4321 Depth=2
                                        ;       Parent Loop BB6_4324 Depth=3
                                        ; =>      This Inner Loop Header: Depth=4
	s_add_i32 s9, s9, 1
	s_cmpk_lg_i32 s9, 0x2710
	s_cselect_b64 s[50:51], -1, 0
	s_and_b64 vcc, exec, s[50:51]
	s_cbranch_vccz .LBB6_10372
; %bb.10371:                            ;   in Loop: Header=BB6_10370 Depth=4
	s_mov_b64 vcc, -1
	s_or_b64 s[48:49], s[48:49], exec
	s_and_saveexec_b64 s[52:53], s[50:51]
	s_cbranch_execz .LBB6_10369
	s_branch .LBB6_10373
.LBB6_10372:                            ;   in Loop: Header=BB6_10370 Depth=4
	s_trap 2
	ds_read_b64 v[0:1], v0
	s_andn2_b64 s[50:51], s[50:51], exec
	s_mov_b32 s9, 0
	s_waitcnt vmcnt(0) lgkmcnt(0)
	flat_load_dword v0, v[0:1] glc
	s_waitcnt vmcnt(0) lgkmcnt(0)
	buffer_wbinvl1_vol
	v_cmp_eq_u32_e32 vcc, 0, v0
	s_and_b64 vcc, vcc, exec
	s_or_b64 s[50:51], s[50:51], vcc
	s_mov_b64 vcc, -1
	s_or_b64 s[48:49], s[48:49], exec
	s_and_saveexec_b64 s[52:53], s[50:51]
	s_cbranch_execz .LBB6_10369
.LBB6_10373:                            ;   in Loop: Header=BB6_10370 Depth=4
	s_sleep 1
	s_trap 2
	ds_read_b64 v[0:1], v0
	s_waitcnt lgkmcnt(0)
	buffer_load_dword v2, off, s[0:3], s33 offset:76 ; 4-byte Folded Reload
	buffer_load_dword v3, off, s[0:3], s33 offset:80 ; 4-byte Folded Reload
	s_andn2_b64 s[48:49], s[48:49], exec
	s_waitcnt vmcnt(0)
	v_cmp_ge_u64_e32 vcc, v[0:1], v[2:3]
	s_orn2_b64 vcc, vcc, exec
	s_branch .LBB6_10369
.LBB6_10374:                            ;   in Loop: Header=BB6_4324 Depth=3
	s_or_b64 exec, exec, s[36:37]
	s_and_saveexec_b64 vcc, s[38:39]
	s_xor_b64 vcc, exec, vcc
	s_cbranch_execz .LBB6_10376
; %bb.10375:                            ;   in Loop: Header=BB6_4324 Depth=3
	v_mov_b32_e32 v0, 1
	ds_write_b32 v0, v0
	s_trap 2
.LBB6_10376:                            ;   in Loop: Header=BB6_4324 Depth=3
	s_or_b64 exec, exec, s[34:35]
	;;#ASMSTART
	s_wakeup
	;;#ASMEND
.LBB6_10377:                            ;   in Loop: Header=BB6_4324 Depth=3
	s_or_b64 exec, exec, s[30:31]
.LBB6_10378:                            ;   in Loop: Header=BB6_4324 Depth=3
	s_andn2_saveexec_b64 s[94:95], s[94:95]
	s_cbranch_execz .LBB6_10380
; %bb.10379:                            ;   in Loop: Header=BB6_4324 Depth=3
	s_waitcnt vmcnt(0) lgkmcnt(0)
	buffer_wbinvl1_vol
	s_barrier
.LBB6_10380:                            ;   in Loop: Header=BB6_4324 Depth=3
	s_or_b64 exec, exec, s[94:95]
	s_or_b64 exec, exec, s[40:41]
                                        ; implicit-def: $vgpr0
	s_and_saveexec_b64 s[40:41], s[18:19]
	s_xor_b64 s[40:41], exec, s[40:41]
	s_cbranch_execz .LBB6_10381
; %bb.23153:                            ;   in Loop: Header=BB6_4324 Depth=3
	s_getpc_b64 s[98:99]
.Lpost_getpc40:
	s_add_u32 s98, s98, (.LBB6_4400-.Lpost_getpc40)&4294967295
	s_addc_u32 s99, s99, (.LBB6_4400-.Lpost_getpc40)>>32
	s_setpc_b64 s[98:99]
.LBB6_10381:                            ;   in Loop: Header=BB6_4324 Depth=3
	s_andn2_saveexec_b64 s[28:29], s[40:41]
	s_cbranch_execz .LBB6_10400
.LBB6_10382:                            ;   in Loop: Header=BB6_4324 Depth=3
	s_and_saveexec_b64 s[40:41], s[58:59]
	s_xor_b64 s[40:41], exec, s[40:41]
	s_cbranch_execz .LBB6_10397
; %bb.10383:                            ;   in Loop: Header=BB6_4324 Depth=3
	s_and_saveexec_b64 s[94:95], s[6:7]
	s_cbranch_execz .LBB6_10396
; %bb.10384:                            ;   in Loop: Header=BB6_4324 Depth=3
	s_mov_b64 s[34:35], exec
	v_mbcnt_lo_u32_b32 v0, s34, 0
	v_mbcnt_hi_u32_b32 v0, s35, v0
	v_cmp_eq_u32_e32 vcc, 0, v0
	;;#ASMSTART
	s_waitcnt lgkmcnt(0) vmcnt(0)
	;;#ASMEND
	s_and_saveexec_b64 s[30:31], vcc
	s_cbranch_execz .LBB6_10386
; %bb.10385:                            ;   in Loop: Header=BB6_4324 Depth=3
	s_bcnt1_i32_b64 s9, s[34:35]
	v_mov_b32_e32 v0, s9
	v_mov_b32_e32 v1, v51
	s_waitcnt lgkmcnt(0)
	ds_add_u64 v0, v[0:1]
	s_trap 2
.LBB6_10386:                            ;   in Loop: Header=BB6_4324 Depth=3
	s_or_b64 exec, exec, s[30:31]
	s_trap 2
	ds_read_b64 v[0:1], v0
	s_waitcnt lgkmcnt(0)
	buffer_load_dword v2, off, s[0:3], s33 offset:76 ; 4-byte Folded Reload
	buffer_load_dword v3, off, s[0:3], s33 offset:80 ; 4-byte Folded Reload
	;; [unrolled: 1-line block ×3, first 2 shown]
	s_waitcnt vmcnt(0)
	v_add_co_u32_e32 v2, vcc, v2, v4
	v_addc_co_u32_e32 v3, vcc, 0, v3, vcc
	buffer_store_dword v2, off, s[0:3], s33 offset:76 ; 4-byte Folded Spill
	s_nop 0
	buffer_store_dword v3, off, s[0:3], s33 offset:80 ; 4-byte Folded Spill
	v_cmp_lt_u64_e32 vcc, v[0:1], v[2:3]
	s_and_saveexec_b64 s[30:31], vcc
	s_cbranch_execz .LBB6_10395
; %bb.10387:                            ;   in Loop: Header=BB6_4324 Depth=3
	s_mov_b32 s9, 0
	s_mov_b64 s[34:35], 0
                                        ; implicit-def: $sgpr36_sgpr37
                                        ; implicit-def: $sgpr38_sgpr39
	s_branch .LBB6_10389
.LBB6_10388:                            ;   in Loop: Header=BB6_10389 Depth=4
	s_or_b64 exec, exec, s[50:51]
	s_and_b64 vcc, exec, vcc
	s_or_b64 s[34:35], vcc, s[34:35]
	s_andn2_b64 vcc, s[36:37], exec
	s_and_b64 s[36:37], s[38:39], exec
	s_or_b64 s[36:37], vcc, s[36:37]
	s_andn2_b64 exec, exec, s[34:35]
	s_cbranch_execz .LBB6_10393
.LBB6_10389:                            ;   Parent Loop BB6_47 Depth=1
                                        ;     Parent Loop BB6_4321 Depth=2
                                        ;       Parent Loop BB6_4324 Depth=3
                                        ; =>      This Inner Loop Header: Depth=4
	s_add_i32 s9, s9, 1
	s_cmpk_lg_i32 s9, 0x2710
	s_cselect_b64 s[48:49], -1, 0
	s_and_b64 vcc, exec, s[48:49]
	s_cbranch_vccz .LBB6_10391
; %bb.10390:                            ;   in Loop: Header=BB6_10389 Depth=4
	s_mov_b64 vcc, -1
	s_or_b64 s[38:39], s[38:39], exec
	s_and_saveexec_b64 s[50:51], s[48:49]
	s_cbranch_execz .LBB6_10388
	s_branch .LBB6_10392
.LBB6_10391:                            ;   in Loop: Header=BB6_10389 Depth=4
	s_trap 2
	ds_read_b64 v[0:1], v0
	s_andn2_b64 s[48:49], s[48:49], exec
	s_mov_b32 s9, 0
	s_waitcnt vmcnt(0) lgkmcnt(0)
	flat_load_dword v0, v[0:1] glc
	s_waitcnt vmcnt(0) lgkmcnt(0)
	buffer_wbinvl1_vol
	v_cmp_eq_u32_e32 vcc, 0, v0
	s_and_b64 vcc, vcc, exec
	s_or_b64 s[48:49], s[48:49], vcc
	s_mov_b64 vcc, -1
	s_or_b64 s[38:39], s[38:39], exec
	s_and_saveexec_b64 s[50:51], s[48:49]
	s_cbranch_execz .LBB6_10388
.LBB6_10392:                            ;   in Loop: Header=BB6_10389 Depth=4
	s_sleep 1
	s_trap 2
	ds_read_b64 v[0:1], v0
	s_waitcnt lgkmcnt(0)
	buffer_load_dword v2, off, s[0:3], s33 offset:76 ; 4-byte Folded Reload
	buffer_load_dword v3, off, s[0:3], s33 offset:80 ; 4-byte Folded Reload
	s_andn2_b64 s[38:39], s[38:39], exec
	s_waitcnt vmcnt(0)
	v_cmp_ge_u64_e32 vcc, v[0:1], v[2:3]
	s_orn2_b64 vcc, vcc, exec
	s_branch .LBB6_10388
.LBB6_10393:                            ;   in Loop: Header=BB6_4324 Depth=3
	s_or_b64 exec, exec, s[34:35]
	s_and_saveexec_b64 vcc, s[36:37]
	s_xor_b64 vcc, exec, vcc
	s_cbranch_execz .LBB6_10395
; %bb.10394:                            ;   in Loop: Header=BB6_4324 Depth=3
	v_mov_b32_e32 v0, 1
	ds_write_b32 v0, v0
	s_trap 2
.LBB6_10395:                            ;   in Loop: Header=BB6_4324 Depth=3
	s_or_b64 exec, exec, s[30:31]
	;;#ASMSTART
	s_wakeup
	;;#ASMEND
.LBB6_10396:                            ;   in Loop: Header=BB6_4324 Depth=3
	s_or_b64 exec, exec, s[94:95]
.LBB6_10397:                            ;   in Loop: Header=BB6_4324 Depth=3
	s_andn2_saveexec_b64 s[40:41], s[40:41]
	s_cbranch_execz .LBB6_10399
; %bb.10398:                            ;   in Loop: Header=BB6_4324 Depth=3
	;;#ASMSTART
	s_waitcnt lgkmcnt(0) vmcnt(0)
	;;#ASMEND
	s_waitcnt vmcnt(0) lgkmcnt(0)
	s_barrier
.LBB6_10399:                            ;   in Loop: Header=BB6_4324 Depth=3
	s_or_b64 exec, exec, s[40:41]
	buffer_load_dword v0, off, s[0:3], s33 offset:72 ; 4-byte Folded Reload
	s_waitcnt vmcnt(0)
	v_and_b32_e32 v0, 16, v0
.LBB6_10400:                            ;   in Loop: Header=BB6_4324 Depth=3
	s_or_b64 exec, exec, s[28:29]
	v_cmp_ne_u32_e32 vcc, 0, v0
	s_xor_b64 s[28:29], s[20:21], -1
	s_and_b64 s[40:41], vcc, s[28:29]
	s_and_saveexec_b64 s[28:29], s[40:41]
	s_cbranch_execz .LBB6_10402
; %bb.10401:                            ;   in Loop: Header=BB6_4324 Depth=3
	buffer_load_dword v0, off, s[0:3], s33 offset:348 ; 4-byte Folded Reload
	buffer_load_dword v1, off, s[0:3], s33 offset:352 ; 4-byte Folded Reload
	v_mov_b32_e32 v2, 1
	s_waitcnt vmcnt(0)
	flat_store_dword v[0:1], v2
.LBB6_10402:                            ;   in Loop: Header=BB6_4324 Depth=3
	s_or_b64 exec, exec, s[28:29]
	buffer_load_dword v0, off, s[0:3], s33 offset:72 ; 4-byte Folded Reload
	s_waitcnt vmcnt(0)
	v_and_b32_e32 v0, 48, v0
	v_cmp_ne_u32_e32 vcc, 0, v0
	s_and_saveexec_b64 s[28:29], vcc
	s_cbranch_execnz .LBB6_10403
; %bb.23155:                            ;   in Loop: Header=BB6_4324 Depth=3
	s_getpc_b64 s[98:99]
.Lpost_getpc41:
	s_add_u32 s98, s98, (.LBB6_4323-.Lpost_getpc41)&4294967295
	s_addc_u32 s99, s99, (.LBB6_4323-.Lpost_getpc41)>>32
	s_setpc_b64 s[98:99]
.LBB6_10403:                            ;   in Loop: Header=BB6_4324 Depth=3
	buffer_load_dword v2, off, s[0:3], s33 offset:84 ; 4-byte Folded Reload
	buffer_load_dword v3, off, s[0:3], s33 offset:88 ; 4-byte Folded Reload
	;; [unrolled: 1-line block ×4, first 2 shown]
	s_waitcnt vmcnt(0)
	v_add_co_u32_e32 v2, vcc, 2, v2
	v_addc_co_u32_e32 v3, vcc, 0, v3, vcc
	buffer_store_dword v2, off, s[0:3], s33 offset:84 ; 4-byte Folded Spill
	s_nop 0
	buffer_store_dword v3, off, s[0:3], s33 offset:88 ; 4-byte Folded Spill
	flat_store_dwordx2 v[0:1], v[2:3]
; %bb.23119:                            ;   in Loop: Header=BB6_4324 Depth=3
	s_getpc_b64 s[98:99]
.Lpost_getpc23:
	s_add_u32 s98, s98, (.LBB6_4323-.Lpost_getpc23)&4294967295
	s_addc_u32 s99, s99, (.LBB6_4323-.Lpost_getpc23)>>32
	s_setpc_b64 s[98:99]
.LBB6_10404:                            ;   in Loop: Header=BB6_4321 Depth=2
	s_or_b64 exec, exec, s[90:91]
.LBB6_10405:                            ;   in Loop: Header=BB6_4321 Depth=2
	s_or_b64 exec, exec, s[42:43]
	v_cmp_gt_i32_e32 vcc, 2, v0
	s_and_saveexec_b64 s[40:41], vcc
	s_cbranch_execnz .LBB6_10406
; %bb.23157:                            ;   in Loop: Header=BB6_4321 Depth=2
	s_getpc_b64 s[98:99]
.Lpost_getpc42:
	s_add_u32 s98, s98, (.LBB6_4320-.Lpost_getpc42)&4294967295
	s_addc_u32 s99, s99, (.LBB6_4320-.Lpost_getpc42)>>32
	s_setpc_b64 s[98:99]
.LBB6_10406:                            ;   in Loop: Header=BB6_4321 Depth=2
	buffer_load_dword v6, off, s[0:3], s33 offset:296 ; 4-byte Folded Reload
	buffer_load_dword v7, off, s[0:3], s33 offset:300 ; 4-byte Folded Reload
	;; [unrolled: 1-line block ×3, first 2 shown]
	v_cmp_eq_u32_e64 s[90:91], 0, v0
	s_mov_b64 s[42:43], 0
	s_branch .LBB6_10408
.LBB6_10407:                            ;   in Loop: Header=BB6_10408 Depth=3
	s_or_b64 exec, exec, s[28:29]
	v_mov_b32_e32 v1, v7
	v_add_u32_e32 v1, v6, v1
	s_mov_b64 s[90:91], 0
	s_andn2_b64 exec, exec, s[42:43]
	s_cbranch_execnz .LBB6_10408
; %bb.23159:                            ;   in Loop: Header=BB6_4321 Depth=2
	s_getpc_b64 s[98:99]
.Lpost_getpc43:
	s_add_u32 s98, s98, (.LBB6_4319-.Lpost_getpc43)&4294967295
	s_addc_u32 s99, s99, (.LBB6_4319-.Lpost_getpc43)>>32
	s_setpc_b64 s[98:99]
.LBB6_10408:                            ;   Parent Loop BB6_47 Depth=1
                                        ;     Parent Loop BB6_4321 Depth=2
                                        ; =>    This Loop Header: Depth=3
                                        ;         Child Loop BB6_10414 Depth 4
                                        ;         Child Loop BB6_10442 Depth 4
	;; [unrolled: 1-line block ×3, first 2 shown]
	buffer_load_dword v0, off, s[0:3], s33 offset:312 ; 4-byte Folded Reload
	s_waitcnt vmcnt(0)
	v_mov_b32_e32 v7, v1
	v_sub_u32_e32 v0, v0, v1
	v_min_i32_e32 v6, v6, v0
	buffer_load_dword v0, off, s[0:3], s33 offset:72 ; 4-byte Folded Reload
	s_waitcnt vmcnt(0)
	v_and_b32_e32 v0, 12, v0
	v_cmp_ne_u32_e32 vcc, 0, v0
	s_and_saveexec_b64 s[92:93], vcc
	s_cbranch_execz .LBB6_10434
; %bb.10409:                            ;   in Loop: Header=BB6_10408 Depth=3
	buffer_load_dword v0, off, s[0:3], s33 offset:72 ; 4-byte Folded Reload
	buffer_load_dword v1, off, s[0:3], s33 offset:56 ; 4-byte Folded Reload
	;; [unrolled: 1-line block ×5, first 2 shown]
	s_waitcnt vmcnt(0)
	v_and_b32_e32 v0, 8, v0
	v_add_co_u32_e32 v1, vcc, v1, v0
	v_addc_co_u32_e32 v2, vcc, 0, v2, vcc
	v_add_co_u32_e32 v8, vcc, 2, v3
	v_addc_co_u32_e32 v9, vcc, 0, v4, vcc
	v_cmp_lt_u64_e32 vcc, v[1:2], v[8:9]
	s_and_saveexec_b64 s[94:95], vcc
	s_cbranch_execz .LBB6_10421
; %bb.10410:                            ;   in Loop: Header=BB6_10408 Depth=3
	buffer_load_dword v1, off, s[0:3], s33 offset:72 ; 4-byte Folded Reload
	s_mov_b32 s9, 0
	s_mov_b64 s[30:31], 0
                                        ; implicit-def: $sgpr34_sgpr35
                                        ; implicit-def: $sgpr36_sgpr37
                                        ; implicit-def: $sgpr38_sgpr39
	s_waitcnt vmcnt(0)
	v_and_b32_e32 v1, 64, v1
	v_cmp_eq_u32_e32 vcc, 0, v1
	s_branch .LBB6_10414
.LBB6_10411:                            ;   in Loop: Header=BB6_10414 Depth=4
	buffer_load_dword v2, off, s[0:3], s33 offset:56 ; 4-byte Folded Reload
	buffer_load_dword v3, off, s[0:3], s33 offset:60 ; 4-byte Folded Reload
	s_or_b64 s[52:53], s[52:53], exec
	s_waitcnt vmcnt(1)
	v_add_co_u32_e64 v2, s[28:29], v2, v0
	s_waitcnt vmcnt(0)
	v_addc_co_u32_e64 v3, s[28:29], 0, v3, s[28:29]
	v_cmp_ge_u64_e64 s[28:29], v[2:3], v[8:9]
	s_orn2_b64 s[50:51], s[28:29], exec
.LBB6_10412:                            ;   in Loop: Header=BB6_10414 Depth=4
	s_or_b64 exec, exec, s[64:65]
	s_andn2_b64 s[28:29], s[38:39], exec
	s_and_b64 s[38:39], s[52:53], exec
	s_or_b64 s[38:39], s[28:29], s[38:39]
	s_andn2_b64 s[28:29], s[36:37], exec
	s_and_b64 s[36:37], s[50:51], exec
	s_or_b64 s[36:37], s[28:29], s[36:37]
.LBB6_10413:                            ;   in Loop: Header=BB6_10414 Depth=4
	s_or_b64 exec, exec, s[48:49]
	s_and_b64 s[28:29], exec, s[36:37]
	s_or_b64 s[30:31], s[28:29], s[30:31]
	s_andn2_b64 s[28:29], s[34:35], exec
	s_and_b64 s[34:35], s[38:39], exec
	s_or_b64 s[34:35], s[28:29], s[34:35]
	s_andn2_b64 exec, exec, s[30:31]
	s_cbranch_execz .LBB6_10418
.LBB6_10414:                            ;   Parent Loop BB6_47 Depth=1
                                        ;     Parent Loop BB6_4321 Depth=2
                                        ;       Parent Loop BB6_10408 Depth=3
                                        ; =>      This Inner Loop Header: Depth=4
	s_sleep 1
	buffer_load_dword v1, off, s[0:3], s33 offset:64 ; 4-byte Folded Reload
	buffer_load_dword v2, off, s[0:3], s33 offset:68 ; 4-byte Folded Reload
	s_or_b64 s[38:39], s[38:39], exec
	s_or_b64 s[36:37], s[36:37], exec
	s_waitcnt vmcnt(0)
	flat_load_dwordx2 v[1:2], v[1:2] glc
	s_waitcnt vmcnt(0) lgkmcnt(0)
	buffer_store_dword v1, off, s[0:3], s33 offset:56 ; 4-byte Folded Spill
	s_nop 0
	buffer_store_dword v2, off, s[0:3], s33 offset:60 ; 4-byte Folded Spill
                                        ; implicit-def: $vgpr1
	s_and_saveexec_b64 s[48:49], vcc
	s_cbranch_execz .LBB6_10413
; %bb.10415:                            ;   in Loop: Header=BB6_10414 Depth=4
	s_cmpk_lt_i32 s9, 0x270f
	s_cselect_b64 s[54:55], -1, 0
	s_cmpk_gt_i32 s9, 0x270e
	s_mov_b64 s[50:51], -1
	s_cbranch_scc0 .LBB6_10417
; %bb.10416:                            ;   in Loop: Header=BB6_10414 Depth=4
	s_trap 2
	ds_read_b64 v[1:2], v0
	s_andn2_b64 s[54:55], s[54:55], exec
	s_mov_b32 s9, 0
	s_mov_b64 s[52:53], 0
	s_waitcnt vmcnt(0) lgkmcnt(0)
	flat_load_dword v1, v[1:2] glc
	s_waitcnt vmcnt(0) lgkmcnt(0)
	buffer_wbinvl1_vol
	v_cmp_eq_u32_e64 s[28:29], 0, v1
	s_and_b64 s[28:29], s[28:29], exec
	s_or_b64 s[54:55], s[54:55], s[28:29]
	s_and_saveexec_b64 s[64:65], s[54:55]
	s_cbranch_execz .LBB6_10412
	s_branch .LBB6_10411
.LBB6_10417:                            ;   in Loop: Header=BB6_10414 Depth=4
	s_add_i32 s9, s9, 1
	s_mov_b64 s[52:53], -1
                                        ; implicit-def: $vgpr1
	s_and_saveexec_b64 s[64:65], s[54:55]
	s_cbranch_execz .LBB6_10412
	s_branch .LBB6_10411
.LBB6_10418:                            ;   in Loop: Header=BB6_10408 Depth=3
	s_or_b64 exec, exec, s[30:31]
	s_xor_b64 s[28:29], s[34:35], -1
	s_and_saveexec_b64 vcc, s[28:29]
	s_xor_b64 s[28:29], exec, vcc
	s_cbranch_execz .LBB6_10420
; %bb.10419:                            ;   in Loop: Header=BB6_10408 Depth=3
	ds_write_b32 v0, v1
	s_trap 2
	buffer_load_dword v1, off, s[0:3], s33 offset:72 ; 4-byte Folded Reload
	s_waitcnt vmcnt(0)
	v_or_b32_e32 v1, 64, v1
	buffer_store_dword v1, off, s[0:3], s33 offset:72 ; 4-byte Folded Spill
.LBB6_10420:                            ;   in Loop: Header=BB6_10408 Depth=3
	s_or_b64 exec, exec, s[28:29]
.LBB6_10421:                            ;   in Loop: Header=BB6_10408 Depth=3
	s_or_b64 exec, exec, s[94:95]
	;;#ASMSTART
	s_wakeup
	;;#ASMEND
	buffer_load_dword v1, off, s[0:3], s33 offset:72 ; 4-byte Folded Reload
                                        ; implicit-def: $vgpr10_vgpr11
	s_waitcnt vmcnt(0)
	v_and_b32_e32 v1, 0x108, v1
	v_cmp_ne_u32_e32 vcc, s44, v1
	s_and_saveexec_b64 s[28:29], vcc
	s_xor_b64 s[28:29], exec, s[28:29]
	s_cbranch_execz .LBB6_10423
; %bb.10422:                            ;   in Loop: Header=BB6_10408 Depth=3
	buffer_load_dword v1, off, s[0:3], s33 offset:84 ; 4-byte Folded Reload
	buffer_load_dword v2, off, s[0:3], s33 offset:88 ; 4-byte Folded Reload
	v_mov_b32_e32 v11, v51
	s_waitcnt vmcnt(0)
	v_and_b32_e32 v10, 7, v1
                                        ; implicit-def: $vgpr1_vgpr2
                                        ; kill: killed $vgpr1_vgpr2
.LBB6_10423:                            ;   in Loop: Header=BB6_10408 Depth=3
	s_andn2_saveexec_b64 s[28:29], s[28:29]
	s_cbranch_execz .LBB6_10425
; %bb.10424:                            ;   in Loop: Header=BB6_10408 Depth=3
	buffer_load_dword v1, off, s[0:3], s33 offset:84 ; 4-byte Folded Reload
	buffer_load_dword v2, off, s[0:3], s33 offset:88 ; 4-byte Folded Reload
	v_mov_b32_e32 v11, v51
	s_waitcnt vmcnt(0)
	v_and_b32_e32 v10, 7, v1
	buffer_load_dword v1, off, s[0:3], s33 offset:332 ; 4-byte Folded Reload
	buffer_load_dword v2, off, s[0:3], s33 offset:336 ; 4-byte Folded Reload
	buffer_load_dword v3, off, s[0:3], s33 offset:340 ; 4-byte Folded Reload
	buffer_load_dword v4, off, s[0:3], s33 offset:344 ; 4-byte Folded Reload
	s_waitcnt vmcnt(0)
	v_mov_b32_e32 v3, v6
	v_ashrrev_i32_e32 v4, 31, v3
	v_mad_u64_u32 v[1:2], s[94:95], v10, 24, v[1:2]
	flat_store_dwordx2 v[1:2], v[3:4] offset:8
.LBB6_10425:                            ;   in Loop: Header=BB6_10408 Depth=3
	s_or_b64 exec, exec, s[28:29]
	buffer_load_dword v1, off, s[0:3], s33 offset:72 ; 4-byte Folded Reload
	s_mov_b64 s[28:29], -1
                                        ; implicit-def: $vgpr12_vgpr13
	s_waitcnt vmcnt(0)
	v_and_b32_e32 v1, 0x100, v1
	v_cmp_ne_u32_e32 vcc, 0, v1
	s_and_saveexec_b64 s[94:95], vcc
	s_cbranch_execz .LBB6_10429
; %bb.10426:                            ;   in Loop: Header=BB6_10408 Depth=3
	buffer_load_dword v1, off, s[0:3], s33 offset:332 ; 4-byte Folded Reload
	buffer_load_dword v2, off, s[0:3], s33 offset:336 ; 4-byte Folded Reload
	;; [unrolled: 1-line block ×4, first 2 shown]
                                        ; implicit-def: $vgpr12_vgpr13
	s_waitcnt vmcnt(0)
	v_mad_u64_u32 v[4:5], s[28:29], v10, 24, v[1:2]
	v_mov_b32_e32 v1, v5
	v_mad_u64_u32 v[1:2], s[28:29], v11, 24, v[1:2]
	v_mov_b32_e32 v5, v1
	flat_load_dword v1, v[4:5]
	s_waitcnt vmcnt(0) lgkmcnt(0)
	v_cmp_ne_u32_e32 vcc, 1, v1
	v_cmp_eq_u32_e64 s[28:29], 1, v1
	s_and_saveexec_b64 s[30:31], s[28:29]
	s_cbranch_execz .LBB6_10428
; %bb.10427:                            ;   in Loop: Header=BB6_10408 Depth=3
	flat_load_dword v12, v[4:5] offset:4 glc
	s_waitcnt vmcnt(0) lgkmcnt(0)
	v_ashrrev_i32_e32 v13, 31, v12
.LBB6_10428:                            ;   in Loop: Header=BB6_10408 Depth=3
	s_or_b64 exec, exec, s[30:31]
	s_orn2_b64 s[28:29], vcc, exec
.LBB6_10429:                            ;   in Loop: Header=BB6_10408 Depth=3
	s_or_b64 exec, exec, s[94:95]
	s_and_saveexec_b64 s[94:95], s[28:29]
	s_cbranch_execz .LBB6_10431
; %bb.10430:                            ;   in Loop: Header=BB6_10408 Depth=3
	buffer_load_dword v3, off, s[0:3], s33 offset:368 ; 4-byte Folded Reload
	buffer_load_dword v2, off, s[0:3], s33 offset:388 ; 4-byte Folded Reload
	s_waitcnt vmcnt(0)
	v_mul_lo_u32 v1, v11, v3
	v_mul_lo_u32 v2, v10, v2
	v_mad_u64_u32 v[12:13], s[28:29], v10, v3, 0
	v_add3_u32 v13, v13, v2, v1
.LBB6_10431:                            ;   in Loop: Header=BB6_10408 Depth=3
	s_or_b64 exec, exec, s[94:95]
	v_cmp_eq_u32_e32 vcc, 0, v0
	v_mov_b32_e32 v0, 0xc8
	v_mov_b32_e32 v1, 0x90
	v_cndmask_b32_e32 v2, v0, v1, vcc
	buffer_load_dword v0, off, s[0:3], s33 offset:324 ; 4-byte Folded Reload
	buffer_load_dword v1, off, s[0:3], s33 offset:328 ; 4-byte Folded Reload
	s_waitcnt vmcnt(0)
	v_add_co_u32_e32 v0, vcc, v0, v12
	v_addc_co_u32_e32 v1, vcc, v1, v13, vcc
	v_add_u32_e32 v2, v0, v2
	ds_write_b64 v2, v[0:1] offset:584
	buffer_load_dword v0, off, s[0:3], s33 offset:72 ; 4-byte Folded Reload
	s_waitcnt vmcnt(0)
	v_and_b32_e32 v0, 0x2000, v0
	v_cmp_ne_u32_e32 vcc, 0, v0
	s_and_saveexec_b64 s[28:29], vcc
	s_cbranch_execz .LBB6_10433
; %bb.10432:                            ;   in Loop: Header=BB6_10408 Depth=3
	ds_read_b64 v[0:1], v0 offset:872
	s_waitcnt lgkmcnt(0)
	v_add_co_u32_e32 v0, vcc, 1, v0
	v_addc_co_u32_e32 v1, vcc, 0, v1, vcc
	ds_write_b64 v0, v[0:1] offset:872
.LBB6_10433:                            ;   in Loop: Header=BB6_10408 Depth=3
	s_or_b64 exec, exec, s[28:29]
	buffer_store_dword v8, off, s[0:3], s33 offset:84 ; 4-byte Folded Spill
	s_nop 0
	buffer_store_dword v9, off, s[0:3], s33 offset:88 ; 4-byte Folded Spill
.LBB6_10434:                            ;   in Loop: Header=BB6_10408 Depth=3
	s_or_b64 exec, exec, s[92:93]
	s_xor_b64 s[28:29], s[90:91], -1
	s_and_b64 s[28:29], exec, s[28:29]
	s_or_b64 s[42:43], s[28:29], s[42:43]
	s_and_saveexec_b64 s[28:29], s[12:13]
	s_cbranch_execz .LBB6_10453
; %bb.10435:                            ;   in Loop: Header=BB6_10408 Depth=3
	s_and_saveexec_b64 s[90:91], s[58:59]
	s_xor_b64 s[90:91], exec, s[90:91]
	s_cbranch_execz .LBB6_10450
; %bb.10436:                            ;   in Loop: Header=BB6_10408 Depth=3
	s_and_saveexec_b64 s[92:93], s[6:7]
	s_cbranch_execz .LBB6_10449
; %bb.10437:                            ;   in Loop: Header=BB6_10408 Depth=3
	s_mov_b64 s[30:31], exec
	v_mbcnt_lo_u32_b32 v0, s30, 0
	v_mbcnt_hi_u32_b32 v0, s31, v0
	v_cmp_eq_u32_e32 vcc, 0, v0
	s_waitcnt vmcnt(0) lgkmcnt(0)
	buffer_wbinvl1_vol
	s_and_saveexec_b64 s[94:95], vcc
	s_cbranch_execz .LBB6_10439
; %bb.10438:                            ;   in Loop: Header=BB6_10408 Depth=3
	s_bcnt1_i32_b64 s9, s[30:31]
	v_mov_b32_e32 v0, s9
	v_mov_b32_e32 v1, v51
	ds_add_u64 v0, v[0:1]
	s_trap 2
.LBB6_10439:                            ;   in Loop: Header=BB6_10408 Depth=3
	s_or_b64 exec, exec, s[94:95]
	s_trap 2
	ds_read_b64 v[0:1], v0
	s_waitcnt lgkmcnt(0)
	buffer_load_dword v2, off, s[0:3], s33 offset:76 ; 4-byte Folded Reload
	buffer_load_dword v3, off, s[0:3], s33 offset:80 ; 4-byte Folded Reload
	;; [unrolled: 1-line block ×3, first 2 shown]
	s_waitcnt vmcnt(0)
	v_add_co_u32_e32 v2, vcc, v2, v4
	v_addc_co_u32_e32 v3, vcc, 0, v3, vcc
	buffer_store_dword v2, off, s[0:3], s33 offset:76 ; 4-byte Folded Spill
	s_nop 0
	buffer_store_dword v3, off, s[0:3], s33 offset:80 ; 4-byte Folded Spill
	v_cmp_lt_u64_e32 vcc, v[0:1], v[2:3]
	s_and_saveexec_b64 s[94:95], vcc
	s_cbranch_execz .LBB6_10448
; %bb.10440:                            ;   in Loop: Header=BB6_10408 Depth=3
	s_mov_b32 s9, 0
	s_mov_b64 s[30:31], 0
                                        ; implicit-def: $sgpr34_sgpr35
                                        ; implicit-def: $sgpr36_sgpr37
	s_branch .LBB6_10442
.LBB6_10441:                            ;   in Loop: Header=BB6_10442 Depth=4
	s_or_b64 exec, exec, s[48:49]
	s_and_b64 vcc, exec, vcc
	s_or_b64 s[30:31], vcc, s[30:31]
	s_andn2_b64 vcc, s[34:35], exec
	s_and_b64 s[34:35], s[36:37], exec
	s_or_b64 s[34:35], vcc, s[34:35]
	s_andn2_b64 exec, exec, s[30:31]
	s_cbranch_execz .LBB6_10446
.LBB6_10442:                            ;   Parent Loop BB6_47 Depth=1
                                        ;     Parent Loop BB6_4321 Depth=2
                                        ;       Parent Loop BB6_10408 Depth=3
                                        ; =>      This Inner Loop Header: Depth=4
	s_add_i32 s9, s9, 1
	s_cmpk_lg_i32 s9, 0x2710
	s_cselect_b64 s[38:39], -1, 0
	s_and_b64 vcc, exec, s[38:39]
	s_cbranch_vccz .LBB6_10444
; %bb.10443:                            ;   in Loop: Header=BB6_10442 Depth=4
	s_mov_b64 vcc, -1
	s_or_b64 s[36:37], s[36:37], exec
	s_and_saveexec_b64 s[48:49], s[38:39]
	s_cbranch_execz .LBB6_10441
	s_branch .LBB6_10445
.LBB6_10444:                            ;   in Loop: Header=BB6_10442 Depth=4
	s_trap 2
	ds_read_b64 v[0:1], v0
	s_andn2_b64 s[38:39], s[38:39], exec
	s_mov_b32 s9, 0
	s_waitcnt vmcnt(0) lgkmcnt(0)
	flat_load_dword v0, v[0:1] glc
	s_waitcnt vmcnt(0) lgkmcnt(0)
	buffer_wbinvl1_vol
	v_cmp_eq_u32_e32 vcc, 0, v0
	s_and_b64 vcc, vcc, exec
	s_or_b64 s[38:39], s[38:39], vcc
	s_mov_b64 vcc, -1
	s_or_b64 s[36:37], s[36:37], exec
	s_and_saveexec_b64 s[48:49], s[38:39]
	s_cbranch_execz .LBB6_10441
.LBB6_10445:                            ;   in Loop: Header=BB6_10442 Depth=4
	s_sleep 1
	s_trap 2
	ds_read_b64 v[0:1], v0
	s_waitcnt lgkmcnt(0)
	buffer_load_dword v2, off, s[0:3], s33 offset:76 ; 4-byte Folded Reload
	buffer_load_dword v3, off, s[0:3], s33 offset:80 ; 4-byte Folded Reload
	s_andn2_b64 s[36:37], s[36:37], exec
	s_waitcnt vmcnt(0)
	v_cmp_ge_u64_e32 vcc, v[0:1], v[2:3]
	s_orn2_b64 vcc, vcc, exec
	s_branch .LBB6_10441
.LBB6_10446:                            ;   in Loop: Header=BB6_10408 Depth=3
	s_or_b64 exec, exec, s[30:31]
	s_and_saveexec_b64 vcc, s[34:35]
	s_xor_b64 vcc, exec, vcc
	s_cbranch_execz .LBB6_10448
; %bb.10447:                            ;   in Loop: Header=BB6_10408 Depth=3
	v_mov_b32_e32 v0, 1
	ds_write_b32 v0, v0
	s_trap 2
.LBB6_10448:                            ;   in Loop: Header=BB6_10408 Depth=3
	s_or_b64 exec, exec, s[94:95]
	;;#ASMSTART
	s_wakeup
	;;#ASMEND
.LBB6_10449:                            ;   in Loop: Header=BB6_10408 Depth=3
	s_or_b64 exec, exec, s[92:93]
.LBB6_10450:                            ;   in Loop: Header=BB6_10408 Depth=3
	s_andn2_saveexec_b64 s[90:91], s[90:91]
	s_cbranch_execz .LBB6_10452
; %bb.10451:                            ;   in Loop: Header=BB6_10408 Depth=3
	s_waitcnt vmcnt(0) lgkmcnt(0)
	buffer_wbinvl1_vol
	s_barrier
.LBB6_10452:                            ;   in Loop: Header=BB6_10408 Depth=3
	s_or_b64 exec, exec, s[90:91]
.LBB6_10453:                            ;   in Loop: Header=BB6_10408 Depth=3
	s_or_b64 exec, exec, s[28:29]
                                        ; implicit-def: $vgpr0
	s_and_saveexec_b64 s[28:29], s[72:73]
	s_xor_b64 s[28:29], exec, s[28:29]
	s_cbranch_execz .LBB6_10465
; %bb.10454:                            ;   in Loop: Header=BB6_10408 Depth=3
	s_and_saveexec_b64 s[90:91], s[58:59]
	s_xor_b64 s[90:91], exec, s[90:91]
	s_cbranch_execz .LBB6_10470
; %bb.10455:                            ;   in Loop: Header=BB6_10408 Depth=3
	s_and_saveexec_b64 s[92:93], s[6:7]
	s_cbranch_execz .LBB6_10469
; %bb.10456:                            ;   in Loop: Header=BB6_10408 Depth=3
	s_mov_b64 s[30:31], exec
	v_mbcnt_lo_u32_b32 v0, s30, 0
	v_mbcnt_hi_u32_b32 v0, s31, v0
	v_cmp_eq_u32_e32 vcc, 0, v0
	;;#ASMSTART
	s_waitcnt lgkmcnt(0) vmcnt(0)
	;;#ASMEND
	s_and_saveexec_b64 s[94:95], vcc
	s_cbranch_execz .LBB6_10458
; %bb.10457:                            ;   in Loop: Header=BB6_10408 Depth=3
	s_bcnt1_i32_b64 s9, s[30:31]
	v_mov_b32_e32 v0, s9
	v_mov_b32_e32 v1, v51
	s_waitcnt lgkmcnt(0)
	ds_add_u64 v0, v[0:1]
	s_trap 2
.LBB6_10458:                            ;   in Loop: Header=BB6_10408 Depth=3
	s_or_b64 exec, exec, s[94:95]
	s_trap 2
	ds_read_b64 v[0:1], v0
	s_waitcnt lgkmcnt(0)
	buffer_load_dword v2, off, s[0:3], s33 offset:76 ; 4-byte Folded Reload
	buffer_load_dword v3, off, s[0:3], s33 offset:80 ; 4-byte Folded Reload
	;; [unrolled: 1-line block ×3, first 2 shown]
	s_waitcnt vmcnt(0)
	v_add_co_u32_e32 v2, vcc, v2, v4
	v_addc_co_u32_e32 v3, vcc, 0, v3, vcc
	buffer_store_dword v2, off, s[0:3], s33 offset:76 ; 4-byte Folded Spill
	s_nop 0
	buffer_store_dword v3, off, s[0:3], s33 offset:80 ; 4-byte Folded Spill
	v_cmp_lt_u64_e32 vcc, v[0:1], v[2:3]
	s_and_saveexec_b64 s[94:95], vcc
	s_cbranch_execz .LBB6_10468
; %bb.10459:                            ;   in Loop: Header=BB6_10408 Depth=3
	s_mov_b32 s9, 0
	s_mov_b64 s[30:31], 0
                                        ; implicit-def: $sgpr34_sgpr35
                                        ; implicit-def: $sgpr36_sgpr37
	s_branch .LBB6_10461
.LBB6_10460:                            ;   in Loop: Header=BB6_10461 Depth=4
	s_or_b64 exec, exec, s[48:49]
	s_and_b64 vcc, exec, vcc
	s_or_b64 s[30:31], vcc, s[30:31]
	s_andn2_b64 vcc, s[34:35], exec
	s_and_b64 s[34:35], s[36:37], exec
	s_or_b64 s[34:35], vcc, s[34:35]
	s_andn2_b64 exec, exec, s[30:31]
	s_cbranch_execz .LBB6_10466
.LBB6_10461:                            ;   Parent Loop BB6_47 Depth=1
                                        ;     Parent Loop BB6_4321 Depth=2
                                        ;       Parent Loop BB6_10408 Depth=3
                                        ; =>      This Inner Loop Header: Depth=4
	s_add_i32 s9, s9, 1
	s_cmpk_lg_i32 s9, 0x2710
	s_cselect_b64 s[38:39], -1, 0
	s_and_b64 vcc, exec, s[38:39]
	s_cbranch_vccz .LBB6_10463
; %bb.10462:                            ;   in Loop: Header=BB6_10461 Depth=4
	s_mov_b64 vcc, -1
	s_or_b64 s[36:37], s[36:37], exec
	s_and_saveexec_b64 s[48:49], s[38:39]
	s_cbranch_execz .LBB6_10460
	s_branch .LBB6_10464
.LBB6_10463:                            ;   in Loop: Header=BB6_10461 Depth=4
	s_trap 2
	ds_read_b64 v[0:1], v0
	s_andn2_b64 s[38:39], s[38:39], exec
	s_mov_b32 s9, 0
	s_waitcnt vmcnt(0) lgkmcnt(0)
	flat_load_dword v0, v[0:1] glc
	s_waitcnt vmcnt(0) lgkmcnt(0)
	buffer_wbinvl1_vol
	v_cmp_eq_u32_e32 vcc, 0, v0
	s_and_b64 vcc, vcc, exec
	s_or_b64 s[38:39], s[38:39], vcc
	s_mov_b64 vcc, -1
	s_or_b64 s[36:37], s[36:37], exec
	s_and_saveexec_b64 s[48:49], s[38:39]
	s_cbranch_execz .LBB6_10460
.LBB6_10464:                            ;   in Loop: Header=BB6_10461 Depth=4
	s_sleep 1
	s_trap 2
	ds_read_b64 v[0:1], v0
	s_waitcnt lgkmcnt(0)
	buffer_load_dword v2, off, s[0:3], s33 offset:76 ; 4-byte Folded Reload
	buffer_load_dword v3, off, s[0:3], s33 offset:80 ; 4-byte Folded Reload
	s_andn2_b64 s[36:37], s[36:37], exec
	s_waitcnt vmcnt(0)
	v_cmp_ge_u64_e32 vcc, v[0:1], v[2:3]
	s_orn2_b64 vcc, vcc, exec
	s_branch .LBB6_10460
.LBB6_10465:                            ;   in Loop: Header=BB6_10408 Depth=3
	s_andn2_saveexec_b64 s[28:29], s[28:29]
	s_cbranch_execnz .LBB6_10473
	s_branch .LBB6_10476
.LBB6_10466:                            ;   in Loop: Header=BB6_10408 Depth=3
	s_or_b64 exec, exec, s[30:31]
	s_and_saveexec_b64 vcc, s[34:35]
	s_xor_b64 vcc, exec, vcc
	s_cbranch_execz .LBB6_10468
; %bb.10467:                            ;   in Loop: Header=BB6_10408 Depth=3
	v_mov_b32_e32 v0, 1
	ds_write_b32 v0, v0
	s_trap 2
.LBB6_10468:                            ;   in Loop: Header=BB6_10408 Depth=3
	s_or_b64 exec, exec, s[94:95]
	;;#ASMSTART
	s_wakeup
	;;#ASMEND
.LBB6_10469:                            ;   in Loop: Header=BB6_10408 Depth=3
	s_or_b64 exec, exec, s[92:93]
.LBB6_10470:                            ;   in Loop: Header=BB6_10408 Depth=3
	s_andn2_saveexec_b64 s[90:91], s[90:91]
	s_cbranch_execz .LBB6_10472
; %bb.10471:                            ;   in Loop: Header=BB6_10408 Depth=3
	;;#ASMSTART
	s_waitcnt lgkmcnt(0) vmcnt(0)
	;;#ASMEND
	s_waitcnt vmcnt(0) lgkmcnt(0)
	s_barrier
.LBB6_10472:                            ;   in Loop: Header=BB6_10408 Depth=3
	s_or_b64 exec, exec, s[90:91]
	buffer_load_dword v0, off, s[0:3], s33 offset:72 ; 4-byte Folded Reload
	s_waitcnt vmcnt(0)
	v_and_b32_e32 v0, 16, v0
	s_andn2_saveexec_b64 s[28:29], s[28:29]
	s_cbranch_execz .LBB6_10476
.LBB6_10473:                            ;   in Loop: Header=BB6_10408 Depth=3
	s_trap 2
	buffer_load_dword v1, off, s[0:3], s33 offset:72 ; 4-byte Folded Reload
	ds_read_b32 v0, v0
	v_cmp_lt_i32_e32 vcc, 0, v6
	s_waitcnt lgkmcnt(0)
	v_readfirstlane_b32 s9, v0
	s_cmp_eq_u32 s9, 0
	s_cselect_b64 s[90:91], -1, 0
	s_and_b64 s[90:91], vcc, s[90:91]
	s_waitcnt vmcnt(0)
	v_and_b32_e32 v0, 16, v1
	v_and_b32_e32 v1, 16, v1
	v_cmp_ne_u32_e32 vcc, 0, v1
	s_and_b64 s[92:93], vcc, s[90:91]
	s_and_saveexec_b64 s[90:91], s[92:93]
	s_cbranch_execz .LBB6_10475
; %bb.10474:                            ;   in Loop: Header=BB6_10408 Depth=3
	v_mov_b32_e32 v0, 1
	buffer_wbinvl1_vol
.LBB6_10475:                            ;   in Loop: Header=BB6_10408 Depth=3
	s_or_b64 exec, exec, s[90:91]
.LBB6_10476:                            ;   in Loop: Header=BB6_10408 Depth=3
	s_or_b64 exec, exec, s[28:29]
	v_cmp_ne_u32_e32 vcc, 0, v0
	s_xor_b64 s[28:29], s[20:21], -1
	s_and_b64 s[90:91], vcc, s[28:29]
	s_and_saveexec_b64 s[28:29], s[90:91]
	s_cbranch_execz .LBB6_10478
; %bb.10477:                            ;   in Loop: Header=BB6_10408 Depth=3
	buffer_load_dword v0, off, s[0:3], s33 offset:348 ; 4-byte Folded Reload
	buffer_load_dword v1, off, s[0:3], s33 offset:352 ; 4-byte Folded Reload
	v_mov_b32_e32 v2, 1
	s_waitcnt vmcnt(0)
	flat_store_dword v[0:1], v2
.LBB6_10478:                            ;   in Loop: Header=BB6_10408 Depth=3
	s_or_b64 exec, exec, s[28:29]
	buffer_load_dword v0, off, s[0:3], s33 offset:72 ; 4-byte Folded Reload
	s_waitcnt vmcnt(0)
	v_and_b32_e32 v0, 48, v0
	v_cmp_ne_u32_e32 vcc, 0, v0
	s_and_saveexec_b64 s[28:29], vcc
	s_cbranch_execz .LBB6_10407
; %bb.10479:                            ;   in Loop: Header=BB6_10408 Depth=3
	buffer_load_dword v2, off, s[0:3], s33 offset:84 ; 4-byte Folded Reload
	buffer_load_dword v3, off, s[0:3], s33 offset:88 ; 4-byte Folded Reload
	;; [unrolled: 1-line block ×4, first 2 shown]
	s_waitcnt vmcnt(0)
	v_add_co_u32_e32 v2, vcc, 2, v2
	v_addc_co_u32_e32 v3, vcc, 0, v3, vcc
	buffer_store_dword v2, off, s[0:3], s33 offset:84 ; 4-byte Folded Spill
	s_nop 0
	buffer_store_dword v3, off, s[0:3], s33 offset:88 ; 4-byte Folded Spill
	flat_store_dwordx2 v[0:1], v[2:3]
	s_branch .LBB6_10407
.LBB6_10480:                            ;   in Loop: Header=BB6_47 Depth=1
	buffer_load_dword v2, off, s[0:3], s33 offset:592 ; 4-byte Folded Reload
	buffer_load_dword v3, off, s[0:3], s33 offset:596 ; 4-byte Folded Reload
	s_waitcnt vmcnt(0)
	v_mul_lo_u32 v1, v2, s67
	v_mul_lo_u32 v0, v3, s66
	v_mad_u64_u32 v[8:9], s[28:29], v2, s66, 0
	v_add3_u32 v9, v9, v1, v0
	buffer_load_dword v0, off, s[0:3], s33 offset:584 ; 4-byte Folded Reload
	buffer_load_dword v1, off, s[0:3], s33 offset:588 ; 4-byte Folded Reload
	s_waitcnt vmcnt(0)
	v_sub_co_u32_e32 v0, vcc, v0, v8
	v_subb_co_u32_e32 v1, vcc, v1, v9, vcc
	v_cmp_lt_i64_e32 vcc, v[2:3], v[0:1]
	v_cndmask_b32_e32 v1, v0, v2, vcc
	v_max_i32_e32 v2, 0, v1
	buffer_store_dword v2, off, s[0:3], s33 offset:360 ; 4-byte Folded Spill
	v_add_u32_e32 v2, 31, v2
	v_lshrrev_b32_e32 v2, 1, v2
	v_and_b32_e32 v2, 0x3ffffff0, v2
	v_cmp_lt_i32_e32 vcc, 0, v1
	v_mov_b32_e32 v0, 0
	v_max_i32_e32 v6, s81, v2
	s_and_b64 s[28:29], s[74:75], vcc
	v_mov_b32_e32 v1, 0
	buffer_store_dword v1, off, s[0:3], s33 offset:172 ; 4-byte Folded Spill
	s_and_saveexec_b64 s[90:91], s[28:29]
	s_cbranch_execnz .LBB6_10481
; %bb.23161:                            ;   in Loop: Header=BB6_47 Depth=1
	s_getpc_b64 s[98:99]
.Lpost_getpc44:
	s_add_u32 s98, s98, (.LBB6_22536-.Lpost_getpc44)&4294967295
	s_addc_u32 s99, s99, (.LBB6_22536-.Lpost_getpc44)>>32
	s_setpc_b64 s[98:99]
.LBB6_10481:                            ;   in Loop: Header=BB6_47 Depth=1
	buffer_load_dword v0, off, s[0:3], s33 offset:412 ; 4-byte Folded Reload
	s_mov_b32 s45, 1
	s_mov_b64 s[94:95], -1
	s_mov_b64 s[92:93], 0
	s_waitcnt vmcnt(0)
	v_add_co_u32_e32 v0, vcc, v8, v0
	buffer_store_dword v0, off, s[0:3], s33 offset:456 ; 4-byte Folded Spill
	buffer_load_dword v0, off, s[0:3], s33 offset:416 ; 4-byte Folded Reload
	s_waitcnt vmcnt(0)
	v_addc_co_u32_e32 v0, vcc, v9, v0, vcc
	buffer_store_dword v0, off, s[0:3], s33 offset:460 ; 4-byte Folded Spill
	v_mov_b32_e32 v0, 0
	buffer_store_dword v0, off, s[0:3], s33 offset:172 ; 4-byte Folded Spill
	s_branch .LBB6_10483
.LBB6_10482:                            ;   in Loop: Header=BB6_10483 Depth=2
	s_or_b64 exec, exec, s[28:29]
	buffer_load_dword v1, off, s[0:3], s33 offset:172 ; 4-byte Folded Reload
	buffer_load_dword v0, off, s[0:3], s33 offset:360 ; 4-byte Folded Reload
	s_xor_b64 s[28:29], s[94:95], -1
	s_mov_b64 s[94:95], 0
	s_waitcnt vmcnt(0)
	v_add_u32_e32 v1, v6, v1
	v_cmp_ge_i32_e32 vcc, v1, v0
	s_or_b64 s[28:29], s[28:29], vcc
	s_and_b64 s[28:29], exec, s[28:29]
	s_or_b64 s[92:93], s[28:29], s[92:93]
	v_mov_b32_e32 v0, s45
	s_mov_b32 s45, 2
	buffer_store_dword v1, off, s[0:3], s33 offset:172 ; 4-byte Folded Spill
	s_andn2_b64 exec, exec, s[92:93]
	s_cbranch_execnz .LBB6_10483
; %bb.23163:                            ;   in Loop: Header=BB6_47 Depth=1
	s_getpc_b64 s[98:99]
.Lpost_getpc45:
	s_add_u32 s98, s98, (.LBB6_22611-.Lpost_getpc45)&4294967295
	s_addc_u32 s99, s99, (.LBB6_22611-.Lpost_getpc45)>>32
	s_setpc_b64 s[98:99]
.LBB6_10483:                            ;   Parent Loop BB6_47 Depth=1
                                        ; =>  This Loop Header: Depth=2
                                        ;       Child Loop BB6_10491 Depth 3
                                        ;       Child Loop BB6_10519 Depth 3
	;; [unrolled: 1-line block ×9, first 2 shown]
                                        ;         Child Loop BB6_14568 Depth 4
                                        ;       Child Loop BB6_14596 Depth 3
                                        ;       Child Loop BB6_16461 Depth 3
                                        ;         Child Loop BB6_16525 Depth 4
                                        ;       Child Loop BB6_22502 Depth 3
                                        ;       Child Loop BB6_22521 Depth 3
	s_and_saveexec_b64 s[28:29], s[4:5]
	s_cbranch_execz .LBB6_10485
; %bb.10484:                            ;   in Loop: Header=BB6_10483 Depth=2
	s_trap 2
	buffer_load_dword v7, off, s[0:3], s33 offset:456 ; 4-byte Folded Reload
	buffer_load_dword v8, off, s[0:3], s33 offset:460 ; 4-byte Folded Reload
	;; [unrolled: 1-line block ×3, first 2 shown]
	ds_read2_b64 v[0:3], v0 offset1:1
	s_waitcnt vmcnt(0) lgkmcnt(0)
	v_add_co_u32_e32 v0, vcc, v0, v7
	v_addc_co_u32_e32 v1, vcc, v1, v8, vcc
	v_ashrrev_i32_e32 v4, 31, v5
	v_add_co_u32_e32 v0, vcc, v0, v5
	v_addc_co_u32_e32 v1, vcc, v1, v4, vcc
	ds_write_b64 v0, v[0:1]
	v_add_co_u32_e32 v0, vcc, v2, v7
	v_addc_co_u32_e32 v1, vcc, v3, v8, vcc
	v_add_co_u32_e32 v0, vcc, v0, v5
	v_addc_co_u32_e32 v1, vcc, v1, v4, vcc
	ds_write_b64 v0, v[0:1]
	ds_read_b64 v[0:1], v0
	s_waitcnt lgkmcnt(0)
	v_add_co_u32_e32 v2, vcc, v0, v7
	v_addc_co_u32_e32 v3, vcc, v1, v8, vcc
	v_add_co_u32_e32 v2, vcc, v2, v5
	v_addc_co_u32_e32 v3, vcc, v3, v4, vcc
	v_cmp_ne_u64_e32 vcc, 0, v[0:1]
	v_cndmask_b32_e32 v1, 0, v3, vcc
	v_cndmask_b32_e32 v0, 0, v2, vcc
	ds_write_b64 v0, v[0:1]
.LBB6_10485:                            ;   in Loop: Header=BB6_10483 Depth=2
	s_or_b64 exec, exec, s[28:29]
	buffer_load_dword v0, off, s[0:3], s33 offset:360 ; 4-byte Folded Reload
	buffer_load_dword v1, off, s[0:3], s33 offset:172 ; 4-byte Folded Reload
	s_waitcnt vmcnt(0)
	v_sub_u32_e32 v0, v0, v1
	v_min_i32_e32 v6, v6, v0
	buffer_load_dword v0, off, s[0:3], s33 offset:72 ; 4-byte Folded Reload
	s_waitcnt vmcnt(0)
	v_and_b32_e32 v0, 12, v0
	v_cmp_ne_u32_e32 vcc, 0, v0
	s_and_saveexec_b64 s[40:41], vcc
	s_cbranch_execz .LBB6_10511
; %bb.10486:                            ;   in Loop: Header=BB6_10483 Depth=2
	buffer_load_dword v0, off, s[0:3], s33 offset:72 ; 4-byte Folded Reload
	buffer_load_dword v1, off, s[0:3], s33 offset:56 ; 4-byte Folded Reload
	;; [unrolled: 1-line block ×5, first 2 shown]
	s_waitcnt vmcnt(0)
	v_and_b32_e32 v0, 8, v0
	v_add_co_u32_e32 v1, vcc, v1, v0
	v_addc_co_u32_e32 v2, vcc, 0, v2, vcc
	v_add_co_u32_e32 v8, vcc, 2, v3
	v_addc_co_u32_e32 v9, vcc, 0, v4, vcc
	v_cmp_lt_u64_e32 vcc, v[1:2], v[8:9]
	s_and_saveexec_b64 s[42:43], vcc
	s_cbranch_execz .LBB6_10498
; %bb.10487:                            ;   in Loop: Header=BB6_10483 Depth=2
	buffer_load_dword v1, off, s[0:3], s33 offset:72 ; 4-byte Folded Reload
	s_mov_b32 s9, 0
	s_mov_b64 s[30:31], 0
                                        ; implicit-def: $sgpr34_sgpr35
                                        ; implicit-def: $sgpr36_sgpr37
                                        ; implicit-def: $sgpr38_sgpr39
	s_waitcnt vmcnt(0)
	v_and_b32_e32 v1, 64, v1
	v_cmp_eq_u32_e32 vcc, 0, v1
	s_branch .LBB6_10491
.LBB6_10488:                            ;   in Loop: Header=BB6_10491 Depth=3
	buffer_load_dword v2, off, s[0:3], s33 offset:56 ; 4-byte Folded Reload
	buffer_load_dword v3, off, s[0:3], s33 offset:60 ; 4-byte Folded Reload
	s_or_b64 s[52:53], s[52:53], exec
	s_waitcnt vmcnt(1)
	v_add_co_u32_e64 v2, s[28:29], v2, v0
	s_waitcnt vmcnt(0)
	v_addc_co_u32_e64 v3, s[28:29], 0, v3, s[28:29]
	v_cmp_ge_u64_e64 s[28:29], v[2:3], v[8:9]
	s_orn2_b64 s[50:51], s[28:29], exec
.LBB6_10489:                            ;   in Loop: Header=BB6_10491 Depth=3
	s_or_b64 exec, exec, s[64:65]
	s_andn2_b64 s[28:29], s[38:39], exec
	s_and_b64 s[38:39], s[52:53], exec
	s_or_b64 s[38:39], s[28:29], s[38:39]
	s_andn2_b64 s[28:29], s[36:37], exec
	s_and_b64 s[36:37], s[50:51], exec
	s_or_b64 s[36:37], s[28:29], s[36:37]
.LBB6_10490:                            ;   in Loop: Header=BB6_10491 Depth=3
	s_or_b64 exec, exec, s[48:49]
	s_and_b64 s[28:29], exec, s[36:37]
	s_or_b64 s[30:31], s[28:29], s[30:31]
	s_andn2_b64 s[28:29], s[34:35], exec
	s_and_b64 s[34:35], s[38:39], exec
	s_or_b64 s[34:35], s[28:29], s[34:35]
	s_andn2_b64 exec, exec, s[30:31]
	s_cbranch_execz .LBB6_10495
.LBB6_10491:                            ;   Parent Loop BB6_47 Depth=1
                                        ;     Parent Loop BB6_10483 Depth=2
                                        ; =>    This Inner Loop Header: Depth=3
	s_sleep 1
	buffer_load_dword v1, off, s[0:3], s33 offset:64 ; 4-byte Folded Reload
	buffer_load_dword v2, off, s[0:3], s33 offset:68 ; 4-byte Folded Reload
	s_or_b64 s[38:39], s[38:39], exec
	s_or_b64 s[36:37], s[36:37], exec
	s_waitcnt vmcnt(0)
	flat_load_dwordx2 v[1:2], v[1:2] glc
	s_waitcnt vmcnt(0) lgkmcnt(0)
	buffer_store_dword v1, off, s[0:3], s33 offset:56 ; 4-byte Folded Spill
	s_nop 0
	buffer_store_dword v2, off, s[0:3], s33 offset:60 ; 4-byte Folded Spill
                                        ; implicit-def: $vgpr1
	s_and_saveexec_b64 s[48:49], vcc
	s_cbranch_execz .LBB6_10490
; %bb.10492:                            ;   in Loop: Header=BB6_10491 Depth=3
	s_cmpk_lt_i32 s9, 0x270f
	s_cselect_b64 s[54:55], -1, 0
	s_cmpk_gt_i32 s9, 0x270e
	s_mov_b64 s[50:51], -1
	s_cbranch_scc0 .LBB6_10494
; %bb.10493:                            ;   in Loop: Header=BB6_10491 Depth=3
	s_trap 2
	ds_read_b64 v[1:2], v0
	s_andn2_b64 s[54:55], s[54:55], exec
	s_mov_b32 s9, 0
	s_mov_b64 s[52:53], 0
	s_waitcnt vmcnt(0) lgkmcnt(0)
	flat_load_dword v1, v[1:2] glc
	s_waitcnt vmcnt(0) lgkmcnt(0)
	buffer_wbinvl1_vol
	v_cmp_eq_u32_e64 s[28:29], 0, v1
	s_and_b64 s[28:29], s[28:29], exec
	s_or_b64 s[54:55], s[54:55], s[28:29]
	s_and_saveexec_b64 s[64:65], s[54:55]
	s_cbranch_execz .LBB6_10489
	s_branch .LBB6_10488
.LBB6_10494:                            ;   in Loop: Header=BB6_10491 Depth=3
	s_add_i32 s9, s9, 1
	s_mov_b64 s[52:53], -1
                                        ; implicit-def: $vgpr1
	s_and_saveexec_b64 s[64:65], s[54:55]
	s_cbranch_execz .LBB6_10489
	s_branch .LBB6_10488
.LBB6_10495:                            ;   in Loop: Header=BB6_10483 Depth=2
	s_or_b64 exec, exec, s[30:31]
	s_xor_b64 s[28:29], s[34:35], -1
	s_and_saveexec_b64 vcc, s[28:29]
	s_xor_b64 s[28:29], exec, vcc
	s_cbranch_execz .LBB6_10497
; %bb.10496:                            ;   in Loop: Header=BB6_10483 Depth=2
	ds_write_b32 v0, v1
	s_trap 2
	buffer_load_dword v1, off, s[0:3], s33 offset:72 ; 4-byte Folded Reload
	s_waitcnt vmcnt(0)
	v_or_b32_e32 v1, 64, v1
	buffer_store_dword v1, off, s[0:3], s33 offset:72 ; 4-byte Folded Spill
.LBB6_10497:                            ;   in Loop: Header=BB6_10483 Depth=2
	s_or_b64 exec, exec, s[28:29]
.LBB6_10498:                            ;   in Loop: Header=BB6_10483 Depth=2
	s_or_b64 exec, exec, s[42:43]
	;;#ASMSTART
	s_wakeup
	;;#ASMEND
	buffer_load_dword v1, off, s[0:3], s33 offset:72 ; 4-byte Folded Reload
                                        ; implicit-def: $vgpr10_vgpr11
	s_waitcnt vmcnt(0)
	v_and_b32_e32 v1, 0x108, v1
	v_cmp_ne_u32_e32 vcc, s44, v1
	s_and_saveexec_b64 s[28:29], vcc
	s_xor_b64 s[28:29], exec, s[28:29]
	s_cbranch_execz .LBB6_10500
; %bb.10499:                            ;   in Loop: Header=BB6_10483 Depth=2
	buffer_load_dword v1, off, s[0:3], s33 offset:84 ; 4-byte Folded Reload
	buffer_load_dword v2, off, s[0:3], s33 offset:88 ; 4-byte Folded Reload
	v_mov_b32_e32 v11, v51
	s_waitcnt vmcnt(0)
	v_and_b32_e32 v10, 7, v1
                                        ; implicit-def: $vgpr1_vgpr2
                                        ; kill: killed $vgpr1_vgpr2
.LBB6_10500:                            ;   in Loop: Header=BB6_10483 Depth=2
	s_andn2_saveexec_b64 s[28:29], s[28:29]
	s_cbranch_execz .LBB6_10502
; %bb.10501:                            ;   in Loop: Header=BB6_10483 Depth=2
	buffer_load_dword v1, off, s[0:3], s33 offset:84 ; 4-byte Folded Reload
	buffer_load_dword v2, off, s[0:3], s33 offset:88 ; 4-byte Folded Reload
	v_mov_b32_e32 v11, v51
	v_ashrrev_i32_e32 v7, 31, v6
	s_waitcnt vmcnt(0)
	v_and_b32_e32 v10, 7, v1
	buffer_load_dword v1, off, s[0:3], s33 offset:332 ; 4-byte Folded Reload
	buffer_load_dword v2, off, s[0:3], s33 offset:336 ; 4-byte Folded Reload
	buffer_load_dword v3, off, s[0:3], s33 offset:340 ; 4-byte Folded Reload
	buffer_load_dword v4, off, s[0:3], s33 offset:344 ; 4-byte Folded Reload
	s_waitcnt vmcnt(0)
	v_mad_u64_u32 v[1:2], s[42:43], v10, 24, v[1:2]
	flat_store_dwordx2 v[1:2], v[6:7] offset:8
.LBB6_10502:                            ;   in Loop: Header=BB6_10483 Depth=2
	s_or_b64 exec, exec, s[28:29]
	buffer_load_dword v1, off, s[0:3], s33 offset:72 ; 4-byte Folded Reload
	s_mov_b64 s[28:29], -1
                                        ; implicit-def: $vgpr12_vgpr13
	s_waitcnt vmcnt(0)
	v_and_b32_e32 v1, 0x100, v1
	v_cmp_ne_u32_e32 vcc, 0, v1
	s_and_saveexec_b64 s[42:43], vcc
	s_cbranch_execz .LBB6_10506
; %bb.10503:                            ;   in Loop: Header=BB6_10483 Depth=2
	buffer_load_dword v1, off, s[0:3], s33 offset:332 ; 4-byte Folded Reload
	buffer_load_dword v2, off, s[0:3], s33 offset:336 ; 4-byte Folded Reload
	;; [unrolled: 1-line block ×4, first 2 shown]
                                        ; implicit-def: $vgpr12_vgpr13
	s_waitcnt vmcnt(0)
	v_mad_u64_u32 v[4:5], s[28:29], v10, 24, v[1:2]
	v_mov_b32_e32 v1, v5
	v_mad_u64_u32 v[1:2], s[28:29], v11, 24, v[1:2]
	v_mov_b32_e32 v5, v1
	flat_load_dword v1, v[4:5]
	s_waitcnt vmcnt(0) lgkmcnt(0)
	v_cmp_ne_u32_e32 vcc, 1, v1
	v_cmp_eq_u32_e64 s[28:29], 1, v1
	s_and_saveexec_b64 s[30:31], s[28:29]
	s_cbranch_execz .LBB6_10505
; %bb.10504:                            ;   in Loop: Header=BB6_10483 Depth=2
	flat_load_dword v12, v[4:5] offset:4 glc
	s_waitcnt vmcnt(0) lgkmcnt(0)
	v_ashrrev_i32_e32 v13, 31, v12
.LBB6_10505:                            ;   in Loop: Header=BB6_10483 Depth=2
	s_or_b64 exec, exec, s[30:31]
	s_orn2_b64 s[28:29], vcc, exec
.LBB6_10506:                            ;   in Loop: Header=BB6_10483 Depth=2
	s_or_b64 exec, exec, s[42:43]
	s_and_saveexec_b64 s[42:43], s[28:29]
	s_cbranch_execz .LBB6_10508
; %bb.10507:                            ;   in Loop: Header=BB6_10483 Depth=2
	buffer_load_dword v3, off, s[0:3], s33 offset:368 ; 4-byte Folded Reload
	buffer_load_dword v2, off, s[0:3], s33 offset:388 ; 4-byte Folded Reload
	s_waitcnt vmcnt(0)
	v_mul_lo_u32 v1, v11, v3
	v_mul_lo_u32 v2, v10, v2
	v_mad_u64_u32 v[12:13], s[28:29], v10, v3, 0
	v_add3_u32 v13, v13, v2, v1
.LBB6_10508:                            ;   in Loop: Header=BB6_10483 Depth=2
	s_or_b64 exec, exec, s[42:43]
	v_cmp_eq_u32_e32 vcc, 0, v0
	v_mov_b32_e32 v0, 0x90
	v_mov_b32_e32 v1, 0xd0
	v_cndmask_b32_e32 v2, v1, v0, vcc
	buffer_load_dword v0, off, s[0:3], s33 offset:324 ; 4-byte Folded Reload
	buffer_load_dword v1, off, s[0:3], s33 offset:328 ; 4-byte Folded Reload
	s_waitcnt vmcnt(0)
	v_add_co_u32_e32 v0, vcc, v0, v12
	v_addc_co_u32_e32 v1, vcc, v1, v13, vcc
	v_add_u32_e32 v2, v0, v2
	ds_write_b64 v2, v[0:1] offset:584
	buffer_load_dword v0, off, s[0:3], s33 offset:72 ; 4-byte Folded Reload
	s_waitcnt vmcnt(0)
	v_and_b32_e32 v0, 0x2000, v0
	v_cmp_ne_u32_e32 vcc, 0, v0
	s_and_saveexec_b64 s[28:29], vcc
	s_cbranch_execz .LBB6_10510
; %bb.10509:                            ;   in Loop: Header=BB6_10483 Depth=2
	ds_read_b64 v[0:1], v0 offset:872
	s_waitcnt lgkmcnt(0)
	v_add_co_u32_e32 v0, vcc, 1, v0
	v_addc_co_u32_e32 v1, vcc, 0, v1, vcc
	ds_write_b64 v0, v[0:1] offset:872
.LBB6_10510:                            ;   in Loop: Header=BB6_10483 Depth=2
	s_or_b64 exec, exec, s[28:29]
	buffer_store_dword v8, off, s[0:3], s33 offset:84 ; 4-byte Folded Spill
	s_nop 0
	buffer_store_dword v9, off, s[0:3], s33 offset:88 ; 4-byte Folded Spill
.LBB6_10511:                            ;   in Loop: Header=BB6_10483 Depth=2
	s_or_b64 exec, exec, s[40:41]
	s_and_saveexec_b64 s[28:29], s[12:13]
	s_cbranch_execz .LBB6_10530
; %bb.10512:                            ;   in Loop: Header=BB6_10483 Depth=2
	s_and_saveexec_b64 s[40:41], s[58:59]
	s_xor_b64 s[40:41], exec, s[40:41]
	s_cbranch_execz .LBB6_10527
; %bb.10513:                            ;   in Loop: Header=BB6_10483 Depth=2
	s_and_saveexec_b64 s[42:43], s[6:7]
	s_cbranch_execz .LBB6_10526
; %bb.10514:                            ;   in Loop: Header=BB6_10483 Depth=2
	s_mov_b64 s[34:35], exec
	v_mbcnt_lo_u32_b32 v0, s34, 0
	v_mbcnt_hi_u32_b32 v0, s35, v0
	v_cmp_eq_u32_e32 vcc, 0, v0
	s_waitcnt vmcnt(0) lgkmcnt(0)
	buffer_wbinvl1_vol
	s_and_saveexec_b64 s[30:31], vcc
	s_cbranch_execz .LBB6_10516
; %bb.10515:                            ;   in Loop: Header=BB6_10483 Depth=2
	s_bcnt1_i32_b64 s9, s[34:35]
	v_mov_b32_e32 v0, s9
	v_mov_b32_e32 v1, v51
	ds_add_u64 v0, v[0:1]
	s_trap 2
.LBB6_10516:                            ;   in Loop: Header=BB6_10483 Depth=2
	s_or_b64 exec, exec, s[30:31]
	s_trap 2
	ds_read_b64 v[0:1], v0
	s_waitcnt lgkmcnt(0)
	buffer_load_dword v2, off, s[0:3], s33 offset:76 ; 4-byte Folded Reload
	buffer_load_dword v3, off, s[0:3], s33 offset:80 ; 4-byte Folded Reload
	;; [unrolled: 1-line block ×3, first 2 shown]
	s_waitcnt vmcnt(0)
	v_add_co_u32_e32 v2, vcc, v2, v4
	v_addc_co_u32_e32 v3, vcc, 0, v3, vcc
	buffer_store_dword v2, off, s[0:3], s33 offset:76 ; 4-byte Folded Spill
	s_nop 0
	buffer_store_dword v3, off, s[0:3], s33 offset:80 ; 4-byte Folded Spill
	v_cmp_lt_u64_e32 vcc, v[0:1], v[2:3]
	s_and_saveexec_b64 s[30:31], vcc
	s_cbranch_execz .LBB6_10525
; %bb.10517:                            ;   in Loop: Header=BB6_10483 Depth=2
	s_mov_b32 s9, 0
	s_mov_b64 s[34:35], 0
                                        ; implicit-def: $sgpr36_sgpr37
                                        ; implicit-def: $sgpr38_sgpr39
	s_branch .LBB6_10519
.LBB6_10518:                            ;   in Loop: Header=BB6_10519 Depth=3
	s_or_b64 exec, exec, s[50:51]
	s_and_b64 vcc, exec, vcc
	s_or_b64 s[34:35], vcc, s[34:35]
	s_andn2_b64 vcc, s[36:37], exec
	s_and_b64 s[36:37], s[38:39], exec
	s_or_b64 s[36:37], vcc, s[36:37]
	s_andn2_b64 exec, exec, s[34:35]
	s_cbranch_execz .LBB6_10523
.LBB6_10519:                            ;   Parent Loop BB6_47 Depth=1
                                        ;     Parent Loop BB6_10483 Depth=2
                                        ; =>    This Inner Loop Header: Depth=3
	s_add_i32 s9, s9, 1
	s_cmpk_lg_i32 s9, 0x2710
	s_cselect_b64 s[48:49], -1, 0
	s_and_b64 vcc, exec, s[48:49]
	s_cbranch_vccz .LBB6_10521
; %bb.10520:                            ;   in Loop: Header=BB6_10519 Depth=3
	s_mov_b64 vcc, -1
	s_or_b64 s[38:39], s[38:39], exec
	s_and_saveexec_b64 s[50:51], s[48:49]
	s_cbranch_execz .LBB6_10518
	s_branch .LBB6_10522
.LBB6_10521:                            ;   in Loop: Header=BB6_10519 Depth=3
	s_trap 2
	ds_read_b64 v[0:1], v0
	s_andn2_b64 s[48:49], s[48:49], exec
	s_mov_b32 s9, 0
	s_waitcnt vmcnt(0) lgkmcnt(0)
	flat_load_dword v0, v[0:1] glc
	s_waitcnt vmcnt(0) lgkmcnt(0)
	buffer_wbinvl1_vol
	v_cmp_eq_u32_e32 vcc, 0, v0
	s_and_b64 vcc, vcc, exec
	s_or_b64 s[48:49], s[48:49], vcc
	s_mov_b64 vcc, -1
	s_or_b64 s[38:39], s[38:39], exec
	s_and_saveexec_b64 s[50:51], s[48:49]
	s_cbranch_execz .LBB6_10518
.LBB6_10522:                            ;   in Loop: Header=BB6_10519 Depth=3
	s_sleep 1
	s_trap 2
	ds_read_b64 v[0:1], v0
	s_waitcnt lgkmcnt(0)
	buffer_load_dword v2, off, s[0:3], s33 offset:76 ; 4-byte Folded Reload
	buffer_load_dword v3, off, s[0:3], s33 offset:80 ; 4-byte Folded Reload
	s_andn2_b64 s[38:39], s[38:39], exec
	s_waitcnt vmcnt(0)
	v_cmp_ge_u64_e32 vcc, v[0:1], v[2:3]
	s_orn2_b64 vcc, vcc, exec
	s_branch .LBB6_10518
.LBB6_10523:                            ;   in Loop: Header=BB6_10483 Depth=2
	s_or_b64 exec, exec, s[34:35]
	s_and_saveexec_b64 vcc, s[36:37]
	s_xor_b64 vcc, exec, vcc
	s_cbranch_execz .LBB6_10525
; %bb.10524:                            ;   in Loop: Header=BB6_10483 Depth=2
	v_mov_b32_e32 v0, 1
	ds_write_b32 v0, v0
	s_trap 2
.LBB6_10525:                            ;   in Loop: Header=BB6_10483 Depth=2
	s_or_b64 exec, exec, s[30:31]
	;;#ASMSTART
	s_wakeup
	;;#ASMEND
.LBB6_10526:                            ;   in Loop: Header=BB6_10483 Depth=2
	s_or_b64 exec, exec, s[42:43]
.LBB6_10527:                            ;   in Loop: Header=BB6_10483 Depth=2
	s_andn2_saveexec_b64 s[40:41], s[40:41]
	s_cbranch_execz .LBB6_10529
; %bb.10528:                            ;   in Loop: Header=BB6_10483 Depth=2
	s_waitcnt vmcnt(0) lgkmcnt(0)
	buffer_wbinvl1_vol
	s_barrier
.LBB6_10529:                            ;   in Loop: Header=BB6_10483 Depth=2
	s_or_b64 exec, exec, s[40:41]
.LBB6_10530:                            ;   in Loop: Header=BB6_10483 Depth=2
	s_or_b64 exec, exec, s[28:29]
	s_trap 2
	buffer_load_dword v1, off, s[0:3], s33 offset:72 ; 4-byte Folded Reload
	ds_read_b32 v0, v0
	s_xor_b64 s[28:29], s[10:11], -1
	s_waitcnt vmcnt(0)
	v_and_b32_e32 v1, 0x4000, v1
	v_cmp_ne_u32_e32 vcc, 0, v1
	s_and_b64 s[40:41], s[28:29], vcc
	s_and_saveexec_b64 s[28:29], s[40:41]
	s_cbranch_execz .LBB6_10549
; %bb.10531:                            ;   in Loop: Header=BB6_10483 Depth=2
	s_and_saveexec_b64 s[40:41], s[58:59]
	s_xor_b64 s[40:41], exec, s[40:41]
	s_cbranch_execz .LBB6_10546
; %bb.10532:                            ;   in Loop: Header=BB6_10483 Depth=2
	s_and_saveexec_b64 s[42:43], s[6:7]
	s_cbranch_execz .LBB6_10545
; %bb.10533:                            ;   in Loop: Header=BB6_10483 Depth=2
	s_mov_b64 s[34:35], exec
	v_mbcnt_lo_u32_b32 v1, s34, 0
	v_mbcnt_hi_u32_b32 v1, s35, v1
	v_cmp_eq_u32_e32 vcc, 0, v1
	s_waitcnt lgkmcnt(0)
	buffer_wbinvl1_vol
	s_and_saveexec_b64 s[30:31], vcc
	s_cbranch_execz .LBB6_10535
; %bb.10534:                            ;   in Loop: Header=BB6_10483 Depth=2
	s_bcnt1_i32_b64 s9, s[34:35]
	v_mov_b32_e32 v1, s9
	v_mov_b32_e32 v2, v51
	ds_add_u64 v0, v[1:2]
	s_trap 2
.LBB6_10535:                            ;   in Loop: Header=BB6_10483 Depth=2
	s_or_b64 exec, exec, s[30:31]
	s_trap 2
	ds_read_b64 v[1:2], v0
	s_waitcnt lgkmcnt(0)
	buffer_load_dword v3, off, s[0:3], s33 offset:76 ; 4-byte Folded Reload
	buffer_load_dword v4, off, s[0:3], s33 offset:80 ; 4-byte Folded Reload
	;; [unrolled: 1-line block ×3, first 2 shown]
	s_waitcnt vmcnt(0)
	v_add_co_u32_e32 v3, vcc, v3, v5
	v_addc_co_u32_e32 v4, vcc, 0, v4, vcc
	buffer_store_dword v3, off, s[0:3], s33 offset:76 ; 4-byte Folded Spill
	s_nop 0
	buffer_store_dword v4, off, s[0:3], s33 offset:80 ; 4-byte Folded Spill
	v_cmp_lt_u64_e32 vcc, v[1:2], v[3:4]
	s_and_saveexec_b64 s[30:31], vcc
	s_cbranch_execz .LBB6_10544
; %bb.10536:                            ;   in Loop: Header=BB6_10483 Depth=2
	s_mov_b32 s9, 0
	s_mov_b64 s[34:35], 0
                                        ; implicit-def: $sgpr36_sgpr37
                                        ; implicit-def: $sgpr38_sgpr39
	s_branch .LBB6_10538
.LBB6_10537:                            ;   in Loop: Header=BB6_10538 Depth=3
	s_or_b64 exec, exec, s[50:51]
	s_and_b64 vcc, exec, vcc
	s_or_b64 s[34:35], vcc, s[34:35]
	s_andn2_b64 vcc, s[36:37], exec
	s_and_b64 s[36:37], s[38:39], exec
	s_or_b64 s[36:37], vcc, s[36:37]
	s_andn2_b64 exec, exec, s[34:35]
	s_cbranch_execz .LBB6_10542
.LBB6_10538:                            ;   Parent Loop BB6_47 Depth=1
                                        ;     Parent Loop BB6_10483 Depth=2
                                        ; =>    This Inner Loop Header: Depth=3
	s_add_i32 s9, s9, 1
	s_cmpk_lg_i32 s9, 0x2710
	s_cselect_b64 s[48:49], -1, 0
	s_and_b64 vcc, exec, s[48:49]
	s_cbranch_vccz .LBB6_10540
; %bb.10539:                            ;   in Loop: Header=BB6_10538 Depth=3
	s_mov_b64 vcc, -1
	s_or_b64 s[38:39], s[38:39], exec
	s_and_saveexec_b64 s[50:51], s[48:49]
	s_cbranch_execz .LBB6_10537
	s_branch .LBB6_10541
.LBB6_10540:                            ;   in Loop: Header=BB6_10538 Depth=3
	s_trap 2
	ds_read_b64 v[1:2], v0
	s_andn2_b64 s[48:49], s[48:49], exec
	s_mov_b32 s9, 0
	s_waitcnt vmcnt(0) lgkmcnt(0)
	flat_load_dword v1, v[1:2] glc
	s_waitcnt vmcnt(0) lgkmcnt(0)
	buffer_wbinvl1_vol
	v_cmp_eq_u32_e32 vcc, 0, v1
	s_and_b64 vcc, vcc, exec
	s_or_b64 s[48:49], s[48:49], vcc
	s_mov_b64 vcc, -1
	s_or_b64 s[38:39], s[38:39], exec
	s_and_saveexec_b64 s[50:51], s[48:49]
	s_cbranch_execz .LBB6_10537
.LBB6_10541:                            ;   in Loop: Header=BB6_10538 Depth=3
	s_sleep 1
	s_trap 2
	ds_read_b64 v[1:2], v0
	s_waitcnt lgkmcnt(0)
	buffer_load_dword v3, off, s[0:3], s33 offset:76 ; 4-byte Folded Reload
	buffer_load_dword v4, off, s[0:3], s33 offset:80 ; 4-byte Folded Reload
	s_andn2_b64 s[38:39], s[38:39], exec
	s_waitcnt vmcnt(0)
	v_cmp_ge_u64_e32 vcc, v[1:2], v[3:4]
	s_orn2_b64 vcc, vcc, exec
	s_branch .LBB6_10537
.LBB6_10542:                            ;   in Loop: Header=BB6_10483 Depth=2
	s_or_b64 exec, exec, s[34:35]
	s_and_saveexec_b64 vcc, s[36:37]
	s_xor_b64 vcc, exec, vcc
	s_cbranch_execz .LBB6_10544
; %bb.10543:                            ;   in Loop: Header=BB6_10483 Depth=2
	v_mov_b32_e32 v1, 1
	ds_write_b32 v0, v1
	s_trap 2
.LBB6_10544:                            ;   in Loop: Header=BB6_10483 Depth=2
	s_or_b64 exec, exec, s[30:31]
	;;#ASMSTART
	s_wakeup
	;;#ASMEND
.LBB6_10545:                            ;   in Loop: Header=BB6_10483 Depth=2
	s_or_b64 exec, exec, s[42:43]
.LBB6_10546:                            ;   in Loop: Header=BB6_10483 Depth=2
	s_andn2_saveexec_b64 s[40:41], s[40:41]
	s_cbranch_execz .LBB6_10548
; %bb.10547:                            ;   in Loop: Header=BB6_10483 Depth=2
	s_waitcnt vmcnt(0) lgkmcnt(0)
	buffer_wbinvl1_vol
	s_barrier
.LBB6_10548:                            ;   in Loop: Header=BB6_10483 Depth=2
	s_or_b64 exec, exec, s[40:41]
.LBB6_10549:                            ;   in Loop: Header=BB6_10483 Depth=2
	s_or_b64 exec, exec, s[28:29]
	s_trap 2
	s_waitcnt lgkmcnt(0)
	ds_read_b64 v[1:2], v0
	s_waitcnt lgkmcnt(0)
	v_cmp_eq_u64_e32 vcc, 0, v[1:2]
	s_cbranch_vccnz .LBB6_10558
; %bb.10550:                            ;   in Loop: Header=BB6_10483 Depth=2
	buffer_store_dword v1, off, s[0:3], s33 offset:436 ; 4-byte Folded Spill
	s_nop 0
	buffer_store_dword v2, off, s[0:3], s33 offset:440 ; 4-byte Folded Spill
	s_trap 2
	ds_read_b64 v[1:2], v0
	s_waitcnt lgkmcnt(0)
	buffer_store_dword v1, off, s[0:3], s33 offset:420 ; 4-byte Folded Spill
	s_nop 0
	buffer_store_dword v2, off, s[0:3], s33 offset:424 ; 4-byte Folded Spill
	v_cmp_eq_u64_e32 vcc, 0, v[1:2]
	s_cbranch_vccnz .LBB6_10558
; %bb.10551:                            ;   in Loop: Header=BB6_10483 Depth=2
	s_trap 2
	ds_read_b64 v[52:53], v0
	v_cmp_eq_u32_e64 s[28:29], 0, v0
	v_cndmask_b32_e64 v0, 0, v6, s[28:29]
	buffer_store_dword v0, off, s[0:3], s33 offset:364 ; 4-byte Folded Spill
	buffer_store_dword v6, off, s[0:3], s33 offset:444 ; 4-byte Folded Spill
	s_nop 0
	buffer_store_dword v7, off, s[0:3], s33 offset:448 ; 4-byte Folded Spill
	s_waitcnt lgkmcnt(0)
	v_cmp_ne_u64_e32 vcc, 0, v[52:53]
	s_cbranch_vccz .LBB6_10563
; %bb.10552:                            ;   in Loop: Header=BB6_10483 Depth=2
	s_mov_b64 s[40:41], -1
	s_and_saveexec_b64 s[28:29], s[24:25]
	s_cbranch_execz .LBB6_10554
; %bb.10553:                            ;   in Loop: Header=BB6_10483 Depth=2
	ds_read_b32 v0, v0 offset:720
	s_waitcnt lgkmcnt(0)
	v_and_b32_e32 v0, 15, v0
	v_cmp_eq_u32_e32 vcc, 0, v0
	s_orn2_b64 s[40:41], vcc, exec
.LBB6_10554:                            ;   in Loop: Header=BB6_10483 Depth=2
	s_or_b64 exec, exec, s[28:29]
	s_and_saveexec_b64 s[28:29], s[24:25]
	s_cbranch_execz .LBB6_10556
; %bb.10555:                            ;   in Loop: Header=BB6_10483 Depth=2
	ds_read_b32 v0, v0 offset:784
	s_waitcnt lgkmcnt(0)
	v_and_b32_e32 v0, 15, v0
	v_cmp_eq_u32_e32 vcc, 0, v0
	s_and_b64 s[42:43], s[40:41], vcc
	s_andn2_b64 s[40:41], s[40:41], exec
	s_and_b64 s[42:43], s[42:43], exec
	s_or_b64 s[40:41], s[40:41], s[42:43]
.LBB6_10556:                            ;   in Loop: Header=BB6_10483 Depth=2
	s_or_b64 exec, exec, s[28:29]
	buffer_load_dword v3, off, s[0:3], s33 offset:364 ; 4-byte Folded Reload
	buffer_load_dword v2, off, s[0:3], s33 offset:392 ; 4-byte Folded Reload
	s_xor_b64 s[40:41], s[40:41], -1
	v_cndmask_b32_e64 v0, 0, 1, s[40:41]
	s_mov_b64 s[28:29], -1
	v_mov_b32_e32 v6, 0
	v_cmp_ne_u32_e32 vcc, 0, v0
	s_cbranch_vccz .LBB6_10564
; %bb.10557:                            ;   in Loop: Header=BB6_10483 Depth=2
	s_and_saveexec_b64 s[42:43], s[28:29]
	s_cbranch_execnz .LBB6_14593
; %bb.23165:                            ;   in Loop: Header=BB6_10483 Depth=2
	s_getpc_b64 s[98:99]
.Lpost_getpc46:
	s_add_u32 s98, s98, (.LBB6_16527-.Lpost_getpc46)&4294967295
	s_addc_u32 s99, s99, (.LBB6_16527-.Lpost_getpc46)>>32
	s_setpc_b64 s[98:99]
.LBB6_10558:                            ;   in Loop: Header=BB6_10483 Depth=2
	s_mov_b64 s[28:29], 0
	s_and_saveexec_b64 s[40:41], s[12:13]
	s_cbranch_execz .LBB6_10559
; %bb.23167:                            ;   in Loop: Header=BB6_10483 Depth=2
	s_getpc_b64 s[98:99]
.Lpost_getpc47:
	s_add_u32 s98, s98, (.LBB6_22495-.Lpost_getpc47)&4294967295
	s_addc_u32 s99, s99, (.LBB6_22495-.Lpost_getpc47)>>32
	s_setpc_b64 s[98:99]
.LBB6_10559:                            ;   in Loop: Header=BB6_10483 Depth=2
	s_or_b64 exec, exec, s[40:41]
                                        ; implicit-def: $vgpr0
	s_and_saveexec_b64 s[40:41], s[18:19]
	s_xor_b64 s[40:41], exec, s[40:41]
	s_cbranch_execnz .LBB6_10560
; %bb.23169:                            ;   in Loop: Header=BB6_10483 Depth=2
	s_getpc_b64 s[98:99]
.Lpost_getpc48:
	s_add_u32 s98, s98, (.LBB6_22513-.Lpost_getpc48)&4294967295
	s_addc_u32 s99, s99, (.LBB6_22513-.Lpost_getpc48)>>32
	s_setpc_b64 s[98:99]
.LBB6_10560:                            ;   in Loop: Header=BB6_10483 Depth=2
	buffer_load_dword v1, off, s[0:3], s33 offset:72 ; 4-byte Folded Reload
	s_waitcnt vmcnt(0)
	v_and_b32_e32 v0, 16, v1
	v_and_b32_e32 v1, 16, v1
	v_cmp_ne_u32_e32 vcc, 0, v1
	s_and_b64 s[42:43], vcc, s[28:29]
	s_and_saveexec_b64 s[28:29], s[42:43]
	s_cbranch_execz .LBB6_10562
; %bb.10561:                            ;   in Loop: Header=BB6_10483 Depth=2
	v_mov_b32_e32 v0, 1
	s_waitcnt lgkmcnt(0)
	buffer_wbinvl1_vol
.LBB6_10562:                            ;   in Loop: Header=BB6_10483 Depth=2
	s_or_b64 exec, exec, s[28:29]
	s_andn2_saveexec_b64 s[28:29], s[40:41]
	s_cbranch_execnz .LBB6_23121
; %bb.23171:                            ;   in Loop: Header=BB6_10483 Depth=2
	s_getpc_b64 s[98:99]
.Lpost_getpc49:
	s_add_u32 s98, s98, (.LBB6_22532-.Lpost_getpc49)&4294967295
	s_addc_u32 s99, s99, (.LBB6_22532-.Lpost_getpc49)>>32
	s_setpc_b64 s[98:99]
.LBB6_23121:                            ;   in Loop: Header=BB6_10483 Depth=2
	s_getpc_b64 s[98:99]
.Lpost_getpc24:
	s_add_u32 s98, s98, (.LBB6_22514-.Lpost_getpc24)&4294967295
	s_addc_u32 s99, s99, (.LBB6_22514-.Lpost_getpc24)>>32
	s_setpc_b64 s[98:99]
.LBB6_10563:                            ;   in Loop: Header=BB6_10483 Depth=2
	s_cbranch_execz .LBB6_23123
; %bb.23173:                            ;   in Loop: Header=BB6_10483 Depth=2
	s_getpc_b64 s[98:99]
.Lpost_getpc50:
	s_add_u32 s98, s98, (.LBB6_16528-.Lpost_getpc50)&4294967295
	s_addc_u32 s99, s99, (.LBB6_16528-.Lpost_getpc50)>>32
	s_setpc_b64 s[98:99]
.LBB6_23123:                            ;   in Loop: Header=BB6_10483 Depth=2
	s_getpc_b64 s[98:99]
.Lpost_getpc25:
	s_add_u32 s98, s98, (.LBB6_22494-.Lpost_getpc25)&4294967295
	s_addc_u32 s99, s99, (.LBB6_22494-.Lpost_getpc25)>>32
	s_setpc_b64 s[98:99]
.LBB6_10564:                            ;   in Loop: Header=BB6_10483 Depth=2
	buffer_load_dword v1, off, s[0:3], s33 offset:364 ; 4-byte Folded Reload
	s_waitcnt vmcnt(0)
	v_ashrrev_i32_e32 v0, 31, v1
	v_lshrrev_b32_e32 v0, 20, v0
	v_add_u32_e32 v0, v1, v0
	v_ashrrev_i32_e32 v1, 12, v0
	buffer_load_dword v0, off, s[0:3], s33 offset:428 ; 4-byte Folded Reload
	s_waitcnt vmcnt(0)
	v_sub_u32_e32 v58, v1, v0
	v_cmp_lt_i32_e32 vcc, 0, v58
	s_and_saveexec_b64 s[40:41], vcc
	s_cbranch_execz .LBB6_13776
; %bb.10565:                            ;   in Loop: Header=BB6_10483 Depth=2
	buffer_store_dword v1, off, s[0:3], s33 offset:472 ; 4-byte Folded Spill
	s_trap 2
	ds_read_b64 v[0:1], v0
	buffer_load_dword v2, off, s[0:3], s33 offset:572 ; 4-byte Folded Reload
	buffer_load_dword v3, off, s[0:3], s33 offset:436 ; 4-byte Folded Reload
	;; [unrolled: 1-line block ×3, first 2 shown]
	s_waitcnt lgkmcnt(0)
	v_readfirstlane_b32 s9, v0
	s_and_b32 s28, s9, 7
	s_flbit_i32_b32 s28, s28
	s_min_u32 s28, s28, 32
	s_and_b32 s29, s9, 0x7f
	s_bfe_u32 s42, s9, 0x40003
	s_sub_i32 s43, s28, 28
	s_sub_i32 s28, 29, s28
	s_cmp_lt_u32 s29, 8
	s_cselect_b32 s43, s43, 0
	s_cselect_b32 s28, s28, s42
	s_lshl_b32 s42, s9, 24
	s_lshl_b32 s28, s28, 23
	s_and_b32 s42, s42, 0x80000000
	s_add_i32 s28, s28, 0x3c000000
	s_or_b32 s28, s42, s28
	s_cmpk_lg_i32 s29, 0x7f
	s_waitcnt vmcnt(1)
	v_add_co_u32_e32 v60, vcc, v3, v2
	s_waitcnt vmcnt(0)
	v_addc_co_u32_e32 v61, vcc, 0, v4, vcc
	v_add_co_u32_e32 v26, vcc, v0, v2
	v_addc_co_u32_e32 v27, vcc, 0, v1, vcc
	v_lshlrev_b64 v[0:1], s43, v[0:1]
	s_cselect_b64 vcc, -1, 0
	v_lshlrev_b32_e32 v0, 20, v0
	v_and_b32_e32 v0, 0x700000, v0
	v_or_b32_e32 v0, s28, v0
	v_mov_b32_e32 v1, 0x7f800001
	v_cndmask_b32_e32 v0, v1, v0, vcc
	buffer_store_dword v0, off, s[0:3], s33 offset:452 ; 4-byte Folded Spill
	buffer_store_dword v52, off, s[0:3], s33 offset:464 ; 4-byte Folded Spill
	s_nop 0
	buffer_store_dword v53, off, s[0:3], s33 offset:468 ; 4-byte Folded Spill
	buffer_load_dword v45, off, s[0:3], s33 offset:420 ; 4-byte Folded Reload
	buffer_load_dword v46, off, s[0:3], s33 offset:424 ; 4-byte Folded Reload
	s_mov_b64 s[42:43], 0
	s_and_b32 s9, s9, 0xff
	v_mov_b32_e32 v28, v52
	v_mov_b32_e32 v29, v53
	s_branch .LBB6_10567
.LBB6_10566:                            ;   in Loop: Header=BB6_10567 Depth=3
	s_or_b64 exec, exec, s[28:29]
	v_lshl_or_b32 v5, v47, 8, v30
	v_lshl_or_b32 v8, v36, 8, v21
	v_lshlrev_b32_e32 v9, 16, v18
	v_lshlrev_b32_e32 v10, 24, v56
	;; [unrolled: 1-line block ×4, first 2 shown]
	v_or3_b32 v9, v5, v9, v10
	v_or3_b32 v8, v8, v11, v13
	v_lshl_or_b32 v5, v57, 8, v31
	v_lshlrev_b32_e32 v10, 16, v59
	v_lshlrev_b32_e32 v11, 24, v53
	v_or3_b32 v10, v5, v10, v11
	v_lshl_or_b32 v5, v49, 8, v50
	v_lshlrev_b32_e32 v11, 24, v15
	v_lshlrev_b32_e32 v13, 16, v16
	v_or3_b32 v11, v5, v13, v11
	buffer_load_dword v5, off, s[0:3], s33 offset:240 ; 4-byte Folded Reload
	buffer_load_dword v13, off, s[0:3], s33 offset:260 ; 4-byte Folded Reload
	;; [unrolled: 1-line block ×6, first 2 shown]
	v_lshl_or_b32 v1, v1, 8, v2
	v_lshlrev_b32_e32 v2, 16, v14
	v_lshlrev_b32_e32 v0, 24, v0
	v_or3_b32 v1, v1, v2, v0
	v_lshl_or_b32 v0, v54, 8, v17
	v_lshlrev_b32_e32 v2, 16, v35
	s_waitcnt vmcnt(4)
	v_lshl_or_b32 v5, v13, 8, v5
	buffer_load_dword v13, off, s[0:3], s33 offset:256 ; 4-byte Folded Reload
	s_waitcnt vmcnt(4)
	v_lshlrev_b32_e32 v16, 24, v16
	s_waitcnt vmcnt(3)
	v_lshlrev_b32_e32 v15, 16, v15
	;; [unrolled: 2-line block ×4, first 2 shown]
	v_or3_b32 v31, v5, v15, v16
	v_lshl_or_b32 v5, v39, 8, v38
	v_lshlrev_b32_e32 v15, 24, v55
	s_waitcnt vmcnt(0)
	v_lshl_or_b32 v13, v13, 8, v37
	v_or3_b32 v30, v13, v18, v21
	v_lshlrev_b32_e32 v13, 16, v48
	v_or3_b32 v32, v5, v13, v15
	v_lshlrev_b32_e32 v5, 24, v19
	v_lshlrev_b32_e32 v13, 16, v20
	v_lshl_or_b32 v15, v41, 8, v40
	v_or3_b32 v33, v15, v13, v5
	buffer_load_dword v5, off, s[0:3], s33 offset:148 ; 4-byte Folded Reload
	buffer_load_dword v13, off, s[0:3], s33 offset:164 ; 4-byte Folded Reload
	;; [unrolled: 1-line block ×3, first 2 shown]
	s_waitcnt vmcnt(1)
	v_lshl_or_b32 v5, v13, 8, v5
	buffer_load_dword v13, off, s[0:3], s33 offset:188 ; 4-byte Folded Reload
	s_waitcnt vmcnt(1)
	v_lshlrev_b32_e32 v15, 24, v15
	s_waitcnt vmcnt(0)
	v_lshlrev_b32_e32 v13, 16, v13
	v_or3_b32 v19, v5, v13, v15
	buffer_load_dword v5, off, s[0:3], s33 offset:96 ; 4-byte Folded Reload
	buffer_load_dword v13, off, s[0:3], s33 offset:100 ; 4-byte Folded Reload
	;; [unrolled: 1-line block ×3, first 2 shown]
	s_waitcnt vmcnt(1)
	v_lshl_or_b32 v5, v13, 8, v5
	buffer_load_dword v13, off, s[0:3], s33 offset:108 ; 4-byte Folded Reload
	s_waitcnt vmcnt(1)
	v_lshlrev_b32_e32 v15, 24, v15
	s_waitcnt vmcnt(0)
	v_lshlrev_b32_e32 v13, 16, v13
	v_or3_b32 v18, v5, v13, v15
	buffer_load_dword v5, off, s[0:3], s33 offset:244 ; 4-byte Folded Reload
	buffer_load_dword v13, off, s[0:3], s33 offset:268 ; 4-byte Folded Reload
	;; [unrolled: 1-line block ×3, first 2 shown]
	s_waitcnt vmcnt(2)
	v_lshl_or_b32 v5, v5, 8, v34
	s_waitcnt vmcnt(1)
	v_lshlrev_b32_e32 v13, 16, v13
	s_waitcnt vmcnt(0)
	v_lshlrev_b32_e32 v15, 24, v15
	v_or3_b32 v20, v5, v13, v15
	buffer_load_dword v5, off, s[0:3], s33 offset:292 ; 4-byte Folded Reload
	buffer_load_dword v13, off, s[0:3], s33 offset:288 ; 4-byte Folded Reload
	;; [unrolled: 1-line block ×4, first 2 shown]
	s_waitcnt vmcnt(3)
	v_lshlrev_b32_e32 v5, 24, v5
	s_waitcnt vmcnt(2)
	v_lshlrev_b32_e32 v13, 16, v13
	s_waitcnt vmcnt(0)
	v_lshl_or_b32 v15, v16, 8, v15
	v_or3_b32 v21, v15, v13, v5
	buffer_load_dword v5, off, s[0:3], s33 offset:572 ; 4-byte Folded Reload
	s_waitcnt vmcnt(0)
	v_add_co_u32_e32 v15, vcc, v5, v45
	v_addc_co_u32_e32 v16, vcc, 0, v46, vcc
	v_add_co_u32_e32 v36, vcc, v5, v28
	v_lshlrev_b32_e32 v5, 24, v52
	v_or3_b32 v0, v0, v2, v5
	v_lshl_or_b32 v2, v3, 8, v42
	v_lshlrev_b32_e32 v3, 16, v23
	v_lshlrev_b32_e32 v5, 24, v6
	v_or3_b32 v2, v2, v3, v5
	v_lshlrev_b32_e32 v3, 24, v4
	v_lshlrev_b32_e32 v4, 16, v12
	v_lshl_or_b32 v5, v24, 8, v7
	v_addc_co_u32_e32 v37, vcc, 0, v29, vcc
	v_or3_b32 v3, v5, v4, v3
	global_store_dwordx4 v[15:16], v[18:21], off glc slc
	global_store_dwordx4 v[15:16], v[30:33], off offset:1024 glc slc
	global_store_dwordx4 v[15:16], v[8:11], off offset:2048 glc slc
	;; [unrolled: 1-line block ×3, first 2 shown]
	global_store_dwordx4 v[36:37], v[18:21], off glc slc
	global_store_dwordx4 v[36:37], v[30:33], off offset:1024 glc slc
	global_store_dwordx4 v[36:37], v[8:11], off offset:2048 glc slc
	;; [unrolled: 1-line block ×3, first 2 shown]
	buffer_load_dword v1, off, s[0:3], s33 offset:320 ; 4-byte Folded Reload
	s_nop 0
	buffer_load_dword v0, off, s[0:3], s33 offset:92 ; 4-byte Folded Reload
	s_waitcnt vmcnt(1)
	v_add_co_u32_e32 v60, vcc, v60, v1
	v_addc_co_u32_e32 v61, vcc, 0, v61, vcc
	v_add_co_u32_e32 v26, vcc, v26, v1
	v_addc_co_u32_e32 v27, vcc, 0, v27, vcc
	v_add_co_u32_e32 v45, vcc, v45, v1
	s_waitcnt vmcnt(0)
	v_sub_u32_e32 v58, v58, v0
	v_addc_co_u32_e32 v46, vcc, 0, v46, vcc
	v_cmp_gt_i32_e32 vcc, 1, v58
	s_or_b64 s[42:43], vcc, s[42:43]
	v_add_co_u32_e32 v28, vcc, v28, v1
	v_addc_co_u32_e32 v29, vcc, 0, v29, vcc
	s_andn2_b64 exec, exec, s[42:43]
	s_cbranch_execz .LBB6_13775
.LBB6_10567:                            ;   Parent Loop BB6_47 Depth=1
                                        ;     Parent Loop BB6_10483 Depth=2
                                        ; =>    This Inner Loop Header: Depth=3
	s_cmpk_lt_i32 s9, 0x80
	s_cbranch_scc1 .LBB6_10571
; %bb.10568:                            ;   in Loop: Header=BB6_10567 Depth=3
	s_and_b32 vcc_lo, 0xffff, s9
	s_mov_b64 s[28:29], -1
	s_cmpk_eq_i32 vcc_lo, 0x80
	s_cbranch_scc0 .LBB6_10570
; %bb.10569:                            ;   in Loop: Header=BB6_10567 Depth=3
	s_mov_b64 s[28:29], 0
.LBB6_10570:                            ;   in Loop: Header=BB6_10567 Depth=3
	s_brev_b32 s30, 1
	s_branch .LBB6_10573
.LBB6_10571:                            ;   in Loop: Header=BB6_10567 Depth=3
	s_mov_b64 s[28:29], 0
	s_brev_b32 s30, 1
	s_cbranch_execz .LBB6_10573
; %bb.10572:                            ;   in Loop: Header=BB6_10567 Depth=3
	s_and_b32 s28, 0xffff, s9
	s_cmp_lg_u32 s28, 0
	s_mov_b32 s30, 0
	s_cselect_b64 s[28:29], -1, 0
.LBB6_10573:                            ;   in Loop: Header=BB6_10567 Depth=3
	s_andn2_b64 vcc, exec, s[28:29]
	v_mov_b32_e32 v5, s30
	s_cbranch_vccnz .LBB6_10575
; %bb.10574:                            ;   in Loop: Header=BB6_10567 Depth=3
	buffer_load_dword v5, off, s[0:3], s33 offset:452 ; 4-byte Folded Reload
.LBB6_10575:                            ;   in Loop: Header=BB6_10567 Depth=3
	global_load_dwordx4 v[8:11], v[60:61], off glc slc
	v_mov_b32_e32 v0, 0
	s_waitcnt vmcnt(0)
	v_cmp_ne_u16_sdwa vcc, v8, v51 src0_sel:BYTE_0 src1_sel:DWORD
	s_and_saveexec_b64 s[28:29], vcc
	s_cbranch_execz .LBB6_10581
; %bb.10576:                            ;   in Loop: Header=BB6_10567 Depth=3
	v_cmp_ne_u16_sdwa vcc, v8, s96 src0_sel:BYTE_0 src1_sel:DWORD
	v_bfrev_b32_e32 v0, 1
	s_and_saveexec_b64 s[30:31], vcc
	s_cbranch_execz .LBB6_10580
; %bb.10577:                            ;   in Loop: Header=BB6_10567 Depth=3
	v_and_b32_e32 v1, 0x7f, v8
	v_cmp_ne_u32_e32 vcc, s86, v1
	v_mov_b32_e32 v0, 0x7f800001
	s_and_saveexec_b64 s[34:35], vcc
	s_cbranch_execz .LBB6_10579
; %bb.10578:                            ;   in Loop: Header=BB6_10567 Depth=3
	v_and_b32_e32 v0, 7, v8
	v_ffbh_u32_e32 v0, v0
	v_min_u32_e32 v0, 32, v0
	v_lshrrev_b32_e32 v2, 3, v1
	v_cmp_gt_u32_e32 vcc, 8, v1
	v_subrev_u32_e32 v1, 28, v0
	v_sub_u32_e32 v0, 29, v0
	v_cndmask_b32_e32 v2, v2, v0, vcc
	v_cndmask_b32_e32 v0, 0, v1, vcc
	v_lshlrev_b64 v[0:1], v0, v[8:9]
	v_lshlrev_b32_e32 v1, 24, v8
	v_lshlrev_b32_e32 v0, 20, v0
	v_bfrev_b32_e32 v3, 60
	v_and_b32_e32 v0, 0x700000, v0
	v_and_b32_e32 v1, 0x80000000, v1
	v_lshl_add_u32 v2, v2, 23, v3
	v_or3_b32 v0, v1, v2, v0
.LBB6_10579:                            ;   in Loop: Header=BB6_10567 Depth=3
	s_or_b64 exec, exec, s[34:35]
.LBB6_10580:                            ;   in Loop: Header=BB6_10567 Depth=3
	s_or_b64 exec, exec, s[30:31]
.LBB6_10581:                            ;   in Loop: Header=BB6_10567 Depth=3
	s_or_b64 exec, exec, s[28:29]
	v_mul_f32_e32 v1, v5, v0
	v_and_b32_e32 v2, 0x7f800000, v1
	v_mov_b32_e32 v3, v51
	v_cmp_ne_u64_e32 vcc, s[76:77], v[2:3]
                                        ; implicit-def: $vgpr4
	s_and_saveexec_b64 s[28:29], vcc
	s_xor_b64 s[30:31], exec, s[28:29]
	s_cbranch_execz .LBB6_10595
; %bb.10582:                            ;   in Loop: Header=BB6_10567 Depth=3
	v_and_b32_e32 v2, 0x7fffffff, v1
	v_mov_b32_e32 v3, v51
	v_cmp_gt_u64_e32 vcc, s[78:79], v[2:3]
	v_and_b32_sdwa v0, v1, s96 dst_sel:DWORD dst_unused:UNUSED_PAD src0_sel:BYTE_3 src1_sel:DWORD
                                        ; implicit-def: $vgpr4
	s_and_saveexec_b64 s[28:29], vcc
	s_xor_b64 s[34:35], exec, s[28:29]
	s_cbranch_execz .LBB6_10592
; %bb.10583:                            ;   in Loop: Header=BB6_10567 Depth=3
	v_mov_b32_e32 v4, 0
	v_cmp_ne_u32_e32 vcc, 0, v1
	s_and_saveexec_b64 s[36:37], vcc
	s_cbranch_execz .LBB6_10591
; %bb.10584:                            ;   in Loop: Header=BB6_10567 Depth=3
	v_and_b32_e32 v3, 0x7fffff, v1
	v_bfe_u32 v1, v1, 23, 8
	v_cmp_gt_u32_e64 s[28:29], s97, v1
	v_sub_u32_e32 v2, 0x79, v1
	v_cmp_eq_u32_e32 vcc, 0, v1
	v_cndmask_b32_e64 v2, 0, v2, s[28:29]
	v_mov_b32_e32 v6, 0x78
	v_cndmask_b32_e32 v2, v2, v6, vcc
	v_add_u32_e32 v6, 20, v2
	v_or_b32_e32 v4, 0x800000, v3
	v_lshlrev_b64 v[6:7], v6, -1
	v_add_u32_e32 v12, 19, v2
	v_cndmask_b32_e32 v3, v4, v3, vcc
	v_lshlrev_b64 v[12:13], v12, 1
	v_mov_b32_e32 v4, v51
	v_bfi_b32 v7, v7, 0, 0
	v_bfi_b32 v6, v6, 0, v3
	v_cmp_eq_u64_e64 s[28:29], v[6:7], v[12:13]
	v_lshrrev_b64 v[12:13], v2, v[3:4]
	v_mov_b32_e32 v14, v13
	v_mov_b32_e32 v13, v12
	s_and_saveexec_b64 s[38:39], s[28:29]
; %bb.10585:                            ;   in Loop: Header=BB6_10567 Depth=3
	v_bfe_u32 v3, v12, 20, 1
	v_add_co_u32_e64 v3, s[28:29], v12, v3
	v_add_co_u32_e64 v13, s[28:29], -1, v3
; %bb.10586:                            ;   in Loop: Header=BB6_10567 Depth=3
	s_or_b64 exec, exec, s[38:39]
	v_add_u32_e32 v1, 0xffffff81, v1
	v_mov_b32_e32 v3, 0xffffff82
	v_cndmask_b32_e32 v1, v1, v3, vcc
	v_lshrrev_b32_e32 v3, 23, v12
	v_add3_u32 v3, v2, v1, v3
	v_add_u32_e32 v2, 6, v3
	v_and_b32_e32 v1, 0xfffff, v13
	v_add_u32_e32 v12, v1, v12
	v_mov_b32_e32 v13, v51
	v_cmp_ne_u32_e32 vcc, 0, v2
                                        ; implicit-def: $vgpr1
	s_and_saveexec_b64 s[28:29], vcc
	s_xor_b64 s[28:29], exec, s[28:29]
; %bb.10587:                            ;   in Loop: Header=BB6_10567 Depth=3
	v_cmp_lt_u64_e32 vcc, s[88:89], v[12:13]
	v_add_u32_e32 v1, 7, v3
	v_cndmask_b32_e32 v1, v2, v1, vcc
	v_cndmask_b32_e64 v2, 0, 1, vcc
	v_lshrrev_b64 v[12:13], v2, v[12:13]
; %bb.10588:                            ;   in Loop: Header=BB6_10567 Depth=3
	s_andn2_saveexec_b64 s[28:29], s[28:29]
; %bb.10589:                            ;   in Loop: Header=BB6_10567 Depth=3
	v_bfe_u32 v1, v12, 23, 1
; %bb.10590:                            ;   in Loop: Header=BB6_10567 Depth=3
	s_or_b64 exec, exec, s[28:29]
	v_lshrrev_b64 v[2:3], 20, v[12:13]
	v_cmp_gt_i32_e32 vcc, 16, v1
	v_cndmask_b32_e32 v3, 0, v3, vcc
	v_cndmask_b32_e32 v2, 7, v2, vcc
	v_cmp_eq_u32_e32 vcc, 0, v1
	v_min_i32_e32 v1, 15, v1
	v_cmp_eq_u64_e64 s[28:29], 0, v[2:3]
	v_lshlrev_b32_e32 v1, 3, v1
	v_and_b32_e32 v1, 0xf8, v1
	v_and_or_b32 v1, v2, 7, v1
	s_and_b64 s[28:29], vcc, s[28:29]
	v_cndmask_b32_e64 v1, v1, 0, s[28:29]
	v_or_b32_e32 v4, v1, v0
.LBB6_10591:                            ;   in Loop: Header=BB6_10567 Depth=3
	s_or_b64 exec, exec, s[36:37]
                                        ; implicit-def: $vgpr0
.LBB6_10592:                            ;   in Loop: Header=BB6_10567 Depth=3
	s_andn2_saveexec_b64 s[28:29], s[34:35]
; %bb.10593:                            ;   in Loop: Header=BB6_10567 Depth=3
	v_or_b32_e32 v4, 0x7e, v0
; %bb.10594:                            ;   in Loop: Header=BB6_10567 Depth=3
	s_or_b64 exec, exec, s[28:29]
                                        ; implicit-def: $vgpr1
.LBB6_10595:                            ;   in Loop: Header=BB6_10567 Depth=3
	s_andn2_saveexec_b64 s[28:29], s[30:31]
; %bb.10596:                            ;   in Loop: Header=BB6_10567 Depth=3
	v_or_b32_sdwa v4, v1, s86 dst_sel:DWORD dst_unused:UNUSED_PAD src0_sel:BYTE_3 src1_sel:DWORD
; %bb.10597:                            ;   in Loop: Header=BB6_10567 Depth=3
	s_or_b64 exec, exec, s[28:29]
	v_lshrrev_b16_e32 v12, 8, v8
	v_cmp_ne_u16_e32 vcc, 0, v12
	v_mov_b32_e32 v0, 0
	s_and_saveexec_b64 s[28:29], vcc
	s_cbranch_execz .LBB6_10603
; %bb.10598:                            ;   in Loop: Header=BB6_10567 Depth=3
	v_cmp_ne_u16_e32 vcc, s96, v12
	v_bfrev_b32_e32 v0, 1
	s_and_saveexec_b64 s[30:31], vcc
	s_cbranch_execz .LBB6_10602
; %bb.10599:                            ;   in Loop: Header=BB6_10567 Depth=3
	v_and_b32_e32 v1, 0x7f, v12
	v_cmp_ne_u32_e32 vcc, s86, v1
	v_mov_b32_e32 v0, 0x7f800001
	s_and_saveexec_b64 s[34:35], vcc
	s_cbranch_execz .LBB6_10601
; %bb.10600:                            ;   in Loop: Header=BB6_10567 Depth=3
	v_and_b32_e32 v2, 7, v12
	v_ffbh_u32_e32 v0, v2
	v_min_u32_e32 v6, 32, v0
	v_subrev_u32_e32 v0, 28, v6
	v_lshrrev_b32_e32 v3, 3, v1
	v_cmp_gt_u32_e32 vcc, 8, v1
	v_lshlrev_b64 v[0:1], v0, v[12:13]
	v_sub_u32_e32 v1, 29, v6
	v_and_b32_e32 v0, 7, v0
	v_cndmask_b32_e32 v1, v3, v1, vcc
	v_cndmask_b32_e32 v0, v2, v0, vcc
	v_lshlrev_b32_e32 v2, 16, v8
	v_bfrev_b32_e32 v3, 60
	v_lshlrev_b32_e32 v0, 20, v0
	v_and_b32_e32 v2, 0x80000000, v2
	v_lshl_add_u32 v1, v1, 23, v3
	v_or3_b32 v0, v2, v1, v0
.LBB6_10601:                            ;   in Loop: Header=BB6_10567 Depth=3
	s_or_b64 exec, exec, s[34:35]
.LBB6_10602:                            ;   in Loop: Header=BB6_10567 Depth=3
	s_or_b64 exec, exec, s[30:31]
.LBB6_10603:                            ;   in Loop: Header=BB6_10567 Depth=3
	s_or_b64 exec, exec, s[28:29]
	v_mul_f32_e32 v1, v5, v0
	v_and_b32_e32 v2, 0x7f800000, v1
	v_mov_b32_e32 v3, v51
	v_cmp_ne_u64_e32 vcc, s[76:77], v[2:3]
                                        ; implicit-def: $vgpr24
	s_and_saveexec_b64 s[28:29], vcc
	s_xor_b64 s[30:31], exec, s[28:29]
	s_cbranch_execz .LBB6_10617
; %bb.10604:                            ;   in Loop: Header=BB6_10567 Depth=3
	v_and_b32_e32 v2, 0x7fffffff, v1
	v_mov_b32_e32 v3, v51
	v_cmp_gt_u64_e32 vcc, s[78:79], v[2:3]
	v_and_b32_sdwa v0, v1, s96 dst_sel:DWORD dst_unused:UNUSED_PAD src0_sel:BYTE_3 src1_sel:DWORD
                                        ; implicit-def: $vgpr24
	s_and_saveexec_b64 s[28:29], vcc
	s_xor_b64 s[34:35], exec, s[28:29]
	s_cbranch_execz .LBB6_10614
; %bb.10605:                            ;   in Loop: Header=BB6_10567 Depth=3
	v_mov_b32_e32 v24, 0
	v_cmp_ne_u32_e32 vcc, 0, v1
	s_and_saveexec_b64 s[36:37], vcc
	s_cbranch_execz .LBB6_10613
; %bb.10606:                            ;   in Loop: Header=BB6_10567 Depth=3
	v_and_b32_e32 v3, 0x7fffff, v1
	v_bfe_u32 v1, v1, 23, 8
	v_cmp_gt_u32_e64 s[28:29], s97, v1
	v_sub_u32_e32 v2, 0x79, v1
	v_cmp_eq_u32_e32 vcc, 0, v1
	v_cndmask_b32_e64 v2, 0, v2, s[28:29]
	v_mov_b32_e32 v7, 0x78
	v_or_b32_e32 v6, 0x800000, v3
	v_cndmask_b32_e32 v2, v2, v7, vcc
	v_cndmask_b32_e32 v6, v6, v3, vcc
	v_add_u32_e32 v3, 20, v2
	v_lshlrev_b64 v[12:13], v3, -1
	v_add_u32_e32 v3, 19, v2
	v_lshlrev_b64 v[14:15], v3, 1
	v_mov_b32_e32 v7, v51
	v_bfi_b32 v13, v13, 0, 0
	v_bfi_b32 v12, v12, 0, v6
	v_cmp_eq_u64_e64 s[28:29], v[12:13], v[14:15]
	v_lshrrev_b64 v[12:13], v2, v[6:7]
	v_mov_b32_e32 v14, v13
	v_mov_b32_e32 v13, v12
	s_and_saveexec_b64 s[38:39], s[28:29]
; %bb.10607:                            ;   in Loop: Header=BB6_10567 Depth=3
	v_bfe_u32 v3, v12, 20, 1
	v_add_co_u32_e64 v3, s[28:29], v12, v3
	v_add_co_u32_e64 v13, s[28:29], -1, v3
; %bb.10608:                            ;   in Loop: Header=BB6_10567 Depth=3
	s_or_b64 exec, exec, s[38:39]
	v_add_u32_e32 v1, 0xffffff81, v1
	v_mov_b32_e32 v3, 0xffffff82
	v_cndmask_b32_e32 v1, v1, v3, vcc
	v_lshrrev_b32_e32 v3, 23, v12
	v_add3_u32 v3, v2, v1, v3
	v_add_u32_e32 v2, 6, v3
	v_and_b32_e32 v1, 0xfffff, v13
	v_add_u32_e32 v12, v1, v12
	v_mov_b32_e32 v13, v51
	v_cmp_ne_u32_e32 vcc, 0, v2
                                        ; implicit-def: $vgpr1
	s_and_saveexec_b64 s[28:29], vcc
	s_xor_b64 s[28:29], exec, s[28:29]
; %bb.10609:                            ;   in Loop: Header=BB6_10567 Depth=3
	v_cmp_lt_u64_e32 vcc, s[88:89], v[12:13]
	v_add_u32_e32 v1, 7, v3
	v_cndmask_b32_e32 v1, v2, v1, vcc
	v_cndmask_b32_e64 v2, 0, 1, vcc
	v_lshrrev_b64 v[12:13], v2, v[12:13]
; %bb.10610:                            ;   in Loop: Header=BB6_10567 Depth=3
	s_andn2_saveexec_b64 s[28:29], s[28:29]
; %bb.10611:                            ;   in Loop: Header=BB6_10567 Depth=3
	v_bfe_u32 v1, v12, 23, 1
; %bb.10612:                            ;   in Loop: Header=BB6_10567 Depth=3
	s_or_b64 exec, exec, s[28:29]
	v_lshrrev_b64 v[2:3], 20, v[12:13]
	v_cmp_gt_i32_e32 vcc, 16, v1
	v_cndmask_b32_e32 v3, 0, v3, vcc
	v_cndmask_b32_e32 v2, 7, v2, vcc
	v_cmp_eq_u32_e32 vcc, 0, v1
	v_min_i32_e32 v1, 15, v1
	v_cmp_eq_u64_e64 s[28:29], 0, v[2:3]
	v_lshlrev_b32_e32 v1, 3, v1
	v_and_b32_e32 v1, 0xf8, v1
	v_and_or_b32 v1, v2, 7, v1
	s_and_b64 s[28:29], vcc, s[28:29]
	v_cndmask_b32_e64 v1, v1, 0, s[28:29]
	v_or_b32_e32 v24, v1, v0
.LBB6_10613:                            ;   in Loop: Header=BB6_10567 Depth=3
	s_or_b64 exec, exec, s[36:37]
                                        ; implicit-def: $vgpr0
.LBB6_10614:                            ;   in Loop: Header=BB6_10567 Depth=3
	s_andn2_saveexec_b64 s[28:29], s[34:35]
; %bb.10615:                            ;   in Loop: Header=BB6_10567 Depth=3
	v_or_b32_e32 v24, 0x7e, v0
; %bb.10616:                            ;   in Loop: Header=BB6_10567 Depth=3
	s_or_b64 exec, exec, s[28:29]
                                        ; implicit-def: $vgpr1
.LBB6_10617:                            ;   in Loop: Header=BB6_10567 Depth=3
	s_andn2_saveexec_b64 s[28:29], s[30:31]
; %bb.10618:                            ;   in Loop: Header=BB6_10567 Depth=3
	v_or_b32_sdwa v24, v1, s86 dst_sel:DWORD dst_unused:UNUSED_PAD src0_sel:BYTE_3 src1_sel:DWORD
; %bb.10619:                            ;   in Loop: Header=BB6_10567 Depth=3
	s_or_b64 exec, exec, s[28:29]
	v_lshrrev_b32_e32 v12, 16, v8
	v_cmp_ne_u16_sdwa vcc, v12, v51 src0_sel:BYTE_0 src1_sel:DWORD
	v_mov_b32_e32 v0, 0
	s_and_saveexec_b64 s[28:29], vcc
	s_cbranch_execz .LBB6_10625
; %bb.10620:                            ;   in Loop: Header=BB6_10567 Depth=3
	v_cmp_ne_u16_sdwa vcc, v12, s96 src0_sel:BYTE_0 src1_sel:DWORD
	v_bfrev_b32_e32 v0, 1
	s_and_saveexec_b64 s[30:31], vcc
	s_cbranch_execz .LBB6_10624
; %bb.10621:                            ;   in Loop: Header=BB6_10567 Depth=3
	v_bfe_u32 v1, v8, 16, 7
	v_cmp_ne_u32_e32 vcc, s86, v1
	v_mov_b32_e32 v0, 0x7f800001
	s_and_saveexec_b64 s[34:35], vcc
	s_cbranch_execz .LBB6_10623
; %bb.10622:                            ;   in Loop: Header=BB6_10567 Depth=3
	v_and_b32_e32 v2, 7, v12
	v_ffbh_u32_e32 v0, v2
	v_min_u32_e32 v6, 32, v0
	v_subrev_u32_e32 v0, 28, v6
	v_lshrrev_b32_e32 v3, 3, v1
	v_cmp_gt_u32_e32 vcc, 8, v1
	v_lshlrev_b64 v[0:1], v0, v[12:13]
	v_sub_u32_e32 v1, 29, v6
	v_and_b32_e32 v0, 7, v0
	v_cndmask_b32_e32 v1, v3, v1, vcc
	v_cndmask_b32_e32 v0, v2, v0, vcc
	v_lshlrev_b32_e32 v2, 24, v12
	v_bfrev_b32_e32 v3, 60
	v_lshlrev_b32_e32 v0, 20, v0
	v_and_b32_e32 v2, 0x80000000, v2
	v_lshl_add_u32 v1, v1, 23, v3
	v_or3_b32 v0, v2, v1, v0
.LBB6_10623:                            ;   in Loop: Header=BB6_10567 Depth=3
	s_or_b64 exec, exec, s[34:35]
.LBB6_10624:                            ;   in Loop: Header=BB6_10567 Depth=3
	s_or_b64 exec, exec, s[30:31]
.LBB6_10625:                            ;   in Loop: Header=BB6_10567 Depth=3
	s_or_b64 exec, exec, s[28:29]
	v_mul_f32_e32 v1, v5, v0
	v_and_b32_e32 v2, 0x7f800000, v1
	v_mov_b32_e32 v3, v51
	v_cmp_ne_u64_e32 vcc, s[76:77], v[2:3]
                                        ; implicit-def: $vgpr25
	s_and_saveexec_b64 s[28:29], vcc
	s_xor_b64 s[30:31], exec, s[28:29]
	s_cbranch_execz .LBB6_10639
; %bb.10626:                            ;   in Loop: Header=BB6_10567 Depth=3
	v_and_b32_e32 v2, 0x7fffffff, v1
	v_mov_b32_e32 v3, v51
	v_cmp_gt_u64_e32 vcc, s[78:79], v[2:3]
	v_and_b32_sdwa v0, v1, s96 dst_sel:DWORD dst_unused:UNUSED_PAD src0_sel:BYTE_3 src1_sel:DWORD
                                        ; implicit-def: $vgpr25
	s_and_saveexec_b64 s[28:29], vcc
	s_xor_b64 s[34:35], exec, s[28:29]
	s_cbranch_execz .LBB6_10636
; %bb.10627:                            ;   in Loop: Header=BB6_10567 Depth=3
	v_mov_b32_e32 v25, 0
	v_cmp_ne_u32_e32 vcc, 0, v1
	s_and_saveexec_b64 s[36:37], vcc
	s_cbranch_execz .LBB6_10635
; %bb.10628:                            ;   in Loop: Header=BB6_10567 Depth=3
	v_and_b32_e32 v3, 0x7fffff, v1
	v_bfe_u32 v1, v1, 23, 8
	v_cmp_gt_u32_e64 s[28:29], s97, v1
	v_sub_u32_e32 v2, 0x79, v1
	v_cmp_eq_u32_e32 vcc, 0, v1
	v_cndmask_b32_e64 v2, 0, v2, s[28:29]
	v_mov_b32_e32 v7, 0x78
	v_or_b32_e32 v6, 0x800000, v3
	v_cndmask_b32_e32 v2, v2, v7, vcc
	v_cndmask_b32_e32 v6, v6, v3, vcc
	v_add_u32_e32 v3, 20, v2
	v_lshlrev_b64 v[12:13], v3, -1
	v_add_u32_e32 v3, 19, v2
	v_lshlrev_b64 v[14:15], v3, 1
	v_mov_b32_e32 v7, v51
	v_bfi_b32 v13, v13, 0, 0
	v_bfi_b32 v12, v12, 0, v6
	v_cmp_eq_u64_e64 s[28:29], v[12:13], v[14:15]
	v_lshrrev_b64 v[12:13], v2, v[6:7]
	v_mov_b32_e32 v14, v13
	v_mov_b32_e32 v13, v12
	s_and_saveexec_b64 s[38:39], s[28:29]
; %bb.10629:                            ;   in Loop: Header=BB6_10567 Depth=3
	v_bfe_u32 v3, v12, 20, 1
	v_add_co_u32_e64 v3, s[28:29], v12, v3
	v_add_co_u32_e64 v13, s[28:29], -1, v3
; %bb.10630:                            ;   in Loop: Header=BB6_10567 Depth=3
	s_or_b64 exec, exec, s[38:39]
	v_add_u32_e32 v1, 0xffffff81, v1
	v_mov_b32_e32 v3, 0xffffff82
	v_cndmask_b32_e32 v1, v1, v3, vcc
	v_lshrrev_b32_e32 v3, 23, v12
	v_add3_u32 v3, v2, v1, v3
	v_add_u32_e32 v2, 6, v3
	v_and_b32_e32 v1, 0xfffff, v13
	v_add_u32_e32 v12, v1, v12
	v_mov_b32_e32 v13, v51
	v_cmp_ne_u32_e32 vcc, 0, v2
                                        ; implicit-def: $vgpr1
	s_and_saveexec_b64 s[28:29], vcc
	s_xor_b64 s[28:29], exec, s[28:29]
; %bb.10631:                            ;   in Loop: Header=BB6_10567 Depth=3
	v_cmp_lt_u64_e32 vcc, s[88:89], v[12:13]
	v_add_u32_e32 v1, 7, v3
	v_cndmask_b32_e32 v1, v2, v1, vcc
	v_cndmask_b32_e64 v2, 0, 1, vcc
	v_lshrrev_b64 v[12:13], v2, v[12:13]
; %bb.10632:                            ;   in Loop: Header=BB6_10567 Depth=3
	s_andn2_saveexec_b64 s[28:29], s[28:29]
; %bb.10633:                            ;   in Loop: Header=BB6_10567 Depth=3
	v_bfe_u32 v1, v12, 23, 1
; %bb.10634:                            ;   in Loop: Header=BB6_10567 Depth=3
	s_or_b64 exec, exec, s[28:29]
	v_lshrrev_b64 v[2:3], 20, v[12:13]
	v_cmp_gt_i32_e32 vcc, 16, v1
	v_cndmask_b32_e32 v3, 0, v3, vcc
	v_cndmask_b32_e32 v2, 7, v2, vcc
	v_cmp_eq_u32_e32 vcc, 0, v1
	v_min_i32_e32 v1, 15, v1
	v_cmp_eq_u64_e64 s[28:29], 0, v[2:3]
	v_lshlrev_b32_e32 v1, 3, v1
	v_and_b32_e32 v1, 0xf8, v1
	v_and_or_b32 v1, v2, 7, v1
	s_and_b64 s[28:29], vcc, s[28:29]
	v_cndmask_b32_e64 v1, v1, 0, s[28:29]
	v_or_b32_e32 v25, v1, v0
.LBB6_10635:                            ;   in Loop: Header=BB6_10567 Depth=3
	s_or_b64 exec, exec, s[36:37]
                                        ; implicit-def: $vgpr0
.LBB6_10636:                            ;   in Loop: Header=BB6_10567 Depth=3
	s_andn2_saveexec_b64 s[28:29], s[34:35]
; %bb.10637:                            ;   in Loop: Header=BB6_10567 Depth=3
	v_or_b32_e32 v25, 0x7e, v0
; %bb.10638:                            ;   in Loop: Header=BB6_10567 Depth=3
	s_or_b64 exec, exec, s[28:29]
                                        ; implicit-def: $vgpr1
.LBB6_10639:                            ;   in Loop: Header=BB6_10567 Depth=3
	s_andn2_saveexec_b64 s[28:29], s[30:31]
; %bb.10640:                            ;   in Loop: Header=BB6_10567 Depth=3
	v_or_b32_sdwa v25, v1, s86 dst_sel:DWORD dst_unused:UNUSED_PAD src0_sel:BYTE_3 src1_sel:DWORD
; %bb.10641:                            ;   in Loop: Header=BB6_10567 Depth=3
	s_or_b64 exec, exec, s[28:29]
	v_cmp_lt_u32_e32 vcc, s57, v8
	v_mov_b32_e32 v0, 0
	s_and_saveexec_b64 s[28:29], vcc
	s_cbranch_execz .LBB6_10647
; %bb.10642:                            ;   in Loop: Header=BB6_10567 Depth=3
	v_lshrrev_b32_e32 v12, 24, v8
	v_cmp_ne_u32_e32 vcc, s96, v12
	v_bfrev_b32_e32 v0, 1
	s_and_saveexec_b64 s[30:31], vcc
	s_cbranch_execz .LBB6_10646
; %bb.10643:                            ;   in Loop: Header=BB6_10567 Depth=3
	v_bfe_u32 v1, v8, 24, 7
	v_cmp_ne_u32_e32 vcc, s86, v1
	v_mov_b32_e32 v0, 0x7f800001
	s_and_saveexec_b64 s[34:35], vcc
	s_cbranch_execz .LBB6_10645
; %bb.10644:                            ;   in Loop: Header=BB6_10567 Depth=3
	v_and_b32_e32 v2, 7, v12
	v_ffbh_u32_e32 v0, v2
	v_min_u32_e32 v6, 32, v0
	v_subrev_u32_e32 v0, 28, v6
	v_lshrrev_b32_e32 v3, 3, v1
	v_cmp_gt_u32_e32 vcc, 8, v1
	v_lshlrev_b64 v[0:1], v0, v[12:13]
	v_sub_u32_e32 v1, 29, v6
	v_and_b32_e32 v0, 7, v0
	v_cndmask_b32_e32 v1, v3, v1, vcc
	v_cndmask_b32_e32 v0, v2, v0, vcc
	v_lshlrev_b32_e32 v2, 24, v12
	v_bfrev_b32_e32 v3, 60
	v_lshlrev_b32_e32 v0, 20, v0
	v_and_b32_e32 v2, 0x80000000, v2
	v_lshl_add_u32 v1, v1, 23, v3
	v_or3_b32 v0, v2, v1, v0
.LBB6_10645:                            ;   in Loop: Header=BB6_10567 Depth=3
	s_or_b64 exec, exec, s[34:35]
.LBB6_10646:                            ;   in Loop: Header=BB6_10567 Depth=3
	s_or_b64 exec, exec, s[30:31]
.LBB6_10647:                            ;   in Loop: Header=BB6_10567 Depth=3
	s_or_b64 exec, exec, s[28:29]
	v_mul_f32_e32 v1, v5, v0
	v_and_b32_e32 v2, 0x7f800000, v1
	v_mov_b32_e32 v3, v51
	v_cmp_ne_u64_e32 vcc, s[76:77], v[2:3]
                                        ; implicit-def: $vgpr52
	s_and_saveexec_b64 s[28:29], vcc
	s_xor_b64 s[30:31], exec, s[28:29]
	s_cbranch_execz .LBB6_10661
; %bb.10648:                            ;   in Loop: Header=BB6_10567 Depth=3
	v_and_b32_e32 v2, 0x7fffffff, v1
	v_mov_b32_e32 v3, v51
	v_cmp_gt_u64_e32 vcc, s[78:79], v[2:3]
	v_and_b32_sdwa v0, v1, s96 dst_sel:DWORD dst_unused:UNUSED_PAD src0_sel:BYTE_3 src1_sel:DWORD
                                        ; implicit-def: $vgpr52
	s_and_saveexec_b64 s[28:29], vcc
	s_xor_b64 s[34:35], exec, s[28:29]
	s_cbranch_execz .LBB6_10658
; %bb.10649:                            ;   in Loop: Header=BB6_10567 Depth=3
	v_mov_b32_e32 v52, 0
	v_cmp_ne_u32_e32 vcc, 0, v1
	s_and_saveexec_b64 s[36:37], vcc
	s_cbranch_execz .LBB6_10657
; %bb.10650:                            ;   in Loop: Header=BB6_10567 Depth=3
	v_and_b32_e32 v3, 0x7fffff, v1
	v_bfe_u32 v1, v1, 23, 8
	v_cmp_gt_u32_e64 s[28:29], s97, v1
	v_sub_u32_e32 v2, 0x79, v1
	v_cmp_eq_u32_e32 vcc, 0, v1
	v_cndmask_b32_e64 v2, 0, v2, s[28:29]
	v_mov_b32_e32 v7, 0x78
	v_or_b32_e32 v6, 0x800000, v3
	v_cndmask_b32_e32 v2, v2, v7, vcc
	v_cndmask_b32_e32 v6, v6, v3, vcc
	v_add_u32_e32 v3, 20, v2
	v_lshlrev_b64 v[12:13], v3, -1
	v_add_u32_e32 v3, 19, v2
	v_lshlrev_b64 v[14:15], v3, 1
	v_mov_b32_e32 v7, v51
	v_bfi_b32 v13, v13, 0, 0
	v_bfi_b32 v12, v12, 0, v6
	v_cmp_eq_u64_e64 s[28:29], v[12:13], v[14:15]
	v_lshrrev_b64 v[12:13], v2, v[6:7]
	v_mov_b32_e32 v14, v13
	v_mov_b32_e32 v13, v12
	s_and_saveexec_b64 s[38:39], s[28:29]
; %bb.10651:                            ;   in Loop: Header=BB6_10567 Depth=3
	v_bfe_u32 v3, v12, 20, 1
	v_add_co_u32_e64 v3, s[28:29], v12, v3
	v_add_co_u32_e64 v13, s[28:29], -1, v3
; %bb.10652:                            ;   in Loop: Header=BB6_10567 Depth=3
	s_or_b64 exec, exec, s[38:39]
	v_add_u32_e32 v1, 0xffffff81, v1
	v_mov_b32_e32 v3, 0xffffff82
	v_cndmask_b32_e32 v1, v1, v3, vcc
	v_lshrrev_b32_e32 v3, 23, v12
	v_add3_u32 v3, v2, v1, v3
	v_add_u32_e32 v2, 6, v3
	v_and_b32_e32 v1, 0xfffff, v13
	v_add_u32_e32 v12, v1, v12
	v_mov_b32_e32 v13, v51
	v_cmp_ne_u32_e32 vcc, 0, v2
                                        ; implicit-def: $vgpr1
	s_and_saveexec_b64 s[28:29], vcc
	s_xor_b64 s[28:29], exec, s[28:29]
; %bb.10653:                            ;   in Loop: Header=BB6_10567 Depth=3
	v_cmp_lt_u64_e32 vcc, s[88:89], v[12:13]
	v_add_u32_e32 v1, 7, v3
	v_cndmask_b32_e32 v1, v2, v1, vcc
	v_cndmask_b32_e64 v2, 0, 1, vcc
	v_lshrrev_b64 v[12:13], v2, v[12:13]
; %bb.10654:                            ;   in Loop: Header=BB6_10567 Depth=3
	s_andn2_saveexec_b64 s[28:29], s[28:29]
; %bb.10655:                            ;   in Loop: Header=BB6_10567 Depth=3
	v_bfe_u32 v1, v12, 23, 1
; %bb.10656:                            ;   in Loop: Header=BB6_10567 Depth=3
	s_or_b64 exec, exec, s[28:29]
	v_lshrrev_b64 v[2:3], 20, v[12:13]
	v_cmp_gt_i32_e32 vcc, 16, v1
	v_cndmask_b32_e32 v3, 0, v3, vcc
	v_cndmask_b32_e32 v2, 7, v2, vcc
	v_cmp_eq_u32_e32 vcc, 0, v1
	v_min_i32_e32 v1, 15, v1
	v_cmp_eq_u64_e64 s[28:29], 0, v[2:3]
	v_lshlrev_b32_e32 v1, 3, v1
	v_and_b32_e32 v1, 0xf8, v1
	v_and_or_b32 v1, v2, 7, v1
	s_and_b64 s[28:29], vcc, s[28:29]
	v_cndmask_b32_e64 v1, v1, 0, s[28:29]
	v_or_b32_e32 v52, v1, v0
.LBB6_10657:                            ;   in Loop: Header=BB6_10567 Depth=3
	s_or_b64 exec, exec, s[36:37]
                                        ; implicit-def: $vgpr0
.LBB6_10658:                            ;   in Loop: Header=BB6_10567 Depth=3
	s_andn2_saveexec_b64 s[28:29], s[34:35]
; %bb.10659:                            ;   in Loop: Header=BB6_10567 Depth=3
	v_or_b32_e32 v52, 0x7e, v0
; %bb.10660:                            ;   in Loop: Header=BB6_10567 Depth=3
	s_or_b64 exec, exec, s[28:29]
                                        ; implicit-def: $vgpr1
.LBB6_10661:                            ;   in Loop: Header=BB6_10567 Depth=3
	s_andn2_saveexec_b64 s[28:29], s[30:31]
; %bb.10662:                            ;   in Loop: Header=BB6_10567 Depth=3
	v_or_b32_sdwa v52, v1, s86 dst_sel:DWORD dst_unused:UNUSED_PAD src0_sel:BYTE_3 src1_sel:DWORD
; %bb.10663:                            ;   in Loop: Header=BB6_10567 Depth=3
	s_or_b64 exec, exec, s[28:29]
	v_mov_b32_e32 v12, v9
	v_mov_b32_e32 v13, v51
	v_cmp_ne_u16_sdwa vcc, v9, v51 src0_sel:BYTE_0 src1_sel:DWORD
	v_mov_b32_e32 v0, 0
	s_and_saveexec_b64 s[28:29], vcc
	s_cbranch_execz .LBB6_10669
; %bb.10664:                            ;   in Loop: Header=BB6_10567 Depth=3
	v_cmp_ne_u16_sdwa vcc, v9, s96 src0_sel:BYTE_0 src1_sel:DWORD
	v_bfrev_b32_e32 v0, 1
	s_and_saveexec_b64 s[30:31], vcc
	s_cbranch_execz .LBB6_10668
; %bb.10665:                            ;   in Loop: Header=BB6_10567 Depth=3
	v_and_b32_e32 v1, 0x7f, v9
	v_cmp_ne_u32_e32 vcc, s86, v1
	v_mov_b32_e32 v0, 0x7f800001
	s_and_saveexec_b64 s[34:35], vcc
	s_cbranch_execz .LBB6_10667
; %bb.10666:                            ;   in Loop: Header=BB6_10567 Depth=3
	v_and_b32_e32 v0, 7, v9
	v_ffbh_u32_e32 v0, v0
	v_min_u32_e32 v0, 32, v0
	v_lshrrev_b32_e32 v2, 3, v1
	v_cmp_gt_u32_e32 vcc, 8, v1
	v_subrev_u32_e32 v1, 28, v0
	v_sub_u32_e32 v0, 29, v0
	v_cndmask_b32_e32 v2, v2, v0, vcc
	v_cndmask_b32_e32 v0, 0, v1, vcc
	v_lshlrev_b64 v[0:1], v0, v[12:13]
	v_lshlrev_b32_e32 v1, 24, v12
	v_lshlrev_b32_e32 v0, 20, v0
	v_bfrev_b32_e32 v3, 60
	v_and_b32_e32 v0, 0x700000, v0
	v_and_b32_e32 v1, 0x80000000, v1
	v_lshl_add_u32 v2, v2, 23, v3
	v_or3_b32 v0, v1, v2, v0
.LBB6_10667:                            ;   in Loop: Header=BB6_10567 Depth=3
	s_or_b64 exec, exec, s[34:35]
.LBB6_10668:                            ;   in Loop: Header=BB6_10567 Depth=3
	s_or_b64 exec, exec, s[30:31]
.LBB6_10669:                            ;   in Loop: Header=BB6_10567 Depth=3
	s_or_b64 exec, exec, s[28:29]
	v_mul_f32_e32 v1, v5, v0
	v_and_b32_e32 v2, 0x7f800000, v1
	v_mov_b32_e32 v3, v51
	v_cmp_ne_u64_e32 vcc, s[76:77], v[2:3]
                                        ; implicit-def: $vgpr49
	s_and_saveexec_b64 s[28:29], vcc
	s_xor_b64 s[30:31], exec, s[28:29]
	s_cbranch_execz .LBB6_10683
; %bb.10670:                            ;   in Loop: Header=BB6_10567 Depth=3
	v_and_b32_e32 v2, 0x7fffffff, v1
	v_mov_b32_e32 v3, v51
	v_cmp_gt_u64_e32 vcc, s[78:79], v[2:3]
	v_and_b32_sdwa v0, v1, s96 dst_sel:DWORD dst_unused:UNUSED_PAD src0_sel:BYTE_3 src1_sel:DWORD
                                        ; implicit-def: $vgpr49
	s_and_saveexec_b64 s[28:29], vcc
	s_xor_b64 s[34:35], exec, s[28:29]
	s_cbranch_execz .LBB6_10680
; %bb.10671:                            ;   in Loop: Header=BB6_10567 Depth=3
	v_mov_b32_e32 v49, 0
	v_cmp_ne_u32_e32 vcc, 0, v1
	s_and_saveexec_b64 s[36:37], vcc
	s_cbranch_execz .LBB6_10679
; %bb.10672:                            ;   in Loop: Header=BB6_10567 Depth=3
	v_and_b32_e32 v3, 0x7fffff, v1
	v_bfe_u32 v1, v1, 23, 8
	v_cmp_gt_u32_e64 s[28:29], s97, v1
	v_sub_u32_e32 v2, 0x79, v1
	v_cmp_eq_u32_e32 vcc, 0, v1
	v_cndmask_b32_e64 v2, 0, v2, s[28:29]
	v_mov_b32_e32 v7, 0x78
	v_or_b32_e32 v6, 0x800000, v3
	v_cndmask_b32_e32 v2, v2, v7, vcc
	v_cndmask_b32_e32 v6, v6, v3, vcc
	v_add_u32_e32 v3, 20, v2
	v_lshlrev_b64 v[13:14], v3, -1
	v_add_u32_e32 v3, 19, v2
	v_lshlrev_b64 v[15:16], v3, 1
	v_mov_b32_e32 v7, v51
	v_bfi_b32 v14, v14, 0, 0
	v_bfi_b32 v13, v13, 0, v6
	v_cmp_eq_u64_e64 s[28:29], v[13:14], v[15:16]
	v_lshrrev_b64 v[13:14], v2, v[6:7]
	v_mov_b32_e32 v15, v14
	v_mov_b32_e32 v14, v13
	s_and_saveexec_b64 s[38:39], s[28:29]
; %bb.10673:                            ;   in Loop: Header=BB6_10567 Depth=3
	v_bfe_u32 v3, v13, 20, 1
	v_add_co_u32_e64 v3, s[28:29], v13, v3
	v_add_co_u32_e64 v14, s[28:29], -1, v3
; %bb.10674:                            ;   in Loop: Header=BB6_10567 Depth=3
	s_or_b64 exec, exec, s[38:39]
	v_add_u32_e32 v1, 0xffffff81, v1
	v_mov_b32_e32 v3, 0xffffff82
	v_cndmask_b32_e32 v1, v1, v3, vcc
	v_lshrrev_b32_e32 v3, 23, v13
	v_add3_u32 v3, v2, v1, v3
	v_add_u32_e32 v2, 6, v3
	v_and_b32_e32 v1, 0xfffff, v14
	v_add_u32_e32 v13, v1, v13
	v_mov_b32_e32 v14, v51
	v_cmp_ne_u32_e32 vcc, 0, v2
                                        ; implicit-def: $vgpr1
	s_and_saveexec_b64 s[28:29], vcc
	s_xor_b64 s[28:29], exec, s[28:29]
; %bb.10675:                            ;   in Loop: Header=BB6_10567 Depth=3
	v_cmp_lt_u64_e32 vcc, s[88:89], v[13:14]
	v_add_u32_e32 v1, 7, v3
	v_cndmask_b32_e32 v1, v2, v1, vcc
	v_cndmask_b32_e64 v2, 0, 1, vcc
	v_lshrrev_b64 v[13:14], v2, v[13:14]
; %bb.10676:                            ;   in Loop: Header=BB6_10567 Depth=3
	s_andn2_saveexec_b64 s[28:29], s[28:29]
; %bb.10677:                            ;   in Loop: Header=BB6_10567 Depth=3
	v_bfe_u32 v1, v13, 23, 1
; %bb.10678:                            ;   in Loop: Header=BB6_10567 Depth=3
	s_or_b64 exec, exec, s[28:29]
	v_lshrrev_b64 v[2:3], 20, v[13:14]
	v_cmp_gt_i32_e32 vcc, 16, v1
	v_cndmask_b32_e32 v3, 0, v3, vcc
	v_cndmask_b32_e32 v2, 7, v2, vcc
	v_cmp_eq_u32_e32 vcc, 0, v1
	v_min_i32_e32 v1, 15, v1
	v_cmp_eq_u64_e64 s[28:29], 0, v[2:3]
	v_lshlrev_b32_e32 v1, 3, v1
	v_and_b32_e32 v1, 0xf8, v1
	v_and_or_b32 v1, v2, 7, v1
	s_and_b64 s[28:29], vcc, s[28:29]
	v_cndmask_b32_e64 v1, v1, 0, s[28:29]
	v_or_b32_e32 v49, v1, v0
.LBB6_10679:                            ;   in Loop: Header=BB6_10567 Depth=3
	s_or_b64 exec, exec, s[36:37]
                                        ; implicit-def: $vgpr0
.LBB6_10680:                            ;   in Loop: Header=BB6_10567 Depth=3
	s_andn2_saveexec_b64 s[28:29], s[34:35]
; %bb.10681:                            ;   in Loop: Header=BB6_10567 Depth=3
	v_or_b32_e32 v49, 0x7e, v0
; %bb.10682:                            ;   in Loop: Header=BB6_10567 Depth=3
	s_or_b64 exec, exec, s[28:29]
                                        ; implicit-def: $vgpr1
.LBB6_10683:                            ;   in Loop: Header=BB6_10567 Depth=3
	s_andn2_saveexec_b64 s[28:29], s[30:31]
; %bb.10684:                            ;   in Loop: Header=BB6_10567 Depth=3
	v_or_b32_sdwa v49, v1, s86 dst_sel:DWORD dst_unused:UNUSED_PAD src0_sel:BYTE_3 src1_sel:DWORD
; %bb.10685:                            ;   in Loop: Header=BB6_10567 Depth=3
	s_or_b64 exec, exec, s[28:29]
	v_lshrrev_b16_e32 v13, 8, v12
	v_cmp_ne_u16_e32 vcc, 0, v13
	v_mov_b32_e32 v0, 0
	s_and_saveexec_b64 s[28:29], vcc
	s_cbranch_execz .LBB6_10691
; %bb.10686:                            ;   in Loop: Header=BB6_10567 Depth=3
	v_cmp_ne_u16_e32 vcc, s96, v13
	v_bfrev_b32_e32 v0, 1
	s_and_saveexec_b64 s[30:31], vcc
	s_cbranch_execz .LBB6_10690
; %bb.10687:                            ;   in Loop: Header=BB6_10567 Depth=3
	v_and_b32_e32 v1, 0x7f, v13
	v_cmp_ne_u32_e32 vcc, s86, v1
	v_mov_b32_e32 v0, 0x7f800001
	s_and_saveexec_b64 s[34:35], vcc
	s_cbranch_execz .LBB6_10689
; %bb.10688:                            ;   in Loop: Header=BB6_10567 Depth=3
	v_and_b32_e32 v2, 7, v13
	v_ffbh_u32_e32 v0, v2
	v_min_u32_e32 v6, 32, v0
	v_subrev_u32_e32 v0, 28, v6
	v_lshrrev_b32_e32 v3, 3, v1
	v_cmp_gt_u32_e32 vcc, 8, v1
	v_lshlrev_b64 v[0:1], v0, v[13:14]
	v_sub_u32_e32 v1, 29, v6
	v_and_b32_e32 v0, 7, v0
	v_cndmask_b32_e32 v1, v3, v1, vcc
	v_cndmask_b32_e32 v0, v2, v0, vcc
	v_lshlrev_b32_e32 v2, 16, v12
	v_bfrev_b32_e32 v3, 60
	v_lshlrev_b32_e32 v0, 20, v0
	v_and_b32_e32 v2, 0x80000000, v2
	v_lshl_add_u32 v1, v1, 23, v3
	v_or3_b32 v0, v2, v1, v0
.LBB6_10689:                            ;   in Loop: Header=BB6_10567 Depth=3
	s_or_b64 exec, exec, s[34:35]
.LBB6_10690:                            ;   in Loop: Header=BB6_10567 Depth=3
	s_or_b64 exec, exec, s[30:31]
.LBB6_10691:                            ;   in Loop: Header=BB6_10567 Depth=3
	s_or_b64 exec, exec, s[28:29]
	v_mul_f32_e32 v1, v5, v0
	v_and_b32_e32 v2, 0x7f800000, v1
	v_mov_b32_e32 v3, v51
	v_cmp_ne_u64_e32 vcc, s[76:77], v[2:3]
                                        ; implicit-def: $vgpr47
	s_and_saveexec_b64 s[28:29], vcc
	s_xor_b64 s[30:31], exec, s[28:29]
	s_cbranch_execz .LBB6_10705
; %bb.10692:                            ;   in Loop: Header=BB6_10567 Depth=3
	v_and_b32_e32 v2, 0x7fffffff, v1
	v_mov_b32_e32 v3, v51
	v_cmp_gt_u64_e32 vcc, s[78:79], v[2:3]
	v_and_b32_sdwa v0, v1, s96 dst_sel:DWORD dst_unused:UNUSED_PAD src0_sel:BYTE_3 src1_sel:DWORD
                                        ; implicit-def: $vgpr47
	s_and_saveexec_b64 s[28:29], vcc
	s_xor_b64 s[34:35], exec, s[28:29]
	s_cbranch_execz .LBB6_10702
; %bb.10693:                            ;   in Loop: Header=BB6_10567 Depth=3
	v_mov_b32_e32 v47, 0
	v_cmp_ne_u32_e32 vcc, 0, v1
	s_and_saveexec_b64 s[36:37], vcc
	s_cbranch_execz .LBB6_10701
; %bb.10694:                            ;   in Loop: Header=BB6_10567 Depth=3
	v_and_b32_e32 v3, 0x7fffff, v1
	v_bfe_u32 v1, v1, 23, 8
	v_cmp_gt_u32_e64 s[28:29], s97, v1
	v_sub_u32_e32 v2, 0x79, v1
	v_cmp_eq_u32_e32 vcc, 0, v1
	v_cndmask_b32_e64 v2, 0, v2, s[28:29]
	v_mov_b32_e32 v7, 0x78
	v_or_b32_e32 v6, 0x800000, v3
	v_cndmask_b32_e32 v2, v2, v7, vcc
	v_cndmask_b32_e32 v6, v6, v3, vcc
	v_add_u32_e32 v3, 20, v2
	v_lshlrev_b64 v[12:13], v3, -1
	v_add_u32_e32 v3, 19, v2
	v_lshlrev_b64 v[14:15], v3, 1
	v_mov_b32_e32 v7, v51
	v_bfi_b32 v13, v13, 0, 0
	v_bfi_b32 v12, v12, 0, v6
	v_cmp_eq_u64_e64 s[28:29], v[12:13], v[14:15]
	v_lshrrev_b64 v[12:13], v2, v[6:7]
	v_mov_b32_e32 v14, v13
	v_mov_b32_e32 v13, v12
	s_and_saveexec_b64 s[38:39], s[28:29]
; %bb.10695:                            ;   in Loop: Header=BB6_10567 Depth=3
	v_bfe_u32 v3, v12, 20, 1
	v_add_co_u32_e64 v3, s[28:29], v12, v3
	v_add_co_u32_e64 v13, s[28:29], -1, v3
; %bb.10696:                            ;   in Loop: Header=BB6_10567 Depth=3
	s_or_b64 exec, exec, s[38:39]
	v_add_u32_e32 v1, 0xffffff81, v1
	v_mov_b32_e32 v3, 0xffffff82
	v_cndmask_b32_e32 v1, v1, v3, vcc
	v_lshrrev_b32_e32 v3, 23, v12
	v_add3_u32 v3, v2, v1, v3
	v_add_u32_e32 v2, 6, v3
	v_and_b32_e32 v1, 0xfffff, v13
	v_add_u32_e32 v12, v1, v12
	v_mov_b32_e32 v13, v51
	v_cmp_ne_u32_e32 vcc, 0, v2
                                        ; implicit-def: $vgpr1
	s_and_saveexec_b64 s[28:29], vcc
	s_xor_b64 s[28:29], exec, s[28:29]
; %bb.10697:                            ;   in Loop: Header=BB6_10567 Depth=3
	v_cmp_lt_u64_e32 vcc, s[88:89], v[12:13]
	v_add_u32_e32 v1, 7, v3
	v_cndmask_b32_e32 v1, v2, v1, vcc
	v_cndmask_b32_e64 v2, 0, 1, vcc
	v_lshrrev_b64 v[12:13], v2, v[12:13]
; %bb.10698:                            ;   in Loop: Header=BB6_10567 Depth=3
	s_andn2_saveexec_b64 s[28:29], s[28:29]
; %bb.10699:                            ;   in Loop: Header=BB6_10567 Depth=3
	v_bfe_u32 v1, v12, 23, 1
; %bb.10700:                            ;   in Loop: Header=BB6_10567 Depth=3
	s_or_b64 exec, exec, s[28:29]
	v_lshrrev_b64 v[2:3], 20, v[12:13]
	v_cmp_gt_i32_e32 vcc, 16, v1
	v_cndmask_b32_e32 v3, 0, v3, vcc
	v_cndmask_b32_e32 v2, 7, v2, vcc
	v_cmp_eq_u32_e32 vcc, 0, v1
	v_min_i32_e32 v1, 15, v1
	v_cmp_eq_u64_e64 s[28:29], 0, v[2:3]
	v_lshlrev_b32_e32 v1, 3, v1
	v_and_b32_e32 v1, 0xf8, v1
	v_and_or_b32 v1, v2, 7, v1
	s_and_b64 s[28:29], vcc, s[28:29]
	v_cndmask_b32_e64 v1, v1, 0, s[28:29]
	v_or_b32_e32 v47, v1, v0
.LBB6_10701:                            ;   in Loop: Header=BB6_10567 Depth=3
	s_or_b64 exec, exec, s[36:37]
                                        ; implicit-def: $vgpr0
.LBB6_10702:                            ;   in Loop: Header=BB6_10567 Depth=3
	s_andn2_saveexec_b64 s[28:29], s[34:35]
; %bb.10703:                            ;   in Loop: Header=BB6_10567 Depth=3
	v_or_b32_e32 v47, 0x7e, v0
; %bb.10704:                            ;   in Loop: Header=BB6_10567 Depth=3
	s_or_b64 exec, exec, s[28:29]
                                        ; implicit-def: $vgpr1
.LBB6_10705:                            ;   in Loop: Header=BB6_10567 Depth=3
	s_andn2_saveexec_b64 s[28:29], s[30:31]
; %bb.10706:                            ;   in Loop: Header=BB6_10567 Depth=3
	v_or_b32_sdwa v47, v1, s86 dst_sel:DWORD dst_unused:UNUSED_PAD src0_sel:BYTE_3 src1_sel:DWORD
; %bb.10707:                            ;   in Loop: Header=BB6_10567 Depth=3
	s_or_b64 exec, exec, s[28:29]
	v_lshrrev_b32_e32 v12, 16, v9
	v_cmp_ne_u16_sdwa vcc, v12, v51 src0_sel:BYTE_0 src1_sel:DWORD
	v_mov_b32_e32 v0, 0
	s_and_saveexec_b64 s[28:29], vcc
	s_cbranch_execz .LBB6_10713
; %bb.10708:                            ;   in Loop: Header=BB6_10567 Depth=3
	v_cmp_ne_u16_sdwa vcc, v12, s96 src0_sel:BYTE_0 src1_sel:DWORD
	v_bfrev_b32_e32 v0, 1
	s_and_saveexec_b64 s[30:31], vcc
	s_cbranch_execz .LBB6_10712
; %bb.10709:                            ;   in Loop: Header=BB6_10567 Depth=3
	v_bfe_u32 v1, v9, 16, 7
	v_cmp_ne_u32_e32 vcc, s86, v1
	v_mov_b32_e32 v0, 0x7f800001
	s_and_saveexec_b64 s[34:35], vcc
	s_cbranch_execz .LBB6_10711
; %bb.10710:                            ;   in Loop: Header=BB6_10567 Depth=3
	v_and_b32_e32 v2, 7, v12
	v_ffbh_u32_e32 v0, v2
	v_min_u32_e32 v6, 32, v0
	v_subrev_u32_e32 v0, 28, v6
	v_lshrrev_b32_e32 v3, 3, v1
	v_cmp_gt_u32_e32 vcc, 8, v1
	v_lshlrev_b64 v[0:1], v0, v[12:13]
	v_sub_u32_e32 v1, 29, v6
	v_and_b32_e32 v0, 7, v0
	v_cndmask_b32_e32 v1, v3, v1, vcc
	v_cndmask_b32_e32 v0, v2, v0, vcc
	v_lshlrev_b32_e32 v2, 24, v12
	v_bfrev_b32_e32 v3, 60
	v_lshlrev_b32_e32 v0, 20, v0
	v_and_b32_e32 v2, 0x80000000, v2
	v_lshl_add_u32 v1, v1, 23, v3
	v_or3_b32 v0, v2, v1, v0
.LBB6_10711:                            ;   in Loop: Header=BB6_10567 Depth=3
	s_or_b64 exec, exec, s[34:35]
.LBB6_10712:                            ;   in Loop: Header=BB6_10567 Depth=3
	s_or_b64 exec, exec, s[30:31]
.LBB6_10713:                            ;   in Loop: Header=BB6_10567 Depth=3
	s_or_b64 exec, exec, s[28:29]
	v_mul_f32_e32 v1, v5, v0
	v_and_b32_e32 v2, 0x7f800000, v1
	v_mov_b32_e32 v3, v51
	v_cmp_ne_u64_e32 vcc, s[76:77], v[2:3]
                                        ; implicit-def: $vgpr48
	s_and_saveexec_b64 s[28:29], vcc
	s_xor_b64 s[30:31], exec, s[28:29]
	s_cbranch_execz .LBB6_10727
; %bb.10714:                            ;   in Loop: Header=BB6_10567 Depth=3
	v_and_b32_e32 v2, 0x7fffffff, v1
	v_mov_b32_e32 v3, v51
	v_cmp_gt_u64_e32 vcc, s[78:79], v[2:3]
	v_and_b32_sdwa v0, v1, s96 dst_sel:DWORD dst_unused:UNUSED_PAD src0_sel:BYTE_3 src1_sel:DWORD
                                        ; implicit-def: $vgpr48
	s_and_saveexec_b64 s[28:29], vcc
	s_xor_b64 s[34:35], exec, s[28:29]
	s_cbranch_execz .LBB6_10724
; %bb.10715:                            ;   in Loop: Header=BB6_10567 Depth=3
	v_mov_b32_e32 v48, 0
	v_cmp_ne_u32_e32 vcc, 0, v1
	s_and_saveexec_b64 s[36:37], vcc
	s_cbranch_execz .LBB6_10723
; %bb.10716:                            ;   in Loop: Header=BB6_10567 Depth=3
	v_and_b32_e32 v3, 0x7fffff, v1
	v_bfe_u32 v1, v1, 23, 8
	v_cmp_gt_u32_e64 s[28:29], s97, v1
	v_sub_u32_e32 v2, 0x79, v1
	v_cmp_eq_u32_e32 vcc, 0, v1
	v_cndmask_b32_e64 v2, 0, v2, s[28:29]
	v_mov_b32_e32 v7, 0x78
	v_or_b32_e32 v6, 0x800000, v3
	v_cndmask_b32_e32 v2, v2, v7, vcc
	v_cndmask_b32_e32 v6, v6, v3, vcc
	v_add_u32_e32 v3, 20, v2
	v_lshlrev_b64 v[12:13], v3, -1
	v_add_u32_e32 v3, 19, v2
	v_lshlrev_b64 v[14:15], v3, 1
	v_mov_b32_e32 v7, v51
	v_bfi_b32 v13, v13, 0, 0
	v_bfi_b32 v12, v12, 0, v6
	v_cmp_eq_u64_e64 s[28:29], v[12:13], v[14:15]
	v_lshrrev_b64 v[12:13], v2, v[6:7]
	v_mov_b32_e32 v14, v13
	v_mov_b32_e32 v13, v12
	s_and_saveexec_b64 s[38:39], s[28:29]
; %bb.10717:                            ;   in Loop: Header=BB6_10567 Depth=3
	v_bfe_u32 v3, v12, 20, 1
	v_add_co_u32_e64 v3, s[28:29], v12, v3
	v_add_co_u32_e64 v13, s[28:29], -1, v3
; %bb.10718:                            ;   in Loop: Header=BB6_10567 Depth=3
	s_or_b64 exec, exec, s[38:39]
	v_add_u32_e32 v1, 0xffffff81, v1
	v_mov_b32_e32 v3, 0xffffff82
	v_cndmask_b32_e32 v1, v1, v3, vcc
	v_lshrrev_b32_e32 v3, 23, v12
	v_add3_u32 v3, v2, v1, v3
	v_add_u32_e32 v2, 6, v3
	v_and_b32_e32 v1, 0xfffff, v13
	v_add_u32_e32 v12, v1, v12
	v_mov_b32_e32 v13, v51
	v_cmp_ne_u32_e32 vcc, 0, v2
                                        ; implicit-def: $vgpr1
	s_and_saveexec_b64 s[28:29], vcc
	s_xor_b64 s[28:29], exec, s[28:29]
; %bb.10719:                            ;   in Loop: Header=BB6_10567 Depth=3
	v_cmp_lt_u64_e32 vcc, s[88:89], v[12:13]
	v_add_u32_e32 v1, 7, v3
	v_cndmask_b32_e32 v1, v2, v1, vcc
	v_cndmask_b32_e64 v2, 0, 1, vcc
	v_lshrrev_b64 v[12:13], v2, v[12:13]
; %bb.10720:                            ;   in Loop: Header=BB6_10567 Depth=3
	s_andn2_saveexec_b64 s[28:29], s[28:29]
; %bb.10721:                            ;   in Loop: Header=BB6_10567 Depth=3
	v_bfe_u32 v1, v12, 23, 1
; %bb.10722:                            ;   in Loop: Header=BB6_10567 Depth=3
	s_or_b64 exec, exec, s[28:29]
	v_lshrrev_b64 v[2:3], 20, v[12:13]
	v_cmp_gt_i32_e32 vcc, 16, v1
	v_cndmask_b32_e32 v3, 0, v3, vcc
	v_cndmask_b32_e32 v2, 7, v2, vcc
	v_cmp_eq_u32_e32 vcc, 0, v1
	v_min_i32_e32 v1, 15, v1
	v_cmp_eq_u64_e64 s[28:29], 0, v[2:3]
	v_lshlrev_b32_e32 v1, 3, v1
	v_and_b32_e32 v1, 0xf8, v1
	v_and_or_b32 v1, v2, 7, v1
	s_and_b64 s[28:29], vcc, s[28:29]
	v_cndmask_b32_e64 v1, v1, 0, s[28:29]
	v_or_b32_e32 v48, v1, v0
.LBB6_10723:                            ;   in Loop: Header=BB6_10567 Depth=3
	s_or_b64 exec, exec, s[36:37]
                                        ; implicit-def: $vgpr0
.LBB6_10724:                            ;   in Loop: Header=BB6_10567 Depth=3
	s_andn2_saveexec_b64 s[28:29], s[34:35]
; %bb.10725:                            ;   in Loop: Header=BB6_10567 Depth=3
	v_or_b32_e32 v48, 0x7e, v0
; %bb.10726:                            ;   in Loop: Header=BB6_10567 Depth=3
	s_or_b64 exec, exec, s[28:29]
                                        ; implicit-def: $vgpr1
.LBB6_10727:                            ;   in Loop: Header=BB6_10567 Depth=3
	s_andn2_saveexec_b64 s[28:29], s[30:31]
; %bb.10728:                            ;   in Loop: Header=BB6_10567 Depth=3
	v_or_b32_sdwa v48, v1, s86 dst_sel:DWORD dst_unused:UNUSED_PAD src0_sel:BYTE_3 src1_sel:DWORD
; %bb.10729:                            ;   in Loop: Header=BB6_10567 Depth=3
	s_or_b64 exec, exec, s[28:29]
	v_cmp_lt_u64_e32 vcc, s[56:57], v[8:9]
	v_mov_b32_e32 v0, 0
	s_and_saveexec_b64 s[28:29], vcc
	s_cbranch_execz .LBB6_10735
; %bb.10730:                            ;   in Loop: Header=BB6_10567 Depth=3
	v_lshrrev_b32_e32 v8, 24, v9
	v_cmp_ne_u32_e32 vcc, s96, v8
	v_bfrev_b32_e32 v0, 1
	s_and_saveexec_b64 s[30:31], vcc
	s_cbranch_execz .LBB6_10734
; %bb.10731:                            ;   in Loop: Header=BB6_10567 Depth=3
	v_bfe_u32 v1, v9, 24, 7
	v_cmp_ne_u32_e32 vcc, s86, v1
	v_mov_b32_e32 v0, 0x7f800001
	s_and_saveexec_b64 s[34:35], vcc
	s_cbranch_execz .LBB6_10733
; %bb.10732:                            ;   in Loop: Header=BB6_10567 Depth=3
	v_and_b32_e32 v2, 7, v8
	v_ffbh_u32_e32 v0, v2
	v_min_u32_e32 v6, 32, v0
	v_subrev_u32_e32 v0, 28, v6
	v_lshrrev_b32_e32 v3, 3, v1
	v_cmp_gt_u32_e32 vcc, 8, v1
	v_lshlrev_b64 v[0:1], v0, v[8:9]
	v_sub_u32_e32 v1, 29, v6
	v_and_b32_e32 v0, 7, v0
	v_cndmask_b32_e32 v1, v3, v1, vcc
	v_cndmask_b32_e32 v0, v2, v0, vcc
	v_lshlrev_b32_e32 v2, 24, v8
	v_bfrev_b32_e32 v3, 60
	v_lshlrev_b32_e32 v0, 20, v0
	v_and_b32_e32 v2, 0x80000000, v2
	v_lshl_add_u32 v1, v1, 23, v3
	v_or3_b32 v0, v2, v1, v0
.LBB6_10733:                            ;   in Loop: Header=BB6_10567 Depth=3
	s_or_b64 exec, exec, s[34:35]
.LBB6_10734:                            ;   in Loop: Header=BB6_10567 Depth=3
	s_or_b64 exec, exec, s[30:31]
.LBB6_10735:                            ;   in Loop: Header=BB6_10567 Depth=3
	s_or_b64 exec, exec, s[28:29]
	v_mul_f32_e32 v1, v5, v0
	v_and_b32_e32 v2, 0x7f800000, v1
	v_mov_b32_e32 v3, v51
	v_cmp_ne_u64_e32 vcc, s[76:77], v[2:3]
                                        ; implicit-def: $vgpr32
	s_and_saveexec_b64 s[28:29], vcc
	s_xor_b64 s[30:31], exec, s[28:29]
	s_cbranch_execz .LBB6_10749
; %bb.10736:                            ;   in Loop: Header=BB6_10567 Depth=3
	v_and_b32_e32 v2, 0x7fffffff, v1
	v_mov_b32_e32 v3, v51
	v_cmp_gt_u64_e32 vcc, s[78:79], v[2:3]
	v_and_b32_sdwa v0, v1, s96 dst_sel:DWORD dst_unused:UNUSED_PAD src0_sel:BYTE_3 src1_sel:DWORD
                                        ; implicit-def: $vgpr32
	s_and_saveexec_b64 s[28:29], vcc
	s_xor_b64 s[34:35], exec, s[28:29]
	s_cbranch_execz .LBB6_10746
; %bb.10737:                            ;   in Loop: Header=BB6_10567 Depth=3
	v_mov_b32_e32 v32, 0
	v_cmp_ne_u32_e32 vcc, 0, v1
	s_and_saveexec_b64 s[36:37], vcc
	s_cbranch_execz .LBB6_10745
; %bb.10738:                            ;   in Loop: Header=BB6_10567 Depth=3
	v_and_b32_e32 v3, 0x7fffff, v1
	v_bfe_u32 v1, v1, 23, 8
	v_cmp_gt_u32_e64 s[28:29], s97, v1
	v_sub_u32_e32 v2, 0x79, v1
	v_cmp_eq_u32_e32 vcc, 0, v1
	v_cndmask_b32_e64 v2, 0, v2, s[28:29]
	v_mov_b32_e32 v7, 0x78
	v_or_b32_e32 v6, 0x800000, v3
	v_cndmask_b32_e32 v2, v2, v7, vcc
	v_cndmask_b32_e32 v6, v6, v3, vcc
	v_add_u32_e32 v3, 20, v2
	v_lshlrev_b64 v[8:9], v3, -1
	v_add_u32_e32 v3, 19, v2
	v_lshlrev_b64 v[12:13], v3, 1
	v_mov_b32_e32 v7, v51
	v_bfi_b32 v9, v9, 0, 0
	v_bfi_b32 v8, v8, 0, v6
	v_cmp_eq_u64_e64 s[28:29], v[8:9], v[12:13]
	v_lshrrev_b64 v[8:9], v2, v[6:7]
	v_mov_b32_e32 v13, v9
	v_mov_b32_e32 v12, v8
	s_and_saveexec_b64 s[38:39], s[28:29]
; %bb.10739:                            ;   in Loop: Header=BB6_10567 Depth=3
	v_bfe_u32 v3, v8, 20, 1
	v_add_co_u32_e64 v3, s[28:29], v8, v3
	v_add_co_u32_e64 v12, s[28:29], -1, v3
; %bb.10740:                            ;   in Loop: Header=BB6_10567 Depth=3
	s_or_b64 exec, exec, s[38:39]
	v_add_u32_e32 v1, 0xffffff81, v1
	v_mov_b32_e32 v3, 0xffffff82
	v_cndmask_b32_e32 v1, v1, v3, vcc
	v_lshrrev_b32_e32 v3, 23, v8
	v_add3_u32 v3, v2, v1, v3
	v_add_u32_e32 v2, 6, v3
	v_and_b32_e32 v1, 0xfffff, v12
	v_add_u32_e32 v8, v1, v8
	v_mov_b32_e32 v9, v51
	v_cmp_ne_u32_e32 vcc, 0, v2
                                        ; implicit-def: $vgpr1
	s_and_saveexec_b64 s[28:29], vcc
	s_xor_b64 s[28:29], exec, s[28:29]
; %bb.10741:                            ;   in Loop: Header=BB6_10567 Depth=3
	v_cmp_lt_u64_e32 vcc, s[88:89], v[8:9]
	v_add_u32_e32 v1, 7, v3
	v_cndmask_b32_e32 v1, v2, v1, vcc
	v_cndmask_b32_e64 v2, 0, 1, vcc
	v_lshrrev_b64 v[8:9], v2, v[8:9]
; %bb.10742:                            ;   in Loop: Header=BB6_10567 Depth=3
	s_andn2_saveexec_b64 s[28:29], s[28:29]
; %bb.10743:                            ;   in Loop: Header=BB6_10567 Depth=3
	v_bfe_u32 v1, v8, 23, 1
; %bb.10744:                            ;   in Loop: Header=BB6_10567 Depth=3
	s_or_b64 exec, exec, s[28:29]
	v_lshrrev_b64 v[2:3], 20, v[8:9]
	v_cmp_gt_i32_e32 vcc, 16, v1
	v_cndmask_b32_e32 v3, 0, v3, vcc
	v_cndmask_b32_e32 v2, 7, v2, vcc
	v_cmp_eq_u32_e32 vcc, 0, v1
	v_min_i32_e32 v1, 15, v1
	v_cmp_eq_u64_e64 s[28:29], 0, v[2:3]
	v_lshlrev_b32_e32 v1, 3, v1
	v_and_b32_e32 v1, 0xf8, v1
	v_and_or_b32 v1, v2, 7, v1
	s_and_b64 s[28:29], vcc, s[28:29]
	v_cndmask_b32_e64 v1, v1, 0, s[28:29]
	v_or_b32_e32 v32, v1, v0
.LBB6_10745:                            ;   in Loop: Header=BB6_10567 Depth=3
	s_or_b64 exec, exec, s[36:37]
                                        ; implicit-def: $vgpr0
.LBB6_10746:                            ;   in Loop: Header=BB6_10567 Depth=3
	s_andn2_saveexec_b64 s[28:29], s[34:35]
; %bb.10747:                            ;   in Loop: Header=BB6_10567 Depth=3
	v_or_b32_e32 v32, 0x7e, v0
; %bb.10748:                            ;   in Loop: Header=BB6_10567 Depth=3
	s_or_b64 exec, exec, s[28:29]
                                        ; implicit-def: $vgpr1
.LBB6_10749:                            ;   in Loop: Header=BB6_10567 Depth=3
	s_andn2_saveexec_b64 s[28:29], s[30:31]
; %bb.10750:                            ;   in Loop: Header=BB6_10567 Depth=3
	v_or_b32_sdwa v32, v1, s86 dst_sel:DWORD dst_unused:UNUSED_PAD src0_sel:BYTE_3 src1_sel:DWORD
; %bb.10751:                            ;   in Loop: Header=BB6_10567 Depth=3
	s_or_b64 exec, exec, s[28:29]
	v_cmp_ne_u16_sdwa vcc, v10, v51 src0_sel:BYTE_0 src1_sel:DWORD
	v_mov_b32_e32 v0, 0
	s_and_saveexec_b64 s[28:29], vcc
	s_cbranch_execz .LBB6_10757
; %bb.10752:                            ;   in Loop: Header=BB6_10567 Depth=3
	v_cmp_ne_u16_sdwa vcc, v10, s96 src0_sel:BYTE_0 src1_sel:DWORD
	v_bfrev_b32_e32 v0, 1
	s_and_saveexec_b64 s[30:31], vcc
	s_cbranch_execz .LBB6_10756
; %bb.10753:                            ;   in Loop: Header=BB6_10567 Depth=3
	v_and_b32_e32 v1, 0x7f, v10
	v_cmp_ne_u32_e32 vcc, s86, v1
	v_mov_b32_e32 v0, 0x7f800001
	s_and_saveexec_b64 s[34:35], vcc
	s_cbranch_execz .LBB6_10755
; %bb.10754:                            ;   in Loop: Header=BB6_10567 Depth=3
	v_and_b32_e32 v0, 7, v10
	v_ffbh_u32_e32 v0, v0
	v_min_u32_e32 v0, 32, v0
	v_lshrrev_b32_e32 v2, 3, v1
	v_cmp_gt_u32_e32 vcc, 8, v1
	v_subrev_u32_e32 v1, 28, v0
	v_sub_u32_e32 v0, 29, v0
	v_cndmask_b32_e32 v2, v2, v0, vcc
	v_cndmask_b32_e32 v0, 0, v1, vcc
	v_lshlrev_b64 v[0:1], v0, v[10:11]
	v_lshlrev_b32_e32 v1, 24, v10
	v_lshlrev_b32_e32 v0, 20, v0
	v_bfrev_b32_e32 v3, 60
	v_and_b32_e32 v0, 0x700000, v0
	v_and_b32_e32 v1, 0x80000000, v1
	v_lshl_add_u32 v2, v2, 23, v3
	v_or3_b32 v0, v1, v2, v0
.LBB6_10755:                            ;   in Loop: Header=BB6_10567 Depth=3
	s_or_b64 exec, exec, s[34:35]
.LBB6_10756:                            ;   in Loop: Header=BB6_10567 Depth=3
	s_or_b64 exec, exec, s[30:31]
.LBB6_10757:                            ;   in Loop: Header=BB6_10567 Depth=3
	s_or_b64 exec, exec, s[28:29]
	v_mul_f32_e32 v1, v5, v0
	v_and_b32_e32 v2, 0x7f800000, v1
	v_mov_b32_e32 v3, v51
	v_cmp_ne_u64_e32 vcc, s[76:77], v[2:3]
                                        ; implicit-def: $vgpr35
	s_and_saveexec_b64 s[28:29], vcc
	s_xor_b64 s[30:31], exec, s[28:29]
	s_cbranch_execz .LBB6_10771
; %bb.10758:                            ;   in Loop: Header=BB6_10567 Depth=3
	v_and_b32_e32 v2, 0x7fffffff, v1
	v_mov_b32_e32 v3, v51
	v_cmp_gt_u64_e32 vcc, s[78:79], v[2:3]
	v_and_b32_sdwa v0, v1, s96 dst_sel:DWORD dst_unused:UNUSED_PAD src0_sel:BYTE_3 src1_sel:DWORD
                                        ; implicit-def: $vgpr35
	s_and_saveexec_b64 s[28:29], vcc
	s_xor_b64 s[34:35], exec, s[28:29]
	s_cbranch_execz .LBB6_10768
; %bb.10759:                            ;   in Loop: Header=BB6_10567 Depth=3
	v_mov_b32_e32 v35, 0
	v_cmp_ne_u32_e32 vcc, 0, v1
	s_and_saveexec_b64 s[36:37], vcc
	s_cbranch_execz .LBB6_10767
; %bb.10760:                            ;   in Loop: Header=BB6_10567 Depth=3
	v_and_b32_e32 v3, 0x7fffff, v1
	v_bfe_u32 v1, v1, 23, 8
	v_cmp_gt_u32_e64 s[28:29], s97, v1
	v_sub_u32_e32 v2, 0x79, v1
	v_cmp_eq_u32_e32 vcc, 0, v1
	v_cndmask_b32_e64 v2, 0, v2, s[28:29]
	v_mov_b32_e32 v7, 0x78
	v_or_b32_e32 v6, 0x800000, v3
	v_cndmask_b32_e32 v2, v2, v7, vcc
	v_cndmask_b32_e32 v6, v6, v3, vcc
	v_add_u32_e32 v3, 20, v2
	v_lshlrev_b64 v[8:9], v3, -1
	v_add_u32_e32 v3, 19, v2
	v_lshlrev_b64 v[12:13], v3, 1
	v_mov_b32_e32 v7, v51
	v_bfi_b32 v9, v9, 0, 0
	v_bfi_b32 v8, v8, 0, v6
	v_cmp_eq_u64_e64 s[28:29], v[8:9], v[12:13]
	v_lshrrev_b64 v[8:9], v2, v[6:7]
	v_mov_b32_e32 v13, v9
	v_mov_b32_e32 v12, v8
	s_and_saveexec_b64 s[38:39], s[28:29]
; %bb.10761:                            ;   in Loop: Header=BB6_10567 Depth=3
	v_bfe_u32 v3, v8, 20, 1
	v_add_co_u32_e64 v3, s[28:29], v8, v3
	v_add_co_u32_e64 v12, s[28:29], -1, v3
; %bb.10762:                            ;   in Loop: Header=BB6_10567 Depth=3
	s_or_b64 exec, exec, s[38:39]
	v_add_u32_e32 v1, 0xffffff81, v1
	v_mov_b32_e32 v3, 0xffffff82
	v_cndmask_b32_e32 v1, v1, v3, vcc
	v_lshrrev_b32_e32 v3, 23, v8
	v_add3_u32 v3, v2, v1, v3
	v_add_u32_e32 v2, 6, v3
	v_and_b32_e32 v1, 0xfffff, v12
	v_add_u32_e32 v8, v1, v8
	v_mov_b32_e32 v9, v51
	v_cmp_ne_u32_e32 vcc, 0, v2
                                        ; implicit-def: $vgpr1
	s_and_saveexec_b64 s[28:29], vcc
	s_xor_b64 s[28:29], exec, s[28:29]
; %bb.10763:                            ;   in Loop: Header=BB6_10567 Depth=3
	v_cmp_lt_u64_e32 vcc, s[88:89], v[8:9]
	v_add_u32_e32 v1, 7, v3
	v_cndmask_b32_e32 v1, v2, v1, vcc
	v_cndmask_b32_e64 v2, 0, 1, vcc
	v_lshrrev_b64 v[8:9], v2, v[8:9]
; %bb.10764:                            ;   in Loop: Header=BB6_10567 Depth=3
	s_andn2_saveexec_b64 s[28:29], s[28:29]
; %bb.10765:                            ;   in Loop: Header=BB6_10567 Depth=3
	v_bfe_u32 v1, v8, 23, 1
; %bb.10766:                            ;   in Loop: Header=BB6_10567 Depth=3
	s_or_b64 exec, exec, s[28:29]
	v_lshrrev_b64 v[2:3], 20, v[8:9]
	v_cmp_gt_i32_e32 vcc, 16, v1
	v_cndmask_b32_e32 v3, 0, v3, vcc
	v_cndmask_b32_e32 v2, 7, v2, vcc
	v_cmp_eq_u32_e32 vcc, 0, v1
	v_min_i32_e32 v1, 15, v1
	v_cmp_eq_u64_e64 s[28:29], 0, v[2:3]
	v_lshlrev_b32_e32 v1, 3, v1
	v_and_b32_e32 v1, 0xf8, v1
	v_and_or_b32 v1, v2, 7, v1
	s_and_b64 s[28:29], vcc, s[28:29]
	v_cndmask_b32_e64 v1, v1, 0, s[28:29]
	v_or_b32_e32 v35, v1, v0
.LBB6_10767:                            ;   in Loop: Header=BB6_10567 Depth=3
	s_or_b64 exec, exec, s[36:37]
                                        ; implicit-def: $vgpr0
.LBB6_10768:                            ;   in Loop: Header=BB6_10567 Depth=3
	s_andn2_saveexec_b64 s[28:29], s[34:35]
; %bb.10769:                            ;   in Loop: Header=BB6_10567 Depth=3
	v_or_b32_e32 v35, 0x7e, v0
; %bb.10770:                            ;   in Loop: Header=BB6_10567 Depth=3
	s_or_b64 exec, exec, s[28:29]
                                        ; implicit-def: $vgpr1
.LBB6_10771:                            ;   in Loop: Header=BB6_10567 Depth=3
	s_andn2_saveexec_b64 s[28:29], s[30:31]
; %bb.10772:                            ;   in Loop: Header=BB6_10567 Depth=3
	v_or_b32_sdwa v35, v1, s86 dst_sel:DWORD dst_unused:UNUSED_PAD src0_sel:BYTE_3 src1_sel:DWORD
; %bb.10773:                            ;   in Loop: Header=BB6_10567 Depth=3
	s_or_b64 exec, exec, s[28:29]
	v_lshrrev_b16_e32 v8, 8, v10
	v_cmp_ne_u16_e32 vcc, 0, v8
	v_mov_b32_e32 v0, 0
	s_and_saveexec_b64 s[28:29], vcc
	s_cbranch_execz .LBB6_10779
; %bb.10774:                            ;   in Loop: Header=BB6_10567 Depth=3
	v_cmp_ne_u16_e32 vcc, s96, v8
	v_bfrev_b32_e32 v0, 1
	s_and_saveexec_b64 s[30:31], vcc
	s_cbranch_execz .LBB6_10778
; %bb.10775:                            ;   in Loop: Header=BB6_10567 Depth=3
	v_and_b32_e32 v1, 0x7f, v8
	v_cmp_ne_u32_e32 vcc, s86, v1
	v_mov_b32_e32 v0, 0x7f800001
	s_and_saveexec_b64 s[34:35], vcc
	s_cbranch_execz .LBB6_10777
; %bb.10776:                            ;   in Loop: Header=BB6_10567 Depth=3
	v_and_b32_e32 v2, 7, v8
	v_ffbh_u32_e32 v0, v2
	v_min_u32_e32 v6, 32, v0
	v_subrev_u32_e32 v0, 28, v6
	v_lshrrev_b32_e32 v3, 3, v1
	v_cmp_gt_u32_e32 vcc, 8, v1
	v_lshlrev_b64 v[0:1], v0, v[8:9]
	v_sub_u32_e32 v1, 29, v6
	v_and_b32_e32 v0, 7, v0
	v_cndmask_b32_e32 v1, v3, v1, vcc
	v_cndmask_b32_e32 v0, v2, v0, vcc
	v_lshlrev_b32_e32 v2, 16, v10
	v_bfrev_b32_e32 v3, 60
	v_lshlrev_b32_e32 v0, 20, v0
	v_and_b32_e32 v2, 0x80000000, v2
	v_lshl_add_u32 v1, v1, 23, v3
	v_or3_b32 v0, v2, v1, v0
.LBB6_10777:                            ;   in Loop: Header=BB6_10567 Depth=3
	s_or_b64 exec, exec, s[34:35]
.LBB6_10778:                            ;   in Loop: Header=BB6_10567 Depth=3
	s_or_b64 exec, exec, s[30:31]
.LBB6_10779:                            ;   in Loop: Header=BB6_10567 Depth=3
	s_or_b64 exec, exec, s[28:29]
	v_mul_f32_e32 v1, v5, v0
	v_and_b32_e32 v2, 0x7f800000, v1
	v_mov_b32_e32 v3, v51
	v_cmp_ne_u64_e32 vcc, s[76:77], v[2:3]
                                        ; implicit-def: $vgpr3
	s_and_saveexec_b64 s[28:29], vcc
	s_xor_b64 s[30:31], exec, s[28:29]
	s_cbranch_execz .LBB6_10793
; %bb.10780:                            ;   in Loop: Header=BB6_10567 Depth=3
	v_and_b32_e32 v2, 0x7fffffff, v1
	v_mov_b32_e32 v3, v51
	v_cmp_gt_u64_e32 vcc, s[78:79], v[2:3]
	v_and_b32_sdwa v0, v1, s96 dst_sel:DWORD dst_unused:UNUSED_PAD src0_sel:BYTE_3 src1_sel:DWORD
                                        ; implicit-def: $vgpr3
	s_and_saveexec_b64 s[28:29], vcc
	s_xor_b64 s[34:35], exec, s[28:29]
	s_cbranch_execz .LBB6_10790
; %bb.10781:                            ;   in Loop: Header=BB6_10567 Depth=3
	v_mov_b32_e32 v3, 0
	v_cmp_ne_u32_e32 vcc, 0, v1
	s_and_saveexec_b64 s[36:37], vcc
	s_cbranch_execz .LBB6_10789
; %bb.10782:                            ;   in Loop: Header=BB6_10567 Depth=3
	v_and_b32_e32 v3, 0x7fffff, v1
	v_bfe_u32 v1, v1, 23, 8
	v_cmp_gt_u32_e64 s[28:29], s97, v1
	v_sub_u32_e32 v2, 0x79, v1
	v_cmp_eq_u32_e32 vcc, 0, v1
	v_cndmask_b32_e64 v2, 0, v2, s[28:29]
	v_mov_b32_e32 v7, 0x78
	v_or_b32_e32 v6, 0x800000, v3
	v_cndmask_b32_e32 v2, v2, v7, vcc
	v_cndmask_b32_e32 v6, v6, v3, vcc
	v_add_u32_e32 v3, 20, v2
	v_lshlrev_b64 v[8:9], v3, -1
	v_add_u32_e32 v3, 19, v2
	v_lshlrev_b64 v[12:13], v3, 1
	v_mov_b32_e32 v7, v51
	v_bfi_b32 v9, v9, 0, 0
	v_bfi_b32 v8, v8, 0, v6
	v_cmp_eq_u64_e64 s[28:29], v[8:9], v[12:13]
	v_lshrrev_b64 v[8:9], v2, v[6:7]
	v_mov_b32_e32 v13, v9
	v_mov_b32_e32 v12, v8
	s_and_saveexec_b64 s[38:39], s[28:29]
; %bb.10783:                            ;   in Loop: Header=BB6_10567 Depth=3
	v_bfe_u32 v3, v8, 20, 1
	v_add_co_u32_e64 v3, s[28:29], v8, v3
	v_add_co_u32_e64 v12, s[28:29], -1, v3
; %bb.10784:                            ;   in Loop: Header=BB6_10567 Depth=3
	s_or_b64 exec, exec, s[38:39]
	v_add_u32_e32 v1, 0xffffff81, v1
	v_mov_b32_e32 v3, 0xffffff82
	v_cndmask_b32_e32 v1, v1, v3, vcc
	v_lshrrev_b32_e32 v3, 23, v8
	v_add3_u32 v3, v2, v1, v3
	v_add_u32_e32 v2, 6, v3
	v_and_b32_e32 v1, 0xfffff, v12
	v_add_u32_e32 v8, v1, v8
	v_mov_b32_e32 v9, v51
	v_cmp_ne_u32_e32 vcc, 0, v2
                                        ; implicit-def: $vgpr1
	s_and_saveexec_b64 s[28:29], vcc
	s_xor_b64 s[28:29], exec, s[28:29]
; %bb.10785:                            ;   in Loop: Header=BB6_10567 Depth=3
	v_cmp_lt_u64_e32 vcc, s[88:89], v[8:9]
	v_add_u32_e32 v1, 7, v3
	v_cndmask_b32_e32 v1, v2, v1, vcc
	v_cndmask_b32_e64 v2, 0, 1, vcc
	v_lshrrev_b64 v[8:9], v2, v[8:9]
; %bb.10786:                            ;   in Loop: Header=BB6_10567 Depth=3
	s_andn2_saveexec_b64 s[28:29], s[28:29]
; %bb.10787:                            ;   in Loop: Header=BB6_10567 Depth=3
	v_bfe_u32 v1, v8, 23, 1
; %bb.10788:                            ;   in Loop: Header=BB6_10567 Depth=3
	s_or_b64 exec, exec, s[28:29]
	v_lshrrev_b64 v[2:3], 20, v[8:9]
	v_cmp_gt_i32_e32 vcc, 16, v1
	v_cndmask_b32_e32 v3, 0, v3, vcc
	v_cndmask_b32_e32 v2, 7, v2, vcc
	v_cmp_eq_u32_e32 vcc, 0, v1
	v_min_i32_e32 v1, 15, v1
	v_cmp_eq_u64_e64 s[28:29], 0, v[2:3]
	v_lshlrev_b32_e32 v1, 3, v1
	v_and_b32_e32 v1, 0xf8, v1
	v_and_or_b32 v1, v2, 7, v1
	s_and_b64 s[28:29], vcc, s[28:29]
	v_cndmask_b32_e64 v1, v1, 0, s[28:29]
	v_or_b32_e32 v3, v1, v0
.LBB6_10789:                            ;   in Loop: Header=BB6_10567 Depth=3
	s_or_b64 exec, exec, s[36:37]
                                        ; implicit-def: $vgpr0
.LBB6_10790:                            ;   in Loop: Header=BB6_10567 Depth=3
	s_andn2_saveexec_b64 s[28:29], s[34:35]
; %bb.10791:                            ;   in Loop: Header=BB6_10567 Depth=3
	v_or_b32_e32 v3, 0x7e, v0
; %bb.10792:                            ;   in Loop: Header=BB6_10567 Depth=3
	s_or_b64 exec, exec, s[28:29]
                                        ; implicit-def: $vgpr1
.LBB6_10793:                            ;   in Loop: Header=BB6_10567 Depth=3
	s_andn2_saveexec_b64 s[28:29], s[30:31]
; %bb.10794:                            ;   in Loop: Header=BB6_10567 Depth=3
	v_or_b32_sdwa v3, v1, s86 dst_sel:DWORD dst_unused:UNUSED_PAD src0_sel:BYTE_3 src1_sel:DWORD
; %bb.10795:                            ;   in Loop: Header=BB6_10567 Depth=3
	s_or_b64 exec, exec, s[28:29]
	v_lshrrev_b32_e32 v8, 16, v10
	v_cmp_ne_u16_sdwa vcc, v8, v51 src0_sel:BYTE_0 src1_sel:DWORD
	v_mov_b32_e32 v0, 0
	s_and_saveexec_b64 s[28:29], vcc
	s_cbranch_execz .LBB6_10801
; %bb.10796:                            ;   in Loop: Header=BB6_10567 Depth=3
	v_cmp_ne_u16_sdwa vcc, v8, s96 src0_sel:BYTE_0 src1_sel:DWORD
	v_bfrev_b32_e32 v0, 1
	s_and_saveexec_b64 s[30:31], vcc
	s_cbranch_execz .LBB6_10800
; %bb.10797:                            ;   in Loop: Header=BB6_10567 Depth=3
	v_bfe_u32 v1, v10, 16, 7
	v_cmp_ne_u32_e32 vcc, s86, v1
	v_mov_b32_e32 v0, 0x7f800001
	s_and_saveexec_b64 s[34:35], vcc
	s_cbranch_execz .LBB6_10799
; %bb.10798:                            ;   in Loop: Header=BB6_10567 Depth=3
	v_and_b32_e32 v2, 7, v8
	v_ffbh_u32_e32 v0, v2
	v_min_u32_e32 v7, 32, v0
	v_subrev_u32_e32 v0, 28, v7
	v_lshrrev_b32_e32 v6, 3, v1
	v_cmp_gt_u32_e32 vcc, 8, v1
	v_lshlrev_b64 v[0:1], v0, v[8:9]
	v_sub_u32_e32 v1, 29, v7
	v_and_b32_e32 v0, 7, v0
	v_cndmask_b32_e32 v1, v6, v1, vcc
	v_cndmask_b32_e32 v0, v2, v0, vcc
	v_lshlrev_b32_e32 v2, 24, v8
	v_bfrev_b32_e32 v6, 60
	v_lshlrev_b32_e32 v0, 20, v0
	v_and_b32_e32 v2, 0x80000000, v2
	v_lshl_add_u32 v1, v1, 23, v6
	v_or3_b32 v0, v2, v1, v0
.LBB6_10799:                            ;   in Loop: Header=BB6_10567 Depth=3
	s_or_b64 exec, exec, s[34:35]
.LBB6_10800:                            ;   in Loop: Header=BB6_10567 Depth=3
	s_or_b64 exec, exec, s[30:31]
.LBB6_10801:                            ;   in Loop: Header=BB6_10567 Depth=3
	s_or_b64 exec, exec, s[28:29]
	v_mul_f32_e32 v2, v5, v0
	v_and_b32_e32 v0, 0x7f800000, v2
	v_mov_b32_e32 v1, v51
	v_cmp_ne_u64_e32 vcc, s[76:77], v[0:1]
                                        ; implicit-def: $vgpr55
	s_and_saveexec_b64 s[28:29], vcc
	s_xor_b64 s[30:31], exec, s[28:29]
	s_cbranch_execz .LBB6_10815
; %bb.10802:                            ;   in Loop: Header=BB6_10567 Depth=3
	v_and_b32_e32 v0, 0x7fffffff, v2
	v_mov_b32_e32 v1, v51
	v_cmp_gt_u64_e32 vcc, s[78:79], v[0:1]
	v_and_b32_sdwa v1, v2, s96 dst_sel:DWORD dst_unused:UNUSED_PAD src0_sel:BYTE_3 src1_sel:DWORD
                                        ; implicit-def: $vgpr55
	s_and_saveexec_b64 s[28:29], vcc
	s_xor_b64 s[34:35], exec, s[28:29]
	s_cbranch_execz .LBB6_10812
; %bb.10803:                            ;   in Loop: Header=BB6_10567 Depth=3
	v_mov_b32_e32 v55, 0
	v_cmp_ne_u32_e32 vcc, 0, v2
	s_and_saveexec_b64 s[36:37], vcc
	s_cbranch_execz .LBB6_10811
; %bb.10804:                            ;   in Loop: Header=BB6_10567 Depth=3
	v_bfe_u32 v0, v2, 23, 8
	v_and_b32_e32 v6, 0x7fffff, v2
	v_cmp_gt_u32_e64 s[28:29], s97, v0
	v_sub_u32_e32 v2, 0x79, v0
	v_cmp_eq_u32_e32 vcc, 0, v0
	v_cndmask_b32_e64 v2, 0, v2, s[28:29]
	v_mov_b32_e32 v8, 0x78
	v_cndmask_b32_e32 v2, v2, v8, vcc
	v_add_u32_e32 v8, 20, v2
	v_or_b32_e32 v7, 0x800000, v6
	v_lshlrev_b64 v[8:9], v8, -1
	v_add_u32_e32 v12, 19, v2
	v_cndmask_b32_e32 v6, v7, v6, vcc
	v_lshlrev_b64 v[12:13], v12, 1
	v_mov_b32_e32 v7, v51
	v_bfi_b32 v9, v9, 0, 0
	v_bfi_b32 v8, v8, 0, v6
	v_cmp_eq_u64_e64 s[28:29], v[8:9], v[12:13]
	v_lshrrev_b64 v[8:9], v2, v[6:7]
	v_mov_b32_e32 v13, v9
	v_mov_b32_e32 v12, v8
	s_and_saveexec_b64 s[38:39], s[28:29]
; %bb.10805:                            ;   in Loop: Header=BB6_10567 Depth=3
	v_bfe_u32 v6, v8, 20, 1
	v_add_co_u32_e64 v6, s[28:29], v8, v6
	v_add_co_u32_e64 v12, s[28:29], -1, v6
; %bb.10806:                            ;   in Loop: Header=BB6_10567 Depth=3
	s_or_b64 exec, exec, s[38:39]
	v_add_u32_e32 v0, 0xffffff81, v0
	v_mov_b32_e32 v6, 0xffffff82
	v_cndmask_b32_e32 v0, v0, v6, vcc
	v_lshrrev_b32_e32 v6, 23, v8
	v_add3_u32 v6, v2, v0, v6
	v_add_u32_e32 v2, 6, v6
	v_and_b32_e32 v0, 0xfffff, v12
	v_add_u32_e32 v8, v0, v8
	v_mov_b32_e32 v9, v51
	v_cmp_ne_u32_e32 vcc, 0, v2
                                        ; implicit-def: $vgpr0
	s_and_saveexec_b64 s[28:29], vcc
	s_xor_b64 s[28:29], exec, s[28:29]
; %bb.10807:                            ;   in Loop: Header=BB6_10567 Depth=3
	v_cmp_lt_u64_e32 vcc, s[88:89], v[8:9]
	v_add_u32_e32 v0, 7, v6
	v_cndmask_b32_e32 v0, v2, v0, vcc
	v_cndmask_b32_e64 v2, 0, 1, vcc
	v_lshrrev_b64 v[8:9], v2, v[8:9]
; %bb.10808:                            ;   in Loop: Header=BB6_10567 Depth=3
	s_andn2_saveexec_b64 s[28:29], s[28:29]
; %bb.10809:                            ;   in Loop: Header=BB6_10567 Depth=3
	v_bfe_u32 v0, v8, 23, 1
; %bb.10810:                            ;   in Loop: Header=BB6_10567 Depth=3
	s_or_b64 exec, exec, s[28:29]
	v_lshrrev_b64 v[6:7], 20, v[8:9]
	v_cmp_gt_i32_e32 vcc, 16, v0
	v_cndmask_b32_e32 v7, 0, v7, vcc
	v_cndmask_b32_e32 v6, 7, v6, vcc
	v_cmp_eq_u32_e32 vcc, 0, v0
	v_min_i32_e32 v0, 15, v0
	v_cmp_eq_u64_e64 s[28:29], 0, v[6:7]
	v_lshlrev_b32_e32 v0, 3, v0
	v_and_b32_e32 v0, 0xf8, v0
	v_and_or_b32 v0, v6, 7, v0
	s_and_b64 s[28:29], vcc, s[28:29]
	v_cndmask_b32_e64 v0, v0, 0, s[28:29]
	v_or_b32_e32 v55, v0, v1
.LBB6_10811:                            ;   in Loop: Header=BB6_10567 Depth=3
	s_or_b64 exec, exec, s[36:37]
                                        ; implicit-def: $vgpr1
.LBB6_10812:                            ;   in Loop: Header=BB6_10567 Depth=3
	s_andn2_saveexec_b64 s[28:29], s[34:35]
; %bb.10813:                            ;   in Loop: Header=BB6_10567 Depth=3
	v_or_b32_e32 v55, 0x7e, v1
; %bb.10814:                            ;   in Loop: Header=BB6_10567 Depth=3
	s_or_b64 exec, exec, s[28:29]
                                        ; implicit-def: $vgpr2
.LBB6_10815:                            ;   in Loop: Header=BB6_10567 Depth=3
	s_andn2_saveexec_b64 s[28:29], s[30:31]
; %bb.10816:                            ;   in Loop: Header=BB6_10567 Depth=3
	v_or_b32_sdwa v55, v2, s86 dst_sel:DWORD dst_unused:UNUSED_PAD src0_sel:BYTE_3 src1_sel:DWORD
; %bb.10817:                            ;   in Loop: Header=BB6_10567 Depth=3
	s_or_b64 exec, exec, s[28:29]
	v_cmp_lt_u32_e32 vcc, s57, v10
	v_mov_b32_e32 v1, 0
	s_and_saveexec_b64 s[28:29], vcc
	s_cbranch_execz .LBB6_10823
; %bb.10818:                            ;   in Loop: Header=BB6_10567 Depth=3
	v_lshrrev_b32_e32 v8, 24, v10
	v_cmp_ne_u32_e32 vcc, s96, v8
	v_bfrev_b32_e32 v1, 1
	s_and_saveexec_b64 s[30:31], vcc
	s_cbranch_execz .LBB6_10822
; %bb.10819:                            ;   in Loop: Header=BB6_10567 Depth=3
	v_bfe_u32 v2, v10, 24, 7
	v_cmp_ne_u32_e32 vcc, s86, v2
	v_mov_b32_e32 v1, 0x7f800001
	s_and_saveexec_b64 s[34:35], vcc
	s_cbranch_execz .LBB6_10821
; %bb.10820:                            ;   in Loop: Header=BB6_10567 Depth=3
	v_and_b32_e32 v0, 7, v8
	v_ffbh_u32_e32 v1, v0
	v_min_u32_e32 v7, 32, v1
	v_subrev_u32_e32 v1, 28, v7
	v_lshrrev_b32_e32 v6, 3, v2
	v_cmp_gt_u32_e32 vcc, 8, v2
	v_lshlrev_b64 v[1:2], v1, v[8:9]
	v_sub_u32_e32 v2, 29, v7
	v_and_b32_e32 v1, 7, v1
	v_cndmask_b32_e32 v2, v6, v2, vcc
	v_cndmask_b32_e32 v0, v0, v1, vcc
	v_lshlrev_b32_e32 v1, 24, v8
	v_bfrev_b32_e32 v6, 60
	v_lshlrev_b32_e32 v0, 20, v0
	v_and_b32_e32 v1, 0x80000000, v1
	v_lshl_add_u32 v2, v2, 23, v6
	v_or3_b32 v1, v1, v2, v0
.LBB6_10821:                            ;   in Loop: Header=BB6_10567 Depth=3
	s_or_b64 exec, exec, s[34:35]
.LBB6_10822:                            ;   in Loop: Header=BB6_10567 Depth=3
	s_or_b64 exec, exec, s[30:31]
.LBB6_10823:                            ;   in Loop: Header=BB6_10567 Depth=3
	s_or_b64 exec, exec, s[28:29]
	v_mul_f32_e32 v2, v5, v1
	v_and_b32_e32 v6, 0x7f800000, v2
	v_mov_b32_e32 v7, v51
	v_cmp_ne_u64_e32 vcc, s[76:77], v[6:7]
                                        ; implicit-def: $vgpr34
	s_and_saveexec_b64 s[28:29], vcc
	s_xor_b64 s[30:31], exec, s[28:29]
	s_cbranch_execz .LBB6_10837
; %bb.10824:                            ;   in Loop: Header=BB6_10567 Depth=3
	v_and_b32_e32 v6, 0x7fffffff, v2
	v_mov_b32_e32 v7, v51
	v_cmp_gt_u64_e32 vcc, s[78:79], v[6:7]
	v_and_b32_sdwa v1, v2, s96 dst_sel:DWORD dst_unused:UNUSED_PAD src0_sel:BYTE_3 src1_sel:DWORD
                                        ; implicit-def: $vgpr34
	s_and_saveexec_b64 s[28:29], vcc
	s_xor_b64 s[34:35], exec, s[28:29]
	s_cbranch_execz .LBB6_10834
; %bb.10825:                            ;   in Loop: Header=BB6_10567 Depth=3
	v_mov_b32_e32 v34, 0
	v_cmp_ne_u32_e32 vcc, 0, v2
	s_and_saveexec_b64 s[36:37], vcc
	s_cbranch_execz .LBB6_10833
; %bb.10826:                            ;   in Loop: Header=BB6_10567 Depth=3
	v_and_b32_e32 v0, 0x7fffff, v2
	v_bfe_u32 v2, v2, 23, 8
	v_cmp_gt_u32_e64 s[28:29], s97, v2
	v_sub_u32_e32 v6, 0x79, v2
	v_cmp_eq_u32_e32 vcc, 0, v2
	v_cndmask_b32_e64 v6, 0, v6, s[28:29]
	v_mov_b32_e32 v8, 0x78
	v_or_b32_e32 v7, 0x800000, v0
	v_cndmask_b32_e32 v6, v6, v8, vcc
	v_cndmask_b32_e32 v7, v7, v0, vcc
	v_add_u32_e32 v0, 20, v6
	v_mov_b32_e32 v8, v51
	v_lshlrev_b64 v[12:13], v0, -1
	v_add_u32_e32 v0, 19, v6
	v_lshlrev_b64 v[14:15], v0, 1
	v_lshrrev_b64 v[8:9], v6, v[7:8]
	v_bfi_b32 v13, v13, 0, 0
	v_bfi_b32 v12, v12, 0, v7
	v_cmp_eq_u64_e64 s[28:29], v[12:13], v[14:15]
	v_mov_b32_e32 v13, v9
	v_mov_b32_e32 v12, v8
	s_and_saveexec_b64 s[38:39], s[28:29]
; %bb.10827:                            ;   in Loop: Header=BB6_10567 Depth=3
	v_bfe_u32 v0, v8, 20, 1
	v_add_co_u32_e64 v0, s[28:29], v8, v0
	v_add_co_u32_e64 v12, s[28:29], -1, v0
; %bb.10828:                            ;   in Loop: Header=BB6_10567 Depth=3
	s_or_b64 exec, exec, s[38:39]
	v_add_u32_e32 v0, 0xffffff81, v2
	v_mov_b32_e32 v2, 0xffffff82
	v_cndmask_b32_e32 v0, v0, v2, vcc
	v_lshrrev_b32_e32 v2, 23, v8
	v_add3_u32 v7, v6, v0, v2
	v_add_u32_e32 v6, 6, v7
	v_and_b32_e32 v0, 0xfffff, v12
	v_add_u32_e32 v8, v0, v8
	v_mov_b32_e32 v9, v51
	v_cmp_ne_u32_e32 vcc, 0, v6
                                        ; implicit-def: $vgpr2
	s_and_saveexec_b64 s[28:29], vcc
	s_xor_b64 s[28:29], exec, s[28:29]
; %bb.10829:                            ;   in Loop: Header=BB6_10567 Depth=3
	v_cmp_lt_u64_e32 vcc, s[88:89], v[8:9]
	v_add_u32_e32 v0, 7, v7
	v_cndmask_b32_e32 v2, v6, v0, vcc
	v_cndmask_b32_e64 v0, 0, 1, vcc
	v_lshrrev_b64 v[8:9], v0, v[8:9]
; %bb.10830:                            ;   in Loop: Header=BB6_10567 Depth=3
	s_andn2_saveexec_b64 s[28:29], s[28:29]
; %bb.10831:                            ;   in Loop: Header=BB6_10567 Depth=3
	v_bfe_u32 v2, v8, 23, 1
; %bb.10832:                            ;   in Loop: Header=BB6_10567 Depth=3
	s_or_b64 exec, exec, s[28:29]
	v_lshrrev_b64 v[6:7], 20, v[8:9]
	v_cmp_gt_i32_e32 vcc, 16, v2
	v_cndmask_b32_e32 v7, 0, v7, vcc
	v_cndmask_b32_e32 v6, 7, v6, vcc
	v_min_i32_e32 v0, 15, v2
	v_cmp_eq_u64_e64 s[28:29], 0, v[6:7]
	v_lshlrev_b32_e32 v0, 3, v0
	v_cmp_eq_u32_e32 vcc, 0, v2
	v_and_b32_e32 v0, 0xf8, v0
	v_and_or_b32 v0, v6, 7, v0
	s_and_b64 s[28:29], vcc, s[28:29]
	v_cndmask_b32_e64 v0, v0, 0, s[28:29]
	v_or_b32_e32 v34, v0, v1
.LBB6_10833:                            ;   in Loop: Header=BB6_10567 Depth=3
	s_or_b64 exec, exec, s[36:37]
                                        ; implicit-def: $vgpr1
.LBB6_10834:                            ;   in Loop: Header=BB6_10567 Depth=3
	s_andn2_saveexec_b64 s[28:29], s[34:35]
; %bb.10835:                            ;   in Loop: Header=BB6_10567 Depth=3
	v_or_b32_e32 v34, 0x7e, v1
; %bb.10836:                            ;   in Loop: Header=BB6_10567 Depth=3
	s_or_b64 exec, exec, s[28:29]
                                        ; implicit-def: $vgpr2
.LBB6_10837:                            ;   in Loop: Header=BB6_10567 Depth=3
	s_andn2_saveexec_b64 s[28:29], s[30:31]
; %bb.10838:                            ;   in Loop: Header=BB6_10567 Depth=3
	v_or_b32_sdwa v34, v2, s86 dst_sel:DWORD dst_unused:UNUSED_PAD src0_sel:BYTE_3 src1_sel:DWORD
; %bb.10839:                            ;   in Loop: Header=BB6_10567 Depth=3
	s_or_b64 exec, exec, s[28:29]
	v_mov_b32_e32 v8, v11
	v_mov_b32_e32 v9, v51
	v_cmp_ne_u16_sdwa vcc, v11, v51 src0_sel:BYTE_0 src1_sel:DWORD
	v_mov_b32_e32 v1, 0
	s_and_saveexec_b64 s[28:29], vcc
	s_cbranch_execz .LBB6_10845
; %bb.10840:                            ;   in Loop: Header=BB6_10567 Depth=3
	v_cmp_ne_u16_sdwa vcc, v11, s96 src0_sel:BYTE_0 src1_sel:DWORD
	v_bfrev_b32_e32 v1, 1
	s_and_saveexec_b64 s[30:31], vcc
	s_cbranch_execz .LBB6_10844
; %bb.10841:                            ;   in Loop: Header=BB6_10567 Depth=3
	v_and_b32_e32 v2, 0x7f, v11
	v_cmp_ne_u32_e32 vcc, s86, v2
	v_mov_b32_e32 v1, 0x7f800001
	s_and_saveexec_b64 s[34:35], vcc
	s_cbranch_execz .LBB6_10843
; %bb.10842:                            ;   in Loop: Header=BB6_10567 Depth=3
	v_and_b32_e32 v0, 7, v11
	v_ffbh_u32_e32 v0, v0
	v_min_u32_e32 v0, 32, v0
	v_lshrrev_b32_e32 v1, 3, v2
	v_cmp_gt_u32_e32 vcc, 8, v2
	v_subrev_u32_e32 v2, 28, v0
	v_sub_u32_e32 v0, 29, v0
	v_cndmask_b32_e32 v0, v1, v0, vcc
	v_cndmask_b32_e32 v1, 0, v2, vcc
	v_lshlrev_b64 v[1:2], v1, v[8:9]
	v_lshlrev_b32_e32 v2, 24, v8
	v_lshlrev_b32_e32 v1, 20, v1
	v_bfrev_b32_e32 v6, 60
	v_and_b32_e32 v1, 0x700000, v1
	v_and_b32_e32 v2, 0x80000000, v2
	v_lshl_add_u32 v0, v0, 23, v6
	v_or3_b32 v1, v2, v0, v1
.LBB6_10843:                            ;   in Loop: Header=BB6_10567 Depth=3
	s_or_b64 exec, exec, s[34:35]
.LBB6_10844:                            ;   in Loop: Header=BB6_10567 Depth=3
	s_or_b64 exec, exec, s[30:31]
.LBB6_10845:                            ;   in Loop: Header=BB6_10567 Depth=3
	s_or_b64 exec, exec, s[28:29]
	v_mul_f32_e32 v2, v5, v1
	v_and_b32_e32 v6, 0x7f800000, v2
	v_mov_b32_e32 v7, v51
	v_cmp_ne_u64_e32 vcc, s[76:77], v[6:7]
                                        ; implicit-def: $vgpr33
	s_and_saveexec_b64 s[28:29], vcc
	s_xor_b64 s[30:31], exec, s[28:29]
	s_cbranch_execz .LBB6_10859
; %bb.10846:                            ;   in Loop: Header=BB6_10567 Depth=3
	v_and_b32_e32 v6, 0x7fffffff, v2
	v_mov_b32_e32 v7, v51
	v_cmp_gt_u64_e32 vcc, s[78:79], v[6:7]
	v_and_b32_sdwa v1, v2, s96 dst_sel:DWORD dst_unused:UNUSED_PAD src0_sel:BYTE_3 src1_sel:DWORD
                                        ; implicit-def: $vgpr33
	s_and_saveexec_b64 s[28:29], vcc
	s_xor_b64 s[34:35], exec, s[28:29]
	s_cbranch_execz .LBB6_10856
; %bb.10847:                            ;   in Loop: Header=BB6_10567 Depth=3
	v_mov_b32_e32 v33, 0
	v_cmp_ne_u32_e32 vcc, 0, v2
	s_and_saveexec_b64 s[36:37], vcc
	s_cbranch_execz .LBB6_10855
; %bb.10848:                            ;   in Loop: Header=BB6_10567 Depth=3
	v_and_b32_e32 v0, 0x7fffff, v2
	v_bfe_u32 v2, v2, 23, 8
	v_cmp_gt_u32_e64 s[28:29], s97, v2
	v_sub_u32_e32 v6, 0x79, v2
	v_cmp_eq_u32_e32 vcc, 0, v2
	v_cndmask_b32_e64 v6, 0, v6, s[28:29]
	v_mov_b32_e32 v9, 0x78
	v_or_b32_e32 v7, 0x800000, v0
	v_cndmask_b32_e32 v6, v6, v9, vcc
	v_cndmask_b32_e32 v12, v7, v0, vcc
	v_add_u32_e32 v0, 20, v6
	v_lshlrev_b64 v[14:15], v0, -1
	v_mov_b32_e32 v13, v51
	v_add_u32_e32 v0, 19, v6
	v_bfi_b32 v14, v14, 0, v12
	v_lshlrev_b64 v[16:17], v0, 1
	v_lshrrev_b64 v[12:13], v6, v[12:13]
	v_bfi_b32 v15, v15, 0, 0
	v_cmp_eq_u64_e64 s[28:29], v[14:15], v[16:17]
	v_mov_b32_e32 v14, v13
	v_mov_b32_e32 v13, v12
	s_and_saveexec_b64 s[38:39], s[28:29]
; %bb.10849:                            ;   in Loop: Header=BB6_10567 Depth=3
	v_bfe_u32 v0, v12, 20, 1
	v_add_co_u32_e64 v0, s[28:29], v12, v0
	v_add_co_u32_e64 v13, s[28:29], -1, v0
; %bb.10850:                            ;   in Loop: Header=BB6_10567 Depth=3
	s_or_b64 exec, exec, s[38:39]
	v_add_u32_e32 v0, 0xffffff81, v2
	v_mov_b32_e32 v2, 0xffffff82
	v_cndmask_b32_e32 v0, v0, v2, vcc
	v_lshrrev_b32_e32 v2, 23, v12
	v_add3_u32 v7, v6, v0, v2
	v_add_u32_e32 v6, 6, v7
	v_and_b32_e32 v0, 0xfffff, v13
	v_add_u32_e32 v12, v0, v12
	v_mov_b32_e32 v13, v51
	v_cmp_ne_u32_e32 vcc, 0, v6
                                        ; implicit-def: $vgpr2
	s_and_saveexec_b64 s[28:29], vcc
	s_xor_b64 s[28:29], exec, s[28:29]
; %bb.10851:                            ;   in Loop: Header=BB6_10567 Depth=3
	v_cmp_lt_u64_e32 vcc, s[88:89], v[12:13]
	v_add_u32_e32 v0, 7, v7
	v_cndmask_b32_e32 v2, v6, v0, vcc
	v_cndmask_b32_e64 v0, 0, 1, vcc
	v_lshrrev_b64 v[12:13], v0, v[12:13]
; %bb.10852:                            ;   in Loop: Header=BB6_10567 Depth=3
	s_andn2_saveexec_b64 s[28:29], s[28:29]
; %bb.10853:                            ;   in Loop: Header=BB6_10567 Depth=3
	v_bfe_u32 v2, v12, 23, 1
; %bb.10854:                            ;   in Loop: Header=BB6_10567 Depth=3
	s_or_b64 exec, exec, s[28:29]
	v_lshrrev_b64 v[6:7], 20, v[12:13]
	v_cmp_gt_i32_e32 vcc, 16, v2
	v_cndmask_b32_e32 v7, 0, v7, vcc
	v_cndmask_b32_e32 v6, 7, v6, vcc
	v_min_i32_e32 v0, 15, v2
	v_cmp_eq_u64_e64 s[28:29], 0, v[6:7]
	v_lshlrev_b32_e32 v0, 3, v0
	v_cmp_eq_u32_e32 vcc, 0, v2
	v_and_b32_e32 v0, 0xf8, v0
	v_and_or_b32 v0, v6, 7, v0
	s_and_b64 s[28:29], vcc, s[28:29]
	v_cndmask_b32_e64 v0, v0, 0, s[28:29]
	v_or_b32_e32 v33, v0, v1
.LBB6_10855:                            ;   in Loop: Header=BB6_10567 Depth=3
	s_or_b64 exec, exec, s[36:37]
                                        ; implicit-def: $vgpr1
.LBB6_10856:                            ;   in Loop: Header=BB6_10567 Depth=3
	s_andn2_saveexec_b64 s[28:29], s[34:35]
; %bb.10857:                            ;   in Loop: Header=BB6_10567 Depth=3
	v_or_b32_e32 v33, 0x7e, v1
; %bb.10858:                            ;   in Loop: Header=BB6_10567 Depth=3
	s_or_b64 exec, exec, s[28:29]
                                        ; implicit-def: $vgpr2
.LBB6_10859:                            ;   in Loop: Header=BB6_10567 Depth=3
	s_andn2_saveexec_b64 s[28:29], s[30:31]
; %bb.10860:                            ;   in Loop: Header=BB6_10567 Depth=3
	v_or_b32_sdwa v33, v2, s86 dst_sel:DWORD dst_unused:UNUSED_PAD src0_sel:BYTE_3 src1_sel:DWORD
; %bb.10861:                            ;   in Loop: Header=BB6_10567 Depth=3
	s_or_b64 exec, exec, s[28:29]
	v_lshrrev_b16_e32 v9, 8, v8
	v_cmp_ne_u16_e32 vcc, 0, v9
	v_mov_b32_e32 v1, 0
	s_and_saveexec_b64 s[28:29], vcc
	s_cbranch_execz .LBB6_10867
; %bb.10862:                            ;   in Loop: Header=BB6_10567 Depth=3
	v_cmp_ne_u16_e32 vcc, s96, v9
	v_bfrev_b32_e32 v1, 1
	s_and_saveexec_b64 s[30:31], vcc
	s_cbranch_execz .LBB6_10866
; %bb.10863:                            ;   in Loop: Header=BB6_10567 Depth=3
	v_and_b32_e32 v2, 0x7f, v9
	v_cmp_ne_u32_e32 vcc, s86, v2
	v_mov_b32_e32 v1, 0x7f800001
	s_and_saveexec_b64 s[34:35], vcc
	s_cbranch_execz .LBB6_10865
; %bb.10864:                            ;   in Loop: Header=BB6_10567 Depth=3
	v_and_b32_e32 v0, 7, v9
	v_ffbh_u32_e32 v1, v0
	v_min_u32_e32 v7, 32, v1
	v_subrev_u32_e32 v1, 28, v7
	v_lshrrev_b32_e32 v6, 3, v2
	v_cmp_gt_u32_e32 vcc, 8, v2
	v_lshlrev_b64 v[1:2], v1, v[9:10]
	v_sub_u32_e32 v2, 29, v7
	v_and_b32_e32 v1, 7, v1
	v_cndmask_b32_e32 v2, v6, v2, vcc
	v_cndmask_b32_e32 v0, v0, v1, vcc
	v_lshlrev_b32_e32 v1, 16, v8
	v_bfrev_b32_e32 v6, 60
	v_lshlrev_b32_e32 v0, 20, v0
	v_and_b32_e32 v1, 0x80000000, v1
	v_lshl_add_u32 v2, v2, 23, v6
	v_or3_b32 v1, v1, v2, v0
.LBB6_10865:                            ;   in Loop: Header=BB6_10567 Depth=3
	s_or_b64 exec, exec, s[34:35]
.LBB6_10866:                            ;   in Loop: Header=BB6_10567 Depth=3
	s_or_b64 exec, exec, s[30:31]
.LBB6_10867:                            ;   in Loop: Header=BB6_10567 Depth=3
	s_or_b64 exec, exec, s[28:29]
	v_mul_f32_e32 v6, v5, v1
	v_and_b32_e32 v1, 0x7f800000, v6
	v_mov_b32_e32 v2, v51
	v_cmp_ne_u64_e32 vcc, s[76:77], v[1:2]
                                        ; implicit-def: $vgpr0
                                        ; kill: killed $vgpr0
	s_and_saveexec_b64 s[28:29], vcc
	s_xor_b64 s[30:31], exec, s[28:29]
	s_cbranch_execz .LBB6_10881
; %bb.10868:                            ;   in Loop: Header=BB6_10567 Depth=3
	v_and_b32_e32 v1, 0x7fffffff, v6
	v_mov_b32_e32 v2, v51
	v_cmp_gt_u64_e32 vcc, s[78:79], v[1:2]
	v_and_b32_sdwa v2, v6, s96 dst_sel:DWORD dst_unused:UNUSED_PAD src0_sel:BYTE_3 src1_sel:DWORD
                                        ; implicit-def: $vgpr0
                                        ; kill: killed $vgpr0
	s_and_saveexec_b64 s[28:29], vcc
	s_xor_b64 s[34:35], exec, s[28:29]
	s_cbranch_execz .LBB6_10878
; %bb.10869:                            ;   in Loop: Header=BB6_10567 Depth=3
	v_mov_b32_e32 v0, 0
	v_cmp_ne_u32_e32 vcc, 0, v6
	buffer_store_dword v0, off, s[0:3], s33 offset:272 ; 4-byte Folded Spill
	s_and_saveexec_b64 s[36:37], vcc
	s_cbranch_execz .LBB6_10877
; %bb.10870:                            ;   in Loop: Header=BB6_10567 Depth=3
	v_bfe_u32 v1, v6, 23, 8
	v_and_b32_e32 v0, 0x7fffff, v6
	v_cmp_gt_u32_e64 s[28:29], s97, v1
	v_sub_u32_e32 v6, 0x79, v1
	v_cmp_eq_u32_e32 vcc, 0, v1
	v_cndmask_b32_e64 v6, 0, v6, s[28:29]
	v_mov_b32_e32 v8, 0x78
	v_or_b32_e32 v7, 0x800000, v0
	v_cndmask_b32_e32 v6, v6, v8, vcc
	v_cndmask_b32_e32 v7, v7, v0, vcc
	v_add_u32_e32 v0, 20, v6
	v_mov_b32_e32 v8, v51
	v_lshlrev_b64 v[12:13], v0, -1
	v_add_u32_e32 v0, 19, v6
	v_lshlrev_b64 v[14:15], v0, 1
	v_lshrrev_b64 v[8:9], v6, v[7:8]
	v_bfi_b32 v13, v13, 0, 0
	v_bfi_b32 v12, v12, 0, v7
	v_cmp_eq_u64_e64 s[28:29], v[12:13], v[14:15]
	v_mov_b32_e32 v13, v9
	v_mov_b32_e32 v12, v8
	s_and_saveexec_b64 s[38:39], s[28:29]
; %bb.10871:                            ;   in Loop: Header=BB6_10567 Depth=3
	v_bfe_u32 v0, v8, 20, 1
	v_add_co_u32_e64 v0, s[28:29], v8, v0
	v_add_co_u32_e64 v12, s[28:29], -1, v0
; %bb.10872:                            ;   in Loop: Header=BB6_10567 Depth=3
	s_or_b64 exec, exec, s[38:39]
	v_add_u32_e32 v0, 0xffffff81, v1
	v_mov_b32_e32 v1, 0xffffff82
	v_cndmask_b32_e32 v0, v0, v1, vcc
	v_lshrrev_b32_e32 v1, 23, v8
	v_add3_u32 v7, v6, v0, v1
	v_add_u32_e32 v6, 6, v7
	v_and_b32_e32 v0, 0xfffff, v12
	v_add_u32_e32 v8, v0, v8
	v_mov_b32_e32 v9, v51
	v_cmp_ne_u32_e32 vcc, 0, v6
                                        ; implicit-def: $vgpr1
	s_and_saveexec_b64 s[28:29], vcc
	s_xor_b64 s[28:29], exec, s[28:29]
; %bb.10873:                            ;   in Loop: Header=BB6_10567 Depth=3
	v_cmp_lt_u64_e32 vcc, s[88:89], v[8:9]
	v_add_u32_e32 v0, 7, v7
	v_cndmask_b32_e32 v1, v6, v0, vcc
	v_cndmask_b32_e64 v0, 0, 1, vcc
	v_lshrrev_b64 v[8:9], v0, v[8:9]
; %bb.10874:                            ;   in Loop: Header=BB6_10567 Depth=3
	s_andn2_saveexec_b64 s[28:29], s[28:29]
; %bb.10875:                            ;   in Loop: Header=BB6_10567 Depth=3
	v_bfe_u32 v1, v8, 23, 1
; %bb.10876:                            ;   in Loop: Header=BB6_10567 Depth=3
	s_or_b64 exec, exec, s[28:29]
	v_lshrrev_b64 v[6:7], 20, v[8:9]
	v_cmp_gt_i32_e32 vcc, 16, v1
	v_cndmask_b32_e32 v7, 0, v7, vcc
	v_cndmask_b32_e32 v6, 7, v6, vcc
	v_min_i32_e32 v0, 15, v1
	v_cmp_eq_u64_e64 s[28:29], 0, v[6:7]
	v_lshlrev_b32_e32 v0, 3, v0
	v_cmp_eq_u32_e32 vcc, 0, v1
	v_and_b32_e32 v0, 0xf8, v0
	v_and_or_b32 v0, v6, 7, v0
	s_and_b64 s[28:29], vcc, s[28:29]
	v_cndmask_b32_e64 v0, v0, 0, s[28:29]
	v_or_b32_e32 v0, v0, v2
	buffer_store_dword v0, off, s[0:3], s33 offset:272 ; 4-byte Folded Spill
.LBB6_10877:                            ;   in Loop: Header=BB6_10567 Depth=3
	s_or_b64 exec, exec, s[36:37]
                                        ; implicit-def: $vgpr2
.LBB6_10878:                            ;   in Loop: Header=BB6_10567 Depth=3
	s_andn2_saveexec_b64 s[28:29], s[34:35]
	s_cbranch_execz .LBB6_10880
; %bb.10879:                            ;   in Loop: Header=BB6_10567 Depth=3
	v_or_b32_e32 v0, 0x7e, v2
	buffer_store_dword v0, off, s[0:3], s33 offset:272 ; 4-byte Folded Spill
.LBB6_10880:                            ;   in Loop: Header=BB6_10567 Depth=3
	s_or_b64 exec, exec, s[28:29]
                                        ; implicit-def: $vgpr6
.LBB6_10881:                            ;   in Loop: Header=BB6_10567 Depth=3
	s_andn2_saveexec_b64 s[28:29], s[30:31]
	s_cbranch_execz .LBB6_10883
; %bb.10882:                            ;   in Loop: Header=BB6_10567 Depth=3
	v_or_b32_sdwa v0, v6, s86 dst_sel:DWORD dst_unused:UNUSED_PAD src0_sel:BYTE_3 src1_sel:DWORD
	buffer_store_dword v0, off, s[0:3], s33 offset:272 ; 4-byte Folded Spill
.LBB6_10883:                            ;   in Loop: Header=BB6_10567 Depth=3
	s_or_b64 exec, exec, s[28:29]
	v_lshrrev_b32_e32 v8, 16, v11
	v_cmp_ne_u16_sdwa vcc, v8, v51 src0_sel:BYTE_0 src1_sel:DWORD
	v_mov_b32_e32 v2, 0
	s_and_saveexec_b64 s[28:29], vcc
	s_cbranch_execz .LBB6_10889
; %bb.10884:                            ;   in Loop: Header=BB6_10567 Depth=3
	v_cmp_ne_u16_sdwa vcc, v8, s96 src0_sel:BYTE_0 src1_sel:DWORD
	v_bfrev_b32_e32 v2, 1
	s_and_saveexec_b64 s[30:31], vcc
	s_cbranch_execz .LBB6_10888
; %bb.10885:                            ;   in Loop: Header=BB6_10567 Depth=3
	v_bfe_u32 v6, v11, 16, 7
	v_cmp_ne_u32_e32 vcc, s86, v6
	v_mov_b32_e32 v2, 0x7f800001
	s_and_saveexec_b64 s[34:35], vcc
	s_cbranch_execz .LBB6_10887
; %bb.10886:                            ;   in Loop: Header=BB6_10567 Depth=3
	v_and_b32_e32 v0, 7, v8
	v_ffbh_u32_e32 v2, v0
	v_min_u32_e32 v2, 32, v2
	v_lshrrev_b32_e32 v1, 3, v6
	v_cmp_gt_u32_e32 vcc, 8, v6
	v_subrev_u32_e32 v6, 28, v2
	v_lshlrev_b64 v[6:7], v6, v[8:9]
	v_sub_u32_e32 v2, 29, v2
	v_and_b32_e32 v6, 7, v6
	v_cndmask_b32_e32 v1, v1, v2, vcc
	v_cndmask_b32_e32 v0, v0, v6, vcc
	v_lshlrev_b32_e32 v2, 24, v8
	v_bfrev_b32_e32 v6, 60
	v_lshlrev_b32_e32 v0, 20, v0
	v_and_b32_e32 v2, 0x80000000, v2
	v_lshl_add_u32 v1, v1, 23, v6
	v_or3_b32 v2, v2, v1, v0
.LBB6_10887:                            ;   in Loop: Header=BB6_10567 Depth=3
	s_or_b64 exec, exec, s[34:35]
.LBB6_10888:                            ;   in Loop: Header=BB6_10567 Depth=3
	s_or_b64 exec, exec, s[30:31]
.LBB6_10889:                            ;   in Loop: Header=BB6_10567 Depth=3
	s_or_b64 exec, exec, s[28:29]
	v_mul_f32_e32 v6, v5, v2
	v_and_b32_e32 v7, 0x7f800000, v6
	v_mov_b32_e32 v8, v51
	v_cmp_ne_u64_e32 vcc, s[76:77], v[7:8]
                                        ; implicit-def: $vgpr57
	s_and_saveexec_b64 s[28:29], vcc
	s_xor_b64 s[30:31], exec, s[28:29]
	s_cbranch_execz .LBB6_10903
; %bb.10890:                            ;   in Loop: Header=BB6_10567 Depth=3
	v_and_b32_e32 v7, 0x7fffffff, v6
	v_mov_b32_e32 v8, v51
	v_cmp_gt_u64_e32 vcc, s[78:79], v[7:8]
	v_and_b32_sdwa v2, v6, s96 dst_sel:DWORD dst_unused:UNUSED_PAD src0_sel:BYTE_3 src1_sel:DWORD
                                        ; implicit-def: $vgpr57
	s_and_saveexec_b64 s[28:29], vcc
	s_xor_b64 s[34:35], exec, s[28:29]
	s_cbranch_execz .LBB6_10900
; %bb.10891:                            ;   in Loop: Header=BB6_10567 Depth=3
	v_mov_b32_e32 v57, 0
	v_cmp_ne_u32_e32 vcc, 0, v6
	s_and_saveexec_b64 s[36:37], vcc
	s_cbranch_execz .LBB6_10899
; %bb.10892:                            ;   in Loop: Header=BB6_10567 Depth=3
	v_and_b32_e32 v0, 0x7fffff, v6
	v_bfe_u32 v6, v6, 23, 8
	v_cmp_gt_u32_e64 s[28:29], s97, v6
	v_sub_u32_e32 v1, 0x79, v6
	v_cmp_eq_u32_e32 vcc, 0, v6
	v_cndmask_b32_e64 v1, 0, v1, s[28:29]
	v_mov_b32_e32 v7, 0x78
	v_or_b32_e32 v8, 0x800000, v0
	v_cndmask_b32_e32 v7, v1, v7, vcc
	v_cndmask_b32_e32 v8, v8, v0, vcc
	v_add_u32_e32 v0, 20, v7
	v_lshlrev_b64 v[12:13], v0, -1
	v_mov_b32_e32 v9, v51
	v_add_u32_e32 v0, 19, v7
	v_bfi_b32 v12, v12, 0, v8
	v_lshlrev_b64 v[14:15], v0, 1
	v_lshrrev_b64 v[8:9], v7, v[8:9]
	v_bfi_b32 v13, v13, 0, 0
	v_cmp_eq_u64_e64 s[28:29], v[12:13], v[14:15]
	v_mov_b32_e32 v13, v9
	v_mov_b32_e32 v12, v8
	s_and_saveexec_b64 s[38:39], s[28:29]
; %bb.10893:                            ;   in Loop: Header=BB6_10567 Depth=3
	v_bfe_u32 v0, v8, 20, 1
	v_add_co_u32_e64 v0, s[28:29], v8, v0
	v_add_co_u32_e64 v12, s[28:29], -1, v0
; %bb.10894:                            ;   in Loop: Header=BB6_10567 Depth=3
	s_or_b64 exec, exec, s[38:39]
	v_add_u32_e32 v0, 0xffffff81, v6
	v_mov_b32_e32 v1, 0xffffff82
	v_cndmask_b32_e32 v0, v0, v1, vcc
	v_lshrrev_b32_e32 v1, 23, v8
	v_add3_u32 v13, v7, v0, v1
	v_add_u32_e32 v7, 6, v13
	v_and_b32_e32 v0, 0xfffff, v12
	v_add_u32_e32 v8, v0, v8
	v_mov_b32_e32 v9, v51
	v_cmp_ne_u32_e32 vcc, 0, v7
                                        ; implicit-def: $vgpr6
	s_and_saveexec_b64 s[28:29], vcc
	s_xor_b64 s[28:29], exec, s[28:29]
; %bb.10895:                            ;   in Loop: Header=BB6_10567 Depth=3
	v_cmp_lt_u64_e32 vcc, s[88:89], v[8:9]
	v_add_u32_e32 v0, 7, v13
	v_cndmask_b32_e32 v6, v7, v0, vcc
	v_cndmask_b32_e64 v0, 0, 1, vcc
	v_lshrrev_b64 v[8:9], v0, v[8:9]
; %bb.10896:                            ;   in Loop: Header=BB6_10567 Depth=3
	s_andn2_saveexec_b64 s[28:29], s[28:29]
; %bb.10897:                            ;   in Loop: Header=BB6_10567 Depth=3
	v_bfe_u32 v6, v8, 23, 1
; %bb.10898:                            ;   in Loop: Header=BB6_10567 Depth=3
	s_or_b64 exec, exec, s[28:29]
	v_lshrrev_b64 v[7:8], 20, v[8:9]
	v_cmp_gt_i32_e32 vcc, 16, v6
	v_cndmask_b32_e32 v8, 0, v8, vcc
	v_cndmask_b32_e32 v7, 7, v7, vcc
	v_min_i32_e32 v0, 15, v6
	v_cmp_eq_u64_e64 s[28:29], 0, v[7:8]
	v_lshlrev_b32_e32 v0, 3, v0
	v_cmp_eq_u32_e32 vcc, 0, v6
	v_and_b32_e32 v0, 0xf8, v0
	v_and_or_b32 v0, v7, 7, v0
	s_and_b64 s[28:29], vcc, s[28:29]
	v_cndmask_b32_e64 v0, v0, 0, s[28:29]
	v_or_b32_e32 v57, v0, v2
.LBB6_10899:                            ;   in Loop: Header=BB6_10567 Depth=3
	s_or_b64 exec, exec, s[36:37]
                                        ; implicit-def: $vgpr2
.LBB6_10900:                            ;   in Loop: Header=BB6_10567 Depth=3
	s_andn2_saveexec_b64 s[28:29], s[34:35]
; %bb.10901:                            ;   in Loop: Header=BB6_10567 Depth=3
	v_or_b32_e32 v57, 0x7e, v2
; %bb.10902:                            ;   in Loop: Header=BB6_10567 Depth=3
	s_or_b64 exec, exec, s[28:29]
                                        ; implicit-def: $vgpr6
.LBB6_10903:                            ;   in Loop: Header=BB6_10567 Depth=3
	s_andn2_saveexec_b64 s[28:29], s[30:31]
; %bb.10904:                            ;   in Loop: Header=BB6_10567 Depth=3
	v_or_b32_sdwa v57, v6, s86 dst_sel:DWORD dst_unused:UNUSED_PAD src0_sel:BYTE_3 src1_sel:DWORD
; %bb.10905:                            ;   in Loop: Header=BB6_10567 Depth=3
	s_or_b64 exec, exec, s[28:29]
	v_cmp_lt_u64_e32 vcc, s[56:57], v[10:11]
	v_mov_b32_e32 v2, 0
	s_and_saveexec_b64 s[28:29], vcc
	s_cbranch_execz .LBB6_10911
; %bb.10906:                            ;   in Loop: Header=BB6_10567 Depth=3
	v_lshrrev_b32_e32 v8, 24, v11
	v_cmp_ne_u32_e32 vcc, s96, v8
	v_bfrev_b32_e32 v2, 1
	s_and_saveexec_b64 s[30:31], vcc
	s_cbranch_execz .LBB6_10910
; %bb.10907:                            ;   in Loop: Header=BB6_10567 Depth=3
	v_bfe_u32 v6, v11, 24, 7
	v_cmp_ne_u32_e32 vcc, s86, v6
	v_mov_b32_e32 v2, 0x7f800001
	s_and_saveexec_b64 s[34:35], vcc
	s_cbranch_execz .LBB6_10909
; %bb.10908:                            ;   in Loop: Header=BB6_10567 Depth=3
	v_and_b32_e32 v0, 7, v8
	v_ffbh_u32_e32 v2, v0
	v_min_u32_e32 v2, 32, v2
	v_lshrrev_b32_e32 v1, 3, v6
	v_cmp_gt_u32_e32 vcc, 8, v6
	v_subrev_u32_e32 v6, 28, v2
	v_lshlrev_b64 v[6:7], v6, v[8:9]
	v_sub_u32_e32 v2, 29, v2
	v_and_b32_e32 v6, 7, v6
	v_cndmask_b32_e32 v1, v1, v2, vcc
	v_cndmask_b32_e32 v0, v0, v6, vcc
	v_lshlrev_b32_e32 v2, 24, v8
	v_bfrev_b32_e32 v6, 60
	v_lshlrev_b32_e32 v0, 20, v0
	v_and_b32_e32 v2, 0x80000000, v2
	v_lshl_add_u32 v1, v1, 23, v6
	v_or3_b32 v2, v2, v1, v0
.LBB6_10909:                            ;   in Loop: Header=BB6_10567 Depth=3
	s_or_b64 exec, exec, s[34:35]
.LBB6_10910:                            ;   in Loop: Header=BB6_10567 Depth=3
	s_or_b64 exec, exec, s[30:31]
.LBB6_10911:                            ;   in Loop: Header=BB6_10567 Depth=3
	s_or_b64 exec, exec, s[28:29]
	v_mul_f32_e32 v6, v5, v2
	v_and_b32_e32 v7, 0x7f800000, v6
	v_mov_b32_e32 v8, v51
	v_cmp_ne_u64_e32 vcc, s[76:77], v[7:8]
                                        ; implicit-def: $vgpr40
	s_and_saveexec_b64 s[28:29], vcc
	s_xor_b64 s[30:31], exec, s[28:29]
	s_cbranch_execz .LBB6_10925
; %bb.10912:                            ;   in Loop: Header=BB6_10567 Depth=3
	v_and_b32_e32 v7, 0x7fffffff, v6
	v_mov_b32_e32 v8, v51
	v_cmp_gt_u64_e32 vcc, s[78:79], v[7:8]
	v_and_b32_sdwa v2, v6, s96 dst_sel:DWORD dst_unused:UNUSED_PAD src0_sel:BYTE_3 src1_sel:DWORD
                                        ; implicit-def: $vgpr40
	s_and_saveexec_b64 s[28:29], vcc
	s_xor_b64 s[34:35], exec, s[28:29]
	s_cbranch_execz .LBB6_10922
; %bb.10913:                            ;   in Loop: Header=BB6_10567 Depth=3
	v_mov_b32_e32 v40, 0
	v_cmp_ne_u32_e32 vcc, 0, v6
	s_and_saveexec_b64 s[36:37], vcc
	s_cbranch_execz .LBB6_10921
; %bb.10914:                            ;   in Loop: Header=BB6_10567 Depth=3
	v_and_b32_e32 v0, 0x7fffff, v6
	v_bfe_u32 v6, v6, 23, 8
	v_cmp_gt_u32_e64 s[28:29], s97, v6
	v_sub_u32_e32 v1, 0x79, v6
	v_cmp_eq_u32_e32 vcc, 0, v6
	v_cndmask_b32_e64 v1, 0, v1, s[28:29]
	v_mov_b32_e32 v7, 0x78
	v_or_b32_e32 v8, 0x800000, v0
	v_cndmask_b32_e32 v7, v1, v7, vcc
	v_cndmask_b32_e32 v8, v8, v0, vcc
	v_add_u32_e32 v0, 20, v7
	v_lshlrev_b64 v[10:11], v0, -1
	v_mov_b32_e32 v9, v51
	v_add_u32_e32 v0, 19, v7
	v_bfi_b32 v10, v10, 0, v8
	v_lshlrev_b64 v[12:13], v0, 1
	v_lshrrev_b64 v[8:9], v7, v[8:9]
	v_bfi_b32 v11, v11, 0, 0
	v_cmp_eq_u64_e64 s[28:29], v[10:11], v[12:13]
	v_mov_b32_e32 v10, v9
	v_mov_b32_e32 v9, v8
	s_and_saveexec_b64 s[38:39], s[28:29]
; %bb.10915:                            ;   in Loop: Header=BB6_10567 Depth=3
	v_bfe_u32 v0, v8, 20, 1
	v_add_co_u32_e64 v0, s[28:29], v8, v0
	v_add_co_u32_e64 v9, s[28:29], -1, v0
; %bb.10916:                            ;   in Loop: Header=BB6_10567 Depth=3
	s_or_b64 exec, exec, s[38:39]
	v_add_u32_e32 v0, 0xffffff81, v6
	v_mov_b32_e32 v1, 0xffffff82
	v_cndmask_b32_e32 v0, v0, v1, vcc
	v_lshrrev_b32_e32 v1, 23, v8
	v_add3_u32 v10, v7, v0, v1
	v_add_u32_e32 v7, 6, v10
	v_and_b32_e32 v0, 0xfffff, v9
	v_add_u32_e32 v8, v0, v8
	v_mov_b32_e32 v9, v51
	v_cmp_ne_u32_e32 vcc, 0, v7
                                        ; implicit-def: $vgpr6
	s_and_saveexec_b64 s[28:29], vcc
	s_xor_b64 s[28:29], exec, s[28:29]
; %bb.10917:                            ;   in Loop: Header=BB6_10567 Depth=3
	v_cmp_lt_u64_e32 vcc, s[88:89], v[8:9]
	v_add_u32_e32 v0, 7, v10
	v_cndmask_b32_e32 v6, v7, v0, vcc
	v_cndmask_b32_e64 v0, 0, 1, vcc
	v_lshrrev_b64 v[8:9], v0, v[8:9]
; %bb.10918:                            ;   in Loop: Header=BB6_10567 Depth=3
	s_andn2_saveexec_b64 s[28:29], s[28:29]
; %bb.10919:                            ;   in Loop: Header=BB6_10567 Depth=3
	v_bfe_u32 v6, v8, 23, 1
; %bb.10920:                            ;   in Loop: Header=BB6_10567 Depth=3
	s_or_b64 exec, exec, s[28:29]
	v_lshrrev_b64 v[7:8], 20, v[8:9]
	v_cmp_gt_i32_e32 vcc, 16, v6
	v_cndmask_b32_e32 v8, 0, v8, vcc
	v_cndmask_b32_e32 v7, 7, v7, vcc
	v_min_i32_e32 v0, 15, v6
	v_cmp_eq_u64_e64 s[28:29], 0, v[7:8]
	v_lshlrev_b32_e32 v0, 3, v0
	v_cmp_eq_u32_e32 vcc, 0, v6
	v_and_b32_e32 v0, 0xf8, v0
	v_and_or_b32 v0, v7, 7, v0
	s_and_b64 s[28:29], vcc, s[28:29]
	v_cndmask_b32_e64 v0, v0, 0, s[28:29]
	v_or_b32_e32 v40, v0, v2
.LBB6_10921:                            ;   in Loop: Header=BB6_10567 Depth=3
	s_or_b64 exec, exec, s[36:37]
                                        ; implicit-def: $vgpr2
.LBB6_10922:                            ;   in Loop: Header=BB6_10567 Depth=3
	s_andn2_saveexec_b64 s[28:29], s[34:35]
; %bb.10923:                            ;   in Loop: Header=BB6_10567 Depth=3
	v_or_b32_e32 v40, 0x7e, v2
; %bb.10924:                            ;   in Loop: Header=BB6_10567 Depth=3
	s_or_b64 exec, exec, s[28:29]
                                        ; implicit-def: $vgpr6
.LBB6_10925:                            ;   in Loop: Header=BB6_10567 Depth=3
	s_andn2_saveexec_b64 s[28:29], s[30:31]
; %bb.10926:                            ;   in Loop: Header=BB6_10567 Depth=3
	v_or_b32_sdwa v40, v6, s86 dst_sel:DWORD dst_unused:UNUSED_PAD src0_sel:BYTE_3 src1_sel:DWORD
; %bb.10927:                            ;   in Loop: Header=BB6_10567 Depth=3
	s_or_b64 exec, exec, s[28:29]
	global_load_dwordx4 v[8:11], v[60:61], off offset:1024 glc slc
	v_mov_b32_e32 v2, 0
	s_waitcnt vmcnt(0)
	v_cmp_ne_u16_sdwa vcc, v8, v51 src0_sel:BYTE_0 src1_sel:DWORD
	s_and_saveexec_b64 s[28:29], vcc
	s_cbranch_execz .LBB6_10933
; %bb.10928:                            ;   in Loop: Header=BB6_10567 Depth=3
	v_cmp_ne_u16_sdwa vcc, v8, s96 src0_sel:BYTE_0 src1_sel:DWORD
	v_bfrev_b32_e32 v2, 1
	s_and_saveexec_b64 s[30:31], vcc
	s_cbranch_execz .LBB6_10932
; %bb.10929:                            ;   in Loop: Header=BB6_10567 Depth=3
	v_and_b32_e32 v6, 0x7f, v8
	v_cmp_ne_u32_e32 vcc, s86, v6
	v_mov_b32_e32 v2, 0x7f800001
	s_and_saveexec_b64 s[34:35], vcc
	s_cbranch_execz .LBB6_10931
; %bb.10930:                            ;   in Loop: Header=BB6_10567 Depth=3
	v_and_b32_e32 v0, 7, v8
	v_ffbh_u32_e32 v0, v0
	v_min_u32_e32 v0, 32, v0
	v_lshrrev_b32_e32 v1, 3, v6
	v_cmp_gt_u32_e32 vcc, 8, v6
	v_subrev_u32_e32 v2, 28, v0
	v_sub_u32_e32 v0, 29, v0
	v_cndmask_b32_e32 v0, v1, v0, vcc
	v_cndmask_b32_e32 v1, 0, v2, vcc
	v_lshlrev_b64 v[6:7], v1, v[8:9]
	v_lshlrev_b32_e32 v2, 24, v8
	v_lshlrev_b32_e32 v1, 20, v6
	v_bfrev_b32_e32 v6, 60
	v_and_b32_e32 v1, 0x700000, v1
	v_and_b32_e32 v2, 0x80000000, v2
	v_lshl_add_u32 v0, v0, 23, v6
	v_or3_b32 v2, v2, v0, v1
.LBB6_10931:                            ;   in Loop: Header=BB6_10567 Depth=3
	s_or_b64 exec, exec, s[34:35]
.LBB6_10932:                            ;   in Loop: Header=BB6_10567 Depth=3
	s_or_b64 exec, exec, s[30:31]
.LBB6_10933:                            ;   in Loop: Header=BB6_10567 Depth=3
	s_or_b64 exec, exec, s[28:29]
	v_mul_f32_e32 v6, v5, v2
	v_and_b32_e32 v12, 0x7f800000, v6
	v_mov_b32_e32 v13, v51
	v_cmp_ne_u64_e32 vcc, s[76:77], v[12:13]
                                        ; implicit-def: $vgpr41
	s_and_saveexec_b64 s[28:29], vcc
	s_xor_b64 s[30:31], exec, s[28:29]
	s_cbranch_execz .LBB6_10947
; %bb.10934:                            ;   in Loop: Header=BB6_10567 Depth=3
	v_and_b32_e32 v12, 0x7fffffff, v6
	v_mov_b32_e32 v13, v51
	v_cmp_gt_u64_e32 vcc, s[78:79], v[12:13]
	v_and_b32_sdwa v2, v6, s96 dst_sel:DWORD dst_unused:UNUSED_PAD src0_sel:BYTE_3 src1_sel:DWORD
                                        ; implicit-def: $vgpr41
	s_and_saveexec_b64 s[28:29], vcc
	s_xor_b64 s[34:35], exec, s[28:29]
	s_cbranch_execz .LBB6_10944
; %bb.10935:                            ;   in Loop: Header=BB6_10567 Depth=3
	v_mov_b32_e32 v41, 0
	v_cmp_ne_u32_e32 vcc, 0, v6
	s_and_saveexec_b64 s[36:37], vcc
	s_cbranch_execz .LBB6_10943
; %bb.10936:                            ;   in Loop: Header=BB6_10567 Depth=3
	v_and_b32_e32 v0, 0x7fffff, v6
	v_bfe_u32 v6, v6, 23, 8
	v_cmp_gt_u32_e64 s[28:29], s97, v6
	v_sub_u32_e32 v1, 0x79, v6
	v_cmp_eq_u32_e32 vcc, 0, v6
	v_cndmask_b32_e64 v1, 0, v1, s[28:29]
	v_mov_b32_e32 v7, 0x78
	v_or_b32_e32 v12, 0x800000, v0
	v_cndmask_b32_e32 v7, v1, v7, vcc
	v_cndmask_b32_e32 v12, v12, v0, vcc
	v_add_u32_e32 v0, 20, v7
	v_lshlrev_b64 v[14:15], v0, -1
	v_mov_b32_e32 v13, v51
	v_add_u32_e32 v0, 19, v7
	v_bfi_b32 v14, v14, 0, v12
	v_lshlrev_b64 v[16:17], v0, 1
	v_lshrrev_b64 v[12:13], v7, v[12:13]
	v_bfi_b32 v15, v15, 0, 0
	v_cmp_eq_u64_e64 s[28:29], v[14:15], v[16:17]
	v_mov_b32_e32 v14, v13
	v_mov_b32_e32 v13, v12
	s_and_saveexec_b64 s[38:39], s[28:29]
; %bb.10937:                            ;   in Loop: Header=BB6_10567 Depth=3
	v_bfe_u32 v0, v12, 20, 1
	v_add_co_u32_e64 v0, s[28:29], v12, v0
	v_add_co_u32_e64 v13, s[28:29], -1, v0
; %bb.10938:                            ;   in Loop: Header=BB6_10567 Depth=3
	s_or_b64 exec, exec, s[38:39]
	v_add_u32_e32 v0, 0xffffff81, v6
	v_mov_b32_e32 v1, 0xffffff82
	v_cndmask_b32_e32 v0, v0, v1, vcc
	v_lshrrev_b32_e32 v1, 23, v12
	v_add3_u32 v14, v7, v0, v1
	v_add_u32_e32 v7, 6, v14
	v_and_b32_e32 v0, 0xfffff, v13
	v_add_u32_e32 v12, v0, v12
	v_mov_b32_e32 v13, v51
	v_cmp_ne_u32_e32 vcc, 0, v7
                                        ; implicit-def: $vgpr6
	s_and_saveexec_b64 s[28:29], vcc
	s_xor_b64 s[28:29], exec, s[28:29]
; %bb.10939:                            ;   in Loop: Header=BB6_10567 Depth=3
	v_cmp_lt_u64_e32 vcc, s[88:89], v[12:13]
	v_add_u32_e32 v0, 7, v14
	v_cndmask_b32_e32 v6, v7, v0, vcc
	v_cndmask_b32_e64 v0, 0, 1, vcc
	v_lshrrev_b64 v[12:13], v0, v[12:13]
; %bb.10940:                            ;   in Loop: Header=BB6_10567 Depth=3
	s_andn2_saveexec_b64 s[28:29], s[28:29]
; %bb.10941:                            ;   in Loop: Header=BB6_10567 Depth=3
	v_bfe_u32 v6, v12, 23, 1
; %bb.10942:                            ;   in Loop: Header=BB6_10567 Depth=3
	s_or_b64 exec, exec, s[28:29]
	v_lshrrev_b64 v[12:13], 20, v[12:13]
	v_cmp_gt_i32_e32 vcc, 16, v6
	v_cndmask_b32_e32 v13, 0, v13, vcc
	v_cndmask_b32_e32 v12, 7, v12, vcc
	v_min_i32_e32 v0, 15, v6
	v_cmp_eq_u64_e64 s[28:29], 0, v[12:13]
	v_lshlrev_b32_e32 v0, 3, v0
	v_cmp_eq_u32_e32 vcc, 0, v6
	v_and_b32_e32 v0, 0xf8, v0
	v_and_or_b32 v0, v12, 7, v0
	s_and_b64 s[28:29], vcc, s[28:29]
	v_cndmask_b32_e64 v0, v0, 0, s[28:29]
	v_or_b32_e32 v41, v0, v2
.LBB6_10943:                            ;   in Loop: Header=BB6_10567 Depth=3
	s_or_b64 exec, exec, s[36:37]
                                        ; implicit-def: $vgpr2
.LBB6_10944:                            ;   in Loop: Header=BB6_10567 Depth=3
	s_andn2_saveexec_b64 s[28:29], s[34:35]
; %bb.10945:                            ;   in Loop: Header=BB6_10567 Depth=3
	v_or_b32_e32 v41, 0x7e, v2
; %bb.10946:                            ;   in Loop: Header=BB6_10567 Depth=3
	s_or_b64 exec, exec, s[28:29]
                                        ; implicit-def: $vgpr6
.LBB6_10947:                            ;   in Loop: Header=BB6_10567 Depth=3
	s_andn2_saveexec_b64 s[28:29], s[30:31]
; %bb.10948:                            ;   in Loop: Header=BB6_10567 Depth=3
	v_or_b32_sdwa v41, v6, s86 dst_sel:DWORD dst_unused:UNUSED_PAD src0_sel:BYTE_3 src1_sel:DWORD
; %bb.10949:                            ;   in Loop: Header=BB6_10567 Depth=3
	s_or_b64 exec, exec, s[28:29]
	v_lshrrev_b16_e32 v12, 8, v8
	v_cmp_ne_u16_e32 vcc, 0, v12
	v_mov_b32_e32 v2, 0
	s_and_saveexec_b64 s[28:29], vcc
	s_cbranch_execz .LBB6_10955
; %bb.10950:                            ;   in Loop: Header=BB6_10567 Depth=3
	v_cmp_ne_u16_e32 vcc, s96, v12
	v_bfrev_b32_e32 v2, 1
	s_and_saveexec_b64 s[30:31], vcc
	s_cbranch_execz .LBB6_10954
; %bb.10951:                            ;   in Loop: Header=BB6_10567 Depth=3
	v_and_b32_e32 v6, 0x7f, v12
	v_cmp_ne_u32_e32 vcc, s86, v6
	v_mov_b32_e32 v2, 0x7f800001
	s_and_saveexec_b64 s[34:35], vcc
	s_cbranch_execz .LBB6_10953
; %bb.10952:                            ;   in Loop: Header=BB6_10567 Depth=3
	v_and_b32_e32 v0, 7, v12
	v_ffbh_u32_e32 v2, v0
	v_min_u32_e32 v2, 32, v2
	v_lshrrev_b32_e32 v1, 3, v6
	v_cmp_gt_u32_e32 vcc, 8, v6
	v_subrev_u32_e32 v6, 28, v2
	v_lshlrev_b64 v[6:7], v6, v[12:13]
	v_sub_u32_e32 v2, 29, v2
	v_and_b32_e32 v6, 7, v6
	v_cndmask_b32_e32 v1, v1, v2, vcc
	v_cndmask_b32_e32 v0, v0, v6, vcc
	v_lshlrev_b32_e32 v2, 16, v8
	v_bfrev_b32_e32 v6, 60
	v_lshlrev_b32_e32 v0, 20, v0
	v_and_b32_e32 v2, 0x80000000, v2
	v_lshl_add_u32 v1, v1, 23, v6
	v_or3_b32 v2, v2, v1, v0
.LBB6_10953:                            ;   in Loop: Header=BB6_10567 Depth=3
	s_or_b64 exec, exec, s[34:35]
.LBB6_10954:                            ;   in Loop: Header=BB6_10567 Depth=3
	s_or_b64 exec, exec, s[30:31]
.LBB6_10955:                            ;   in Loop: Header=BB6_10567 Depth=3
	s_or_b64 exec, exec, s[28:29]
	v_mul_f32_e32 v6, v5, v2
	v_and_b32_e32 v12, 0x7f800000, v6
	v_mov_b32_e32 v13, v51
	v_cmp_ne_u64_e32 vcc, s[76:77], v[12:13]
                                        ; implicit-def: $vgpr0
                                        ; kill: killed $vgpr0
	s_and_saveexec_b64 s[28:29], vcc
	s_xor_b64 s[30:31], exec, s[28:29]
	s_cbranch_execz .LBB6_10969
; %bb.10956:                            ;   in Loop: Header=BB6_10567 Depth=3
	v_and_b32_e32 v12, 0x7fffffff, v6
	v_mov_b32_e32 v13, v51
	v_cmp_gt_u64_e32 vcc, s[78:79], v[12:13]
	v_and_b32_sdwa v2, v6, s96 dst_sel:DWORD dst_unused:UNUSED_PAD src0_sel:BYTE_3 src1_sel:DWORD
                                        ; implicit-def: $vgpr0
                                        ; kill: killed $vgpr0
	s_and_saveexec_b64 s[28:29], vcc
	s_xor_b64 s[34:35], exec, s[28:29]
	s_cbranch_execz .LBB6_10966
; %bb.10957:                            ;   in Loop: Header=BB6_10567 Depth=3
	v_mov_b32_e32 v0, 0
	v_cmp_ne_u32_e32 vcc, 0, v6
	buffer_store_dword v0, off, s[0:3], s33 offset:256 ; 4-byte Folded Spill
	s_and_saveexec_b64 s[36:37], vcc
	s_cbranch_execz .LBB6_10965
; %bb.10958:                            ;   in Loop: Header=BB6_10567 Depth=3
	v_and_b32_e32 v0, 0x7fffff, v6
	v_bfe_u32 v6, v6, 23, 8
	v_cmp_gt_u32_e64 s[28:29], s97, v6
	v_sub_u32_e32 v1, 0x79, v6
	v_cmp_eq_u32_e32 vcc, 0, v6
	v_cndmask_b32_e64 v1, 0, v1, s[28:29]
	v_mov_b32_e32 v7, 0x78
	v_or_b32_e32 v12, 0x800000, v0
	v_cndmask_b32_e32 v7, v1, v7, vcc
	v_cndmask_b32_e32 v12, v12, v0, vcc
	v_add_u32_e32 v0, 20, v7
	v_lshlrev_b64 v[14:15], v0, -1
	v_mov_b32_e32 v13, v51
	v_add_u32_e32 v0, 19, v7
	v_bfi_b32 v14, v14, 0, v12
	v_lshlrev_b64 v[16:17], v0, 1
	v_lshrrev_b64 v[12:13], v7, v[12:13]
	v_bfi_b32 v15, v15, 0, 0
	v_cmp_eq_u64_e64 s[28:29], v[14:15], v[16:17]
	v_mov_b32_e32 v14, v13
	v_mov_b32_e32 v13, v12
	s_and_saveexec_b64 s[38:39], s[28:29]
; %bb.10959:                            ;   in Loop: Header=BB6_10567 Depth=3
	v_bfe_u32 v0, v12, 20, 1
	v_add_co_u32_e64 v0, s[28:29], v12, v0
	v_add_co_u32_e64 v13, s[28:29], -1, v0
; %bb.10960:                            ;   in Loop: Header=BB6_10567 Depth=3
	s_or_b64 exec, exec, s[38:39]
	v_add_u32_e32 v0, 0xffffff81, v6
	v_mov_b32_e32 v1, 0xffffff82
	v_cndmask_b32_e32 v0, v0, v1, vcc
	v_lshrrev_b32_e32 v1, 23, v12
	v_add3_u32 v14, v7, v0, v1
	v_add_u32_e32 v7, 6, v14
	v_and_b32_e32 v0, 0xfffff, v13
	v_add_u32_e32 v12, v0, v12
	v_mov_b32_e32 v13, v51
	v_cmp_ne_u32_e32 vcc, 0, v7
                                        ; implicit-def: $vgpr6
	s_and_saveexec_b64 s[28:29], vcc
	s_xor_b64 s[28:29], exec, s[28:29]
; %bb.10961:                            ;   in Loop: Header=BB6_10567 Depth=3
	v_cmp_lt_u64_e32 vcc, s[88:89], v[12:13]
	v_add_u32_e32 v0, 7, v14
	v_cndmask_b32_e32 v6, v7, v0, vcc
	v_cndmask_b32_e64 v0, 0, 1, vcc
	v_lshrrev_b64 v[12:13], v0, v[12:13]
; %bb.10962:                            ;   in Loop: Header=BB6_10567 Depth=3
	s_andn2_saveexec_b64 s[28:29], s[28:29]
; %bb.10963:                            ;   in Loop: Header=BB6_10567 Depth=3
	v_bfe_u32 v6, v12, 23, 1
; %bb.10964:                            ;   in Loop: Header=BB6_10567 Depth=3
	s_or_b64 exec, exec, s[28:29]
	v_lshrrev_b64 v[12:13], 20, v[12:13]
	v_cmp_gt_i32_e32 vcc, 16, v6
	v_cndmask_b32_e32 v13, 0, v13, vcc
	v_cndmask_b32_e32 v12, 7, v12, vcc
	v_min_i32_e32 v0, 15, v6
	v_cmp_eq_u64_e64 s[28:29], 0, v[12:13]
	v_lshlrev_b32_e32 v0, 3, v0
	v_cmp_eq_u32_e32 vcc, 0, v6
	v_and_b32_e32 v0, 0xf8, v0
	v_and_or_b32 v0, v12, 7, v0
	s_and_b64 s[28:29], vcc, s[28:29]
	v_cndmask_b32_e64 v0, v0, 0, s[28:29]
	v_or_b32_e32 v0, v0, v2
	buffer_store_dword v0, off, s[0:3], s33 offset:256 ; 4-byte Folded Spill
.LBB6_10965:                            ;   in Loop: Header=BB6_10567 Depth=3
	s_or_b64 exec, exec, s[36:37]
                                        ; implicit-def: $vgpr2
.LBB6_10966:                            ;   in Loop: Header=BB6_10567 Depth=3
	s_andn2_saveexec_b64 s[28:29], s[34:35]
	s_cbranch_execz .LBB6_10968
; %bb.10967:                            ;   in Loop: Header=BB6_10567 Depth=3
	v_or_b32_e32 v0, 0x7e, v2
	buffer_store_dword v0, off, s[0:3], s33 offset:256 ; 4-byte Folded Spill
.LBB6_10968:                            ;   in Loop: Header=BB6_10567 Depth=3
	s_or_b64 exec, exec, s[28:29]
                                        ; implicit-def: $vgpr6
.LBB6_10969:                            ;   in Loop: Header=BB6_10567 Depth=3
	s_andn2_saveexec_b64 s[28:29], s[30:31]
	s_cbranch_execz .LBB6_10971
; %bb.10970:                            ;   in Loop: Header=BB6_10567 Depth=3
	v_or_b32_sdwa v0, v6, s86 dst_sel:DWORD dst_unused:UNUSED_PAD src0_sel:BYTE_3 src1_sel:DWORD
	buffer_store_dword v0, off, s[0:3], s33 offset:256 ; 4-byte Folded Spill
.LBB6_10971:                            ;   in Loop: Header=BB6_10567 Depth=3
	s_or_b64 exec, exec, s[28:29]
	v_lshrrev_b32_e32 v12, 16, v8
	v_cmp_ne_u16_sdwa vcc, v12, v51 src0_sel:BYTE_0 src1_sel:DWORD
	v_mov_b32_e32 v2, 0
	s_and_saveexec_b64 s[28:29], vcc
	s_cbranch_execz .LBB6_10977
; %bb.10972:                            ;   in Loop: Header=BB6_10567 Depth=3
	v_cmp_ne_u16_sdwa vcc, v12, s96 src0_sel:BYTE_0 src1_sel:DWORD
	v_bfrev_b32_e32 v2, 1
	s_and_saveexec_b64 s[30:31], vcc
	s_cbranch_execz .LBB6_10976
; %bb.10973:                            ;   in Loop: Header=BB6_10567 Depth=3
	v_bfe_u32 v6, v8, 16, 7
	v_cmp_ne_u32_e32 vcc, s86, v6
	v_mov_b32_e32 v2, 0x7f800001
	s_and_saveexec_b64 s[34:35], vcc
	s_cbranch_execz .LBB6_10975
; %bb.10974:                            ;   in Loop: Header=BB6_10567 Depth=3
	v_and_b32_e32 v0, 7, v12
	v_ffbh_u32_e32 v2, v0
	v_min_u32_e32 v2, 32, v2
	v_lshrrev_b32_e32 v1, 3, v6
	v_cmp_gt_u32_e32 vcc, 8, v6
	v_subrev_u32_e32 v6, 28, v2
	v_lshlrev_b64 v[6:7], v6, v[12:13]
	v_sub_u32_e32 v2, 29, v2
	v_and_b32_e32 v6, 7, v6
	v_cndmask_b32_e32 v1, v1, v2, vcc
	v_cndmask_b32_e32 v0, v0, v6, vcc
	v_lshlrev_b32_e32 v2, 24, v12
	v_bfrev_b32_e32 v6, 60
	v_lshlrev_b32_e32 v0, 20, v0
	v_and_b32_e32 v2, 0x80000000, v2
	v_lshl_add_u32 v1, v1, 23, v6
	v_or3_b32 v2, v2, v1, v0
.LBB6_10975:                            ;   in Loop: Header=BB6_10567 Depth=3
	s_or_b64 exec, exec, s[34:35]
.LBB6_10976:                            ;   in Loop: Header=BB6_10567 Depth=3
	s_or_b64 exec, exec, s[30:31]
.LBB6_10977:                            ;   in Loop: Header=BB6_10567 Depth=3
	s_or_b64 exec, exec, s[28:29]
	v_mul_f32_e32 v7, v5, v2
	v_and_b32_e32 v12, 0x7f800000, v7
	v_mov_b32_e32 v13, v51
	v_cmp_ne_u64_e32 vcc, s[76:77], v[12:13]
                                        ; implicit-def: $vgpr6
	s_and_saveexec_b64 s[28:29], vcc
	s_xor_b64 s[30:31], exec, s[28:29]
	s_cbranch_execz .LBB6_10991
; %bb.10978:                            ;   in Loop: Header=BB6_10567 Depth=3
	v_and_b32_e32 v12, 0x7fffffff, v7
	v_mov_b32_e32 v13, v51
	v_cmp_gt_u64_e32 vcc, s[78:79], v[12:13]
	v_and_b32_sdwa v2, v7, s96 dst_sel:DWORD dst_unused:UNUSED_PAD src0_sel:BYTE_3 src1_sel:DWORD
                                        ; implicit-def: $vgpr6
	s_and_saveexec_b64 s[28:29], vcc
	s_xor_b64 s[34:35], exec, s[28:29]
	s_cbranch_execz .LBB6_10988
; %bb.10979:                            ;   in Loop: Header=BB6_10567 Depth=3
	v_mov_b32_e32 v6, 0
	v_cmp_ne_u32_e32 vcc, 0, v7
	s_and_saveexec_b64 s[36:37], vcc
	s_cbranch_execz .LBB6_10987
; %bb.10980:                            ;   in Loop: Header=BB6_10567 Depth=3
	v_bfe_u32 v6, v7, 23, 8
	v_cmp_gt_u32_e64 s[28:29], s97, v6
	v_sub_u32_e32 v1, 0x79, v6
	v_and_b32_e32 v0, 0x7fffff, v7
	v_cmp_eq_u32_e32 vcc, 0, v6
	v_cndmask_b32_e64 v1, 0, v1, s[28:29]
	v_mov_b32_e32 v7, 0x78
	v_or_b32_e32 v12, 0x800000, v0
	v_cndmask_b32_e32 v7, v1, v7, vcc
	v_cndmask_b32_e32 v12, v12, v0, vcc
	v_add_u32_e32 v0, 20, v7
	v_lshlrev_b64 v[14:15], v0, -1
	v_mov_b32_e32 v13, v51
	v_add_u32_e32 v0, 19, v7
	v_bfi_b32 v14, v14, 0, v12
	v_lshlrev_b64 v[16:17], v0, 1
	v_lshrrev_b64 v[12:13], v7, v[12:13]
	v_bfi_b32 v15, v15, 0, 0
	v_cmp_eq_u64_e64 s[28:29], v[14:15], v[16:17]
	v_mov_b32_e32 v14, v13
	v_mov_b32_e32 v13, v12
	s_and_saveexec_b64 s[38:39], s[28:29]
; %bb.10981:                            ;   in Loop: Header=BB6_10567 Depth=3
	v_bfe_u32 v0, v12, 20, 1
	v_add_co_u32_e64 v0, s[28:29], v12, v0
	v_add_co_u32_e64 v13, s[28:29], -1, v0
; %bb.10982:                            ;   in Loop: Header=BB6_10567 Depth=3
	s_or_b64 exec, exec, s[38:39]
	v_add_u32_e32 v0, 0xffffff81, v6
	v_mov_b32_e32 v1, 0xffffff82
	v_cndmask_b32_e32 v0, v0, v1, vcc
	v_lshrrev_b32_e32 v1, 23, v12
	v_add3_u32 v14, v7, v0, v1
	v_add_u32_e32 v7, 6, v14
	v_and_b32_e32 v0, 0xfffff, v13
	v_add_u32_e32 v12, v0, v12
	v_mov_b32_e32 v13, v51
	v_cmp_ne_u32_e32 vcc, 0, v7
                                        ; implicit-def: $vgpr6
	s_and_saveexec_b64 s[28:29], vcc
	s_xor_b64 s[28:29], exec, s[28:29]
; %bb.10983:                            ;   in Loop: Header=BB6_10567 Depth=3
	v_cmp_lt_u64_e32 vcc, s[88:89], v[12:13]
	v_add_u32_e32 v0, 7, v14
	v_cndmask_b32_e32 v6, v7, v0, vcc
	v_cndmask_b32_e64 v0, 0, 1, vcc
	v_lshrrev_b64 v[12:13], v0, v[12:13]
; %bb.10984:                            ;   in Loop: Header=BB6_10567 Depth=3
	s_andn2_saveexec_b64 s[28:29], s[28:29]
; %bb.10985:                            ;   in Loop: Header=BB6_10567 Depth=3
	v_bfe_u32 v6, v12, 23, 1
; %bb.10986:                            ;   in Loop: Header=BB6_10567 Depth=3
	s_or_b64 exec, exec, s[28:29]
	v_lshrrev_b64 v[12:13], 20, v[12:13]
	v_cmp_gt_i32_e32 vcc, 16, v6
	v_cndmask_b32_e32 v13, 0, v13, vcc
	v_cndmask_b32_e32 v12, 7, v12, vcc
	v_min_i32_e32 v0, 15, v6
	v_cmp_eq_u64_e64 s[28:29], 0, v[12:13]
	v_lshlrev_b32_e32 v0, 3, v0
	v_cmp_eq_u32_e32 vcc, 0, v6
	v_and_b32_e32 v0, 0xf8, v0
	v_and_or_b32 v0, v12, 7, v0
	s_and_b64 s[28:29], vcc, s[28:29]
	v_cndmask_b32_e64 v0, v0, 0, s[28:29]
	v_or_b32_e32 v6, v0, v2
.LBB6_10987:                            ;   in Loop: Header=BB6_10567 Depth=3
	s_or_b64 exec, exec, s[36:37]
                                        ; implicit-def: $vgpr2
.LBB6_10988:                            ;   in Loop: Header=BB6_10567 Depth=3
	s_andn2_saveexec_b64 s[28:29], s[34:35]
; %bb.10989:                            ;   in Loop: Header=BB6_10567 Depth=3
	v_or_b32_e32 v6, 0x7e, v2
; %bb.10990:                            ;   in Loop: Header=BB6_10567 Depth=3
	s_or_b64 exec, exec, s[28:29]
                                        ; implicit-def: $vgpr7
.LBB6_10991:                            ;   in Loop: Header=BB6_10567 Depth=3
	s_andn2_saveexec_b64 s[28:29], s[30:31]
; %bb.10992:                            ;   in Loop: Header=BB6_10567 Depth=3
	v_or_b32_sdwa v6, v7, s86 dst_sel:DWORD dst_unused:UNUSED_PAD src0_sel:BYTE_3 src1_sel:DWORD
; %bb.10993:                            ;   in Loop: Header=BB6_10567 Depth=3
	s_or_b64 exec, exec, s[28:29]
	v_cmp_lt_u32_e32 vcc, s57, v8
	v_mov_b32_e32 v2, 0
	s_and_saveexec_b64 s[28:29], vcc
	s_cbranch_execz .LBB6_10999
; %bb.10994:                            ;   in Loop: Header=BB6_10567 Depth=3
	v_lshrrev_b32_e32 v12, 24, v8
	v_cmp_ne_u32_e32 vcc, s96, v12
	v_bfrev_b32_e32 v2, 1
	s_and_saveexec_b64 s[30:31], vcc
	s_cbranch_execz .LBB6_10998
; %bb.10995:                            ;   in Loop: Header=BB6_10567 Depth=3
	v_bfe_u32 v7, v8, 24, 7
	v_cmp_ne_u32_e32 vcc, s86, v7
	v_mov_b32_e32 v2, 0x7f800001
	s_and_saveexec_b64 s[34:35], vcc
	s_cbranch_execz .LBB6_10997
; %bb.10996:                            ;   in Loop: Header=BB6_10567 Depth=3
	v_and_b32_e32 v0, 7, v12
	v_ffbh_u32_e32 v2, v0
	v_min_u32_e32 v2, 32, v2
	v_lshrrev_b32_e32 v1, 3, v7
	v_cmp_gt_u32_e32 vcc, 8, v7
	v_subrev_u32_e32 v7, 28, v2
	v_lshlrev_b64 v[13:14], v7, v[12:13]
	v_sub_u32_e32 v2, 29, v2
	v_and_b32_e32 v7, 7, v13
	v_cndmask_b32_e32 v1, v1, v2, vcc
	v_cndmask_b32_e32 v0, v0, v7, vcc
	v_lshlrev_b32_e32 v2, 24, v12
	v_bfrev_b32_e32 v7, 60
	v_lshlrev_b32_e32 v0, 20, v0
	v_and_b32_e32 v2, 0x80000000, v2
	v_lshl_add_u32 v1, v1, 23, v7
	v_or3_b32 v2, v2, v1, v0
.LBB6_10997:                            ;   in Loop: Header=BB6_10567 Depth=3
	s_or_b64 exec, exec, s[34:35]
.LBB6_10998:                            ;   in Loop: Header=BB6_10567 Depth=3
	s_or_b64 exec, exec, s[30:31]
.LBB6_10999:                            ;   in Loop: Header=BB6_10567 Depth=3
	s_or_b64 exec, exec, s[28:29]
	v_mul_f32_e32 v7, v5, v2
	v_and_b32_e32 v12, 0x7f800000, v7
	v_mov_b32_e32 v13, v51
	v_cmp_ne_u64_e32 vcc, s[76:77], v[12:13]
                                        ; implicit-def: $vgpr44
	s_and_saveexec_b64 s[28:29], vcc
	s_xor_b64 s[30:31], exec, s[28:29]
	s_cbranch_execz .LBB6_11013
; %bb.11000:                            ;   in Loop: Header=BB6_10567 Depth=3
	v_and_b32_e32 v12, 0x7fffffff, v7
	v_mov_b32_e32 v13, v51
	v_cmp_gt_u64_e32 vcc, s[78:79], v[12:13]
	v_and_b32_sdwa v2, v7, s96 dst_sel:DWORD dst_unused:UNUSED_PAD src0_sel:BYTE_3 src1_sel:DWORD
                                        ; implicit-def: $vgpr44
	s_and_saveexec_b64 s[28:29], vcc
	s_xor_b64 s[34:35], exec, s[28:29]
	s_cbranch_execz .LBB6_11010
; %bb.11001:                            ;   in Loop: Header=BB6_10567 Depth=3
	v_mov_b32_e32 v44, 0
	v_cmp_ne_u32_e32 vcc, 0, v7
	s_and_saveexec_b64 s[36:37], vcc
	s_cbranch_execz .LBB6_11009
; %bb.11002:                            ;   in Loop: Header=BB6_10567 Depth=3
	v_and_b32_e32 v0, 0x7fffff, v7
	v_bfe_u32 v7, v7, 23, 8
	v_cmp_gt_u32_e64 s[28:29], s97, v7
	v_sub_u32_e32 v1, 0x79, v7
	v_cmp_eq_u32_e32 vcc, 0, v7
	v_cndmask_b32_e64 v1, 0, v1, s[28:29]
	v_mov_b32_e32 v13, 0x78
	v_or_b32_e32 v12, 0x800000, v0
	v_cndmask_b32_e32 v15, v1, v13, vcc
	v_cndmask_b32_e32 v12, v12, v0, vcc
	v_add_u32_e32 v0, 20, v15
	v_lshlrev_b64 v[16:17], v0, -1
	v_mov_b32_e32 v13, v51
	v_add_u32_e32 v0, 19, v15
	v_bfi_b32 v16, v16, 0, v12
	v_lshlrev_b64 v[18:19], v0, 1
	v_lshrrev_b64 v[12:13], v15, v[12:13]
	v_bfi_b32 v17, v17, 0, 0
	v_cmp_eq_u64_e64 s[28:29], v[16:17], v[18:19]
	v_mov_b32_e32 v14, v13
	v_mov_b32_e32 v13, v12
	s_and_saveexec_b64 s[38:39], s[28:29]
; %bb.11003:                            ;   in Loop: Header=BB6_10567 Depth=3
	v_bfe_u32 v0, v12, 20, 1
	v_add_co_u32_e64 v0, s[28:29], v12, v0
	v_add_co_u32_e64 v13, s[28:29], -1, v0
; %bb.11004:                            ;   in Loop: Header=BB6_10567 Depth=3
	s_or_b64 exec, exec, s[38:39]
	v_add_u32_e32 v0, 0xffffff81, v7
	v_mov_b32_e32 v1, 0xffffff82
	v_cndmask_b32_e32 v0, v0, v1, vcc
	v_lshrrev_b32_e32 v1, 23, v12
	v_add3_u32 v15, v15, v0, v1
	v_add_u32_e32 v14, 6, v15
	v_and_b32_e32 v0, 0xfffff, v13
	v_add_u32_e32 v12, v0, v12
	v_mov_b32_e32 v13, v51
	v_cmp_ne_u32_e32 vcc, 0, v14
                                        ; implicit-def: $vgpr7
	s_and_saveexec_b64 s[28:29], vcc
	s_xor_b64 s[28:29], exec, s[28:29]
; %bb.11005:                            ;   in Loop: Header=BB6_10567 Depth=3
	v_cmp_lt_u64_e32 vcc, s[88:89], v[12:13]
	v_add_u32_e32 v0, 7, v15
	v_cndmask_b32_e32 v7, v14, v0, vcc
	v_cndmask_b32_e64 v0, 0, 1, vcc
	v_lshrrev_b64 v[12:13], v0, v[12:13]
; %bb.11006:                            ;   in Loop: Header=BB6_10567 Depth=3
	s_andn2_saveexec_b64 s[28:29], s[28:29]
; %bb.11007:                            ;   in Loop: Header=BB6_10567 Depth=3
	v_bfe_u32 v7, v12, 23, 1
; %bb.11008:                            ;   in Loop: Header=BB6_10567 Depth=3
	s_or_b64 exec, exec, s[28:29]
	v_lshrrev_b64 v[12:13], 20, v[12:13]
	v_cmp_gt_i32_e32 vcc, 16, v7
	v_cndmask_b32_e32 v13, 0, v13, vcc
	v_cndmask_b32_e32 v12, 7, v12, vcc
	v_min_i32_e32 v0, 15, v7
	v_cmp_eq_u64_e64 s[28:29], 0, v[12:13]
	v_lshlrev_b32_e32 v0, 3, v0
	v_cmp_eq_u32_e32 vcc, 0, v7
	v_and_b32_e32 v0, 0xf8, v0
	v_and_or_b32 v0, v12, 7, v0
	s_and_b64 s[28:29], vcc, s[28:29]
	v_cndmask_b32_e64 v0, v0, 0, s[28:29]
	v_or_b32_e32 v44, v0, v2
.LBB6_11009:                            ;   in Loop: Header=BB6_10567 Depth=3
	s_or_b64 exec, exec, s[36:37]
                                        ; implicit-def: $vgpr2
.LBB6_11010:                            ;   in Loop: Header=BB6_10567 Depth=3
	s_andn2_saveexec_b64 s[28:29], s[34:35]
; %bb.11011:                            ;   in Loop: Header=BB6_10567 Depth=3
	v_or_b32_e32 v44, 0x7e, v2
; %bb.11012:                            ;   in Loop: Header=BB6_10567 Depth=3
	s_or_b64 exec, exec, s[28:29]
                                        ; implicit-def: $vgpr7
.LBB6_11013:                            ;   in Loop: Header=BB6_10567 Depth=3
	s_andn2_saveexec_b64 s[28:29], s[30:31]
; %bb.11014:                            ;   in Loop: Header=BB6_10567 Depth=3
	v_or_b32_sdwa v44, v7, s86 dst_sel:DWORD dst_unused:UNUSED_PAD src0_sel:BYTE_3 src1_sel:DWORD
; %bb.11015:                            ;   in Loop: Header=BB6_10567 Depth=3
	s_or_b64 exec, exec, s[28:29]
	v_mov_b32_e32 v12, v9
	v_mov_b32_e32 v13, v51
	v_cmp_ne_u16_sdwa vcc, v9, v51 src0_sel:BYTE_0 src1_sel:DWORD
	v_mov_b32_e32 v2, 0
	s_and_saveexec_b64 s[28:29], vcc
	s_cbranch_execz .LBB6_11021
; %bb.11016:                            ;   in Loop: Header=BB6_10567 Depth=3
	v_cmp_ne_u16_sdwa vcc, v9, s96 src0_sel:BYTE_0 src1_sel:DWORD
	v_bfrev_b32_e32 v2, 1
	s_and_saveexec_b64 s[30:31], vcc
	s_cbranch_execz .LBB6_11020
; %bb.11017:                            ;   in Loop: Header=BB6_10567 Depth=3
	v_and_b32_e32 v7, 0x7f, v9
	v_cmp_ne_u32_e32 vcc, s86, v7
	v_mov_b32_e32 v2, 0x7f800001
	s_and_saveexec_b64 s[34:35], vcc
	s_cbranch_execz .LBB6_11019
; %bb.11018:                            ;   in Loop: Header=BB6_10567 Depth=3
	v_and_b32_e32 v0, 7, v9
	v_ffbh_u32_e32 v0, v0
	v_min_u32_e32 v0, 32, v0
	v_lshrrev_b32_e32 v1, 3, v7
	v_cmp_gt_u32_e32 vcc, 8, v7
	v_subrev_u32_e32 v2, 28, v0
	v_sub_u32_e32 v0, 29, v0
	v_cndmask_b32_e32 v0, v1, v0, vcc
	v_cndmask_b32_e32 v1, 0, v2, vcc
	v_lshlrev_b64 v[13:14], v1, v[12:13]
	v_lshlrev_b32_e32 v2, 24, v12
	v_lshlrev_b32_e32 v1, 20, v13
	v_bfrev_b32_e32 v7, 60
	v_and_b32_e32 v1, 0x700000, v1
	v_and_b32_e32 v2, 0x80000000, v2
	v_lshl_add_u32 v0, v0, 23, v7
	v_or3_b32 v2, v2, v0, v1
.LBB6_11019:                            ;   in Loop: Header=BB6_10567 Depth=3
	s_or_b64 exec, exec, s[34:35]
.LBB6_11020:                            ;   in Loop: Header=BB6_10567 Depth=3
	s_or_b64 exec, exec, s[30:31]
.LBB6_11021:                            ;   in Loop: Header=BB6_10567 Depth=3
	s_or_b64 exec, exec, s[28:29]
	v_mul_f32_e32 v7, v5, v2
	v_and_b32_e32 v13, 0x7f800000, v7
	v_mov_b32_e32 v14, v51
	v_cmp_ne_u64_e32 vcc, s[76:77], v[13:14]
                                        ; implicit-def: $vgpr43
	s_and_saveexec_b64 s[28:29], vcc
	s_xor_b64 s[30:31], exec, s[28:29]
	s_cbranch_execz .LBB6_11035
; %bb.11022:                            ;   in Loop: Header=BB6_10567 Depth=3
	v_and_b32_e32 v13, 0x7fffffff, v7
	v_mov_b32_e32 v14, v51
	v_cmp_gt_u64_e32 vcc, s[78:79], v[13:14]
	v_and_b32_sdwa v2, v7, s96 dst_sel:DWORD dst_unused:UNUSED_PAD src0_sel:BYTE_3 src1_sel:DWORD
                                        ; implicit-def: $vgpr43
	s_and_saveexec_b64 s[28:29], vcc
	s_xor_b64 s[34:35], exec, s[28:29]
	s_cbranch_execz .LBB6_11032
; %bb.11023:                            ;   in Loop: Header=BB6_10567 Depth=3
	v_mov_b32_e32 v43, 0
	v_cmp_ne_u32_e32 vcc, 0, v7
	s_and_saveexec_b64 s[36:37], vcc
	s_cbranch_execz .LBB6_11031
; %bb.11024:                            ;   in Loop: Header=BB6_10567 Depth=3
	v_and_b32_e32 v0, 0x7fffff, v7
	v_bfe_u32 v7, v7, 23, 8
	v_cmp_gt_u32_e64 s[28:29], s97, v7
	v_sub_u32_e32 v1, 0x79, v7
	v_cmp_eq_u32_e32 vcc, 0, v7
	v_cndmask_b32_e64 v1, 0, v1, s[28:29]
	v_mov_b32_e32 v14, 0x78
	v_or_b32_e32 v13, 0x800000, v0
	v_cndmask_b32_e32 v16, v1, v14, vcc
	v_cndmask_b32_e32 v13, v13, v0, vcc
	v_add_u32_e32 v0, 20, v16
	v_lshlrev_b64 v[17:18], v0, -1
	v_mov_b32_e32 v14, v51
	v_add_u32_e32 v0, 19, v16
	v_bfi_b32 v17, v17, 0, v13
	v_lshlrev_b64 v[19:20], v0, 1
	v_lshrrev_b64 v[13:14], v16, v[13:14]
	v_bfi_b32 v18, v18, 0, 0
	v_cmp_eq_u64_e64 s[28:29], v[17:18], v[19:20]
	v_mov_b32_e32 v15, v14
	v_mov_b32_e32 v14, v13
	s_and_saveexec_b64 s[38:39], s[28:29]
; %bb.11025:                            ;   in Loop: Header=BB6_10567 Depth=3
	v_bfe_u32 v0, v13, 20, 1
	v_add_co_u32_e64 v0, s[28:29], v13, v0
	v_add_co_u32_e64 v14, s[28:29], -1, v0
; %bb.11026:                            ;   in Loop: Header=BB6_10567 Depth=3
	s_or_b64 exec, exec, s[38:39]
	v_add_u32_e32 v0, 0xffffff81, v7
	v_mov_b32_e32 v1, 0xffffff82
	v_cndmask_b32_e32 v0, v0, v1, vcc
	v_lshrrev_b32_e32 v1, 23, v13
	v_add3_u32 v16, v16, v0, v1
	v_add_u32_e32 v15, 6, v16
	v_and_b32_e32 v0, 0xfffff, v14
	v_add_u32_e32 v13, v0, v13
	v_mov_b32_e32 v14, v51
	v_cmp_ne_u32_e32 vcc, 0, v15
                                        ; implicit-def: $vgpr7
	s_and_saveexec_b64 s[28:29], vcc
	s_xor_b64 s[28:29], exec, s[28:29]
; %bb.11027:                            ;   in Loop: Header=BB6_10567 Depth=3
	v_cmp_lt_u64_e32 vcc, s[88:89], v[13:14]
	v_add_u32_e32 v0, 7, v16
	v_cndmask_b32_e32 v7, v15, v0, vcc
	v_cndmask_b32_e64 v0, 0, 1, vcc
	v_lshrrev_b64 v[13:14], v0, v[13:14]
; %bb.11028:                            ;   in Loop: Header=BB6_10567 Depth=3
	s_andn2_saveexec_b64 s[28:29], s[28:29]
; %bb.11029:                            ;   in Loop: Header=BB6_10567 Depth=3
	v_bfe_u32 v7, v13, 23, 1
; %bb.11030:                            ;   in Loop: Header=BB6_10567 Depth=3
	s_or_b64 exec, exec, s[28:29]
	v_lshrrev_b64 v[13:14], 20, v[13:14]
	v_cmp_gt_i32_e32 vcc, 16, v7
	v_cndmask_b32_e32 v14, 0, v14, vcc
	v_cndmask_b32_e32 v13, 7, v13, vcc
	v_min_i32_e32 v0, 15, v7
	v_cmp_eq_u64_e64 s[28:29], 0, v[13:14]
	v_lshlrev_b32_e32 v0, 3, v0
	v_cmp_eq_u32_e32 vcc, 0, v7
	v_and_b32_e32 v0, 0xf8, v0
	v_and_or_b32 v0, v13, 7, v0
	s_and_b64 s[28:29], vcc, s[28:29]
	v_cndmask_b32_e64 v0, v0, 0, s[28:29]
	v_or_b32_e32 v43, v0, v2
.LBB6_11031:                            ;   in Loop: Header=BB6_10567 Depth=3
	s_or_b64 exec, exec, s[36:37]
                                        ; implicit-def: $vgpr2
.LBB6_11032:                            ;   in Loop: Header=BB6_10567 Depth=3
	s_andn2_saveexec_b64 s[28:29], s[34:35]
; %bb.11033:                            ;   in Loop: Header=BB6_10567 Depth=3
	v_or_b32_e32 v43, 0x7e, v2
; %bb.11034:                            ;   in Loop: Header=BB6_10567 Depth=3
	s_or_b64 exec, exec, s[28:29]
                                        ; implicit-def: $vgpr7
.LBB6_11035:                            ;   in Loop: Header=BB6_10567 Depth=3
	s_andn2_saveexec_b64 s[28:29], s[30:31]
; %bb.11036:                            ;   in Loop: Header=BB6_10567 Depth=3
	v_or_b32_sdwa v43, v7, s86 dst_sel:DWORD dst_unused:UNUSED_PAD src0_sel:BYTE_3 src1_sel:DWORD
; %bb.11037:                            ;   in Loop: Header=BB6_10567 Depth=3
	s_or_b64 exec, exec, s[28:29]
	v_lshrrev_b16_e32 v13, 8, v12
	v_cmp_ne_u16_e32 vcc, 0, v13
	v_mov_b32_e32 v2, 0
	s_and_saveexec_b64 s[28:29], vcc
	s_cbranch_execz .LBB6_11043
; %bb.11038:                            ;   in Loop: Header=BB6_10567 Depth=3
	v_cmp_ne_u16_e32 vcc, s96, v13
	v_bfrev_b32_e32 v2, 1
	s_and_saveexec_b64 s[30:31], vcc
	s_cbranch_execz .LBB6_11042
; %bb.11039:                            ;   in Loop: Header=BB6_10567 Depth=3
	v_and_b32_e32 v7, 0x7f, v13
	v_cmp_ne_u32_e32 vcc, s86, v7
	v_mov_b32_e32 v2, 0x7f800001
	s_and_saveexec_b64 s[34:35], vcc
	s_cbranch_execz .LBB6_11041
; %bb.11040:                            ;   in Loop: Header=BB6_10567 Depth=3
	v_and_b32_e32 v0, 7, v13
	v_ffbh_u32_e32 v2, v0
	v_min_u32_e32 v2, 32, v2
	v_lshrrev_b32_e32 v1, 3, v7
	v_cmp_gt_u32_e32 vcc, 8, v7
	v_subrev_u32_e32 v7, 28, v2
	v_lshlrev_b64 v[13:14], v7, v[13:14]
	v_sub_u32_e32 v2, 29, v2
	v_and_b32_e32 v7, 7, v13
	v_cndmask_b32_e32 v1, v1, v2, vcc
	v_cndmask_b32_e32 v0, v0, v7, vcc
	v_lshlrev_b32_e32 v2, 16, v12
	v_bfrev_b32_e32 v7, 60
	v_lshlrev_b32_e32 v0, 20, v0
	v_and_b32_e32 v2, 0x80000000, v2
	v_lshl_add_u32 v1, v1, 23, v7
	v_or3_b32 v2, v2, v1, v0
.LBB6_11041:                            ;   in Loop: Header=BB6_10567 Depth=3
	s_or_b64 exec, exec, s[34:35]
.LBB6_11042:                            ;   in Loop: Header=BB6_10567 Depth=3
	s_or_b64 exec, exec, s[30:31]
.LBB6_11043:                            ;   in Loop: Header=BB6_10567 Depth=3
	s_or_b64 exec, exec, s[28:29]
	v_mul_f32_e32 v7, v5, v2
	v_and_b32_e32 v12, 0x7f800000, v7
	v_mov_b32_e32 v13, v51
	v_cmp_ne_u64_e32 vcc, s[76:77], v[12:13]
                                        ; implicit-def: $vgpr0
                                        ; kill: killed $vgpr0
	s_and_saveexec_b64 s[28:29], vcc
	s_xor_b64 s[30:31], exec, s[28:29]
	s_cbranch_execz .LBB6_11057
; %bb.11044:                            ;   in Loop: Header=BB6_10567 Depth=3
	v_and_b32_e32 v12, 0x7fffffff, v7
	v_mov_b32_e32 v13, v51
	v_cmp_gt_u64_e32 vcc, s[78:79], v[12:13]
	v_and_b32_sdwa v2, v7, s96 dst_sel:DWORD dst_unused:UNUSED_PAD src0_sel:BYTE_3 src1_sel:DWORD
                                        ; implicit-def: $vgpr0
                                        ; kill: killed $vgpr0
	s_and_saveexec_b64 s[28:29], vcc
	s_xor_b64 s[34:35], exec, s[28:29]
	s_cbranch_execz .LBB6_11054
; %bb.11045:                            ;   in Loop: Header=BB6_10567 Depth=3
	v_mov_b32_e32 v0, 0
	v_cmp_ne_u32_e32 vcc, 0, v7
	buffer_store_dword v0, off, s[0:3], s33 offset:240 ; 4-byte Folded Spill
	s_and_saveexec_b64 s[36:37], vcc
	s_cbranch_execz .LBB6_11053
; %bb.11046:                            ;   in Loop: Header=BB6_10567 Depth=3
	v_and_b32_e32 v0, 0x7fffff, v7
	v_bfe_u32 v7, v7, 23, 8
	v_cmp_gt_u32_e64 s[28:29], s97, v7
	v_sub_u32_e32 v1, 0x79, v7
	v_cmp_eq_u32_e32 vcc, 0, v7
	v_cndmask_b32_e64 v1, 0, v1, s[28:29]
	v_mov_b32_e32 v13, 0x78
	v_or_b32_e32 v12, 0x800000, v0
	v_cndmask_b32_e32 v15, v1, v13, vcc
	v_cndmask_b32_e32 v12, v12, v0, vcc
	v_add_u32_e32 v0, 20, v15
	v_lshlrev_b64 v[16:17], v0, -1
	v_mov_b32_e32 v13, v51
	v_add_u32_e32 v0, 19, v15
	v_bfi_b32 v16, v16, 0, v12
	v_lshlrev_b64 v[18:19], v0, 1
	v_lshrrev_b64 v[12:13], v15, v[12:13]
	v_bfi_b32 v17, v17, 0, 0
	v_cmp_eq_u64_e64 s[28:29], v[16:17], v[18:19]
	v_mov_b32_e32 v14, v13
	v_mov_b32_e32 v13, v12
	s_and_saveexec_b64 s[38:39], s[28:29]
; %bb.11047:                            ;   in Loop: Header=BB6_10567 Depth=3
	v_bfe_u32 v0, v12, 20, 1
	v_add_co_u32_e64 v0, s[28:29], v12, v0
	v_add_co_u32_e64 v13, s[28:29], -1, v0
; %bb.11048:                            ;   in Loop: Header=BB6_10567 Depth=3
	s_or_b64 exec, exec, s[38:39]
	v_add_u32_e32 v0, 0xffffff81, v7
	v_mov_b32_e32 v1, 0xffffff82
	v_cndmask_b32_e32 v0, v0, v1, vcc
	v_lshrrev_b32_e32 v1, 23, v12
	v_add3_u32 v15, v15, v0, v1
	v_add_u32_e32 v14, 6, v15
	v_and_b32_e32 v0, 0xfffff, v13
	v_add_u32_e32 v12, v0, v12
	v_mov_b32_e32 v13, v51
	v_cmp_ne_u32_e32 vcc, 0, v14
                                        ; implicit-def: $vgpr7
	s_and_saveexec_b64 s[28:29], vcc
	s_xor_b64 s[28:29], exec, s[28:29]
; %bb.11049:                            ;   in Loop: Header=BB6_10567 Depth=3
	v_cmp_lt_u64_e32 vcc, s[88:89], v[12:13]
	v_add_u32_e32 v0, 7, v15
	v_cndmask_b32_e32 v7, v14, v0, vcc
	v_cndmask_b32_e64 v0, 0, 1, vcc
	v_lshrrev_b64 v[12:13], v0, v[12:13]
; %bb.11050:                            ;   in Loop: Header=BB6_10567 Depth=3
	s_andn2_saveexec_b64 s[28:29], s[28:29]
; %bb.11051:                            ;   in Loop: Header=BB6_10567 Depth=3
	v_bfe_u32 v7, v12, 23, 1
; %bb.11052:                            ;   in Loop: Header=BB6_10567 Depth=3
	s_or_b64 exec, exec, s[28:29]
	v_lshrrev_b64 v[12:13], 20, v[12:13]
	v_cmp_gt_i32_e32 vcc, 16, v7
	v_cndmask_b32_e32 v13, 0, v13, vcc
	v_cndmask_b32_e32 v12, 7, v12, vcc
	v_min_i32_e32 v0, 15, v7
	v_cmp_eq_u64_e64 s[28:29], 0, v[12:13]
	v_lshlrev_b32_e32 v0, 3, v0
	v_cmp_eq_u32_e32 vcc, 0, v7
	v_and_b32_e32 v0, 0xf8, v0
	v_and_or_b32 v0, v12, 7, v0
	s_and_b64 s[28:29], vcc, s[28:29]
	v_cndmask_b32_e64 v0, v0, 0, s[28:29]
	v_or_b32_e32 v0, v0, v2
	buffer_store_dword v0, off, s[0:3], s33 offset:240 ; 4-byte Folded Spill
.LBB6_11053:                            ;   in Loop: Header=BB6_10567 Depth=3
	s_or_b64 exec, exec, s[36:37]
                                        ; implicit-def: $vgpr2
.LBB6_11054:                            ;   in Loop: Header=BB6_10567 Depth=3
	s_andn2_saveexec_b64 s[28:29], s[34:35]
	s_cbranch_execz .LBB6_11056
; %bb.11055:                            ;   in Loop: Header=BB6_10567 Depth=3
	v_or_b32_e32 v0, 0x7e, v2
	buffer_store_dword v0, off, s[0:3], s33 offset:240 ; 4-byte Folded Spill
.LBB6_11056:                            ;   in Loop: Header=BB6_10567 Depth=3
	s_or_b64 exec, exec, s[28:29]
                                        ; implicit-def: $vgpr7
.LBB6_11057:                            ;   in Loop: Header=BB6_10567 Depth=3
	s_andn2_saveexec_b64 s[28:29], s[30:31]
	s_cbranch_execz .LBB6_11059
; %bb.11058:                            ;   in Loop: Header=BB6_10567 Depth=3
	v_or_b32_sdwa v0, v7, s86 dst_sel:DWORD dst_unused:UNUSED_PAD src0_sel:BYTE_3 src1_sel:DWORD
	buffer_store_dword v0, off, s[0:3], s33 offset:240 ; 4-byte Folded Spill
.LBB6_11059:                            ;   in Loop: Header=BB6_10567 Depth=3
	s_or_b64 exec, exec, s[28:29]
	v_lshrrev_b32_e32 v12, 16, v9
	v_cmp_ne_u16_sdwa vcc, v12, v51 src0_sel:BYTE_0 src1_sel:DWORD
	v_mov_b32_e32 v2, 0
	s_and_saveexec_b64 s[28:29], vcc
	s_cbranch_execz .LBB6_11065
; %bb.11060:                            ;   in Loop: Header=BB6_10567 Depth=3
	v_cmp_ne_u16_sdwa vcc, v12, s96 src0_sel:BYTE_0 src1_sel:DWORD
	v_bfrev_b32_e32 v2, 1
	s_and_saveexec_b64 s[30:31], vcc
	s_cbranch_execz .LBB6_11064
; %bb.11061:                            ;   in Loop: Header=BB6_10567 Depth=3
	v_bfe_u32 v7, v9, 16, 7
	v_cmp_ne_u32_e32 vcc, s86, v7
	v_mov_b32_e32 v2, 0x7f800001
	s_and_saveexec_b64 s[34:35], vcc
	s_cbranch_execz .LBB6_11063
; %bb.11062:                            ;   in Loop: Header=BB6_10567 Depth=3
	v_and_b32_e32 v0, 7, v12
	v_ffbh_u32_e32 v2, v0
	v_min_u32_e32 v2, 32, v2
	v_lshrrev_b32_e32 v1, 3, v7
	v_cmp_gt_u32_e32 vcc, 8, v7
	v_subrev_u32_e32 v7, 28, v2
	v_lshlrev_b64 v[13:14], v7, v[12:13]
	v_sub_u32_e32 v2, 29, v2
	v_and_b32_e32 v7, 7, v13
	v_cndmask_b32_e32 v1, v1, v2, vcc
	v_cndmask_b32_e32 v0, v0, v7, vcc
	v_lshlrev_b32_e32 v2, 24, v12
	v_bfrev_b32_e32 v7, 60
	v_lshlrev_b32_e32 v0, 20, v0
	v_and_b32_e32 v2, 0x80000000, v2
	v_lshl_add_u32 v1, v1, 23, v7
	v_or3_b32 v2, v2, v1, v0
.LBB6_11063:                            ;   in Loop: Header=BB6_10567 Depth=3
	s_or_b64 exec, exec, s[34:35]
.LBB6_11064:                            ;   in Loop: Header=BB6_10567 Depth=3
	s_or_b64 exec, exec, s[30:31]
.LBB6_11065:                            ;   in Loop: Header=BB6_10567 Depth=3
	s_or_b64 exec, exec, s[28:29]
	v_mul_f32_e32 v7, v5, v2
	v_and_b32_e32 v12, 0x7f800000, v7
	v_mov_b32_e32 v13, v51
	v_cmp_ne_u64_e32 vcc, s[76:77], v[12:13]
                                        ; implicit-def: $vgpr0
                                        ; kill: killed $vgpr0
	s_and_saveexec_b64 s[28:29], vcc
	s_xor_b64 s[30:31], exec, s[28:29]
	s_cbranch_execz .LBB6_11079
; %bb.11066:                            ;   in Loop: Header=BB6_10567 Depth=3
	v_and_b32_e32 v12, 0x7fffffff, v7
	v_mov_b32_e32 v13, v51
	v_cmp_gt_u64_e32 vcc, s[78:79], v[12:13]
	v_and_b32_sdwa v2, v7, s96 dst_sel:DWORD dst_unused:UNUSED_PAD src0_sel:BYTE_3 src1_sel:DWORD
                                        ; implicit-def: $vgpr0
                                        ; kill: killed $vgpr0
	s_and_saveexec_b64 s[28:29], vcc
	s_xor_b64 s[34:35], exec, s[28:29]
	s_cbranch_execz .LBB6_11076
; %bb.11067:                            ;   in Loop: Header=BB6_10567 Depth=3
	v_mov_b32_e32 v0, 0
	v_cmp_ne_u32_e32 vcc, 0, v7
	buffer_store_dword v0, off, s[0:3], s33 offset:260 ; 4-byte Folded Spill
	s_and_saveexec_b64 s[36:37], vcc
	s_cbranch_execz .LBB6_11075
; %bb.11068:                            ;   in Loop: Header=BB6_10567 Depth=3
	v_and_b32_e32 v0, 0x7fffff, v7
	v_bfe_u32 v7, v7, 23, 8
	v_cmp_gt_u32_e64 s[28:29], s97, v7
	v_sub_u32_e32 v1, 0x79, v7
	v_cmp_eq_u32_e32 vcc, 0, v7
	v_cndmask_b32_e64 v1, 0, v1, s[28:29]
	v_mov_b32_e32 v13, 0x78
	v_or_b32_e32 v12, 0x800000, v0
	v_cndmask_b32_e32 v15, v1, v13, vcc
	v_cndmask_b32_e32 v12, v12, v0, vcc
	v_add_u32_e32 v0, 20, v15
	v_lshlrev_b64 v[16:17], v0, -1
	v_mov_b32_e32 v13, v51
	v_add_u32_e32 v0, 19, v15
	v_bfi_b32 v16, v16, 0, v12
	v_lshlrev_b64 v[18:19], v0, 1
	v_lshrrev_b64 v[12:13], v15, v[12:13]
	v_bfi_b32 v17, v17, 0, 0
	v_cmp_eq_u64_e64 s[28:29], v[16:17], v[18:19]
	v_mov_b32_e32 v14, v13
	v_mov_b32_e32 v13, v12
	s_and_saveexec_b64 s[38:39], s[28:29]
; %bb.11069:                            ;   in Loop: Header=BB6_10567 Depth=3
	v_bfe_u32 v0, v12, 20, 1
	v_add_co_u32_e64 v0, s[28:29], v12, v0
	v_add_co_u32_e64 v13, s[28:29], -1, v0
; %bb.11070:                            ;   in Loop: Header=BB6_10567 Depth=3
	s_or_b64 exec, exec, s[38:39]
	v_add_u32_e32 v0, 0xffffff81, v7
	v_mov_b32_e32 v1, 0xffffff82
	v_cndmask_b32_e32 v0, v0, v1, vcc
	v_lshrrev_b32_e32 v1, 23, v12
	v_add3_u32 v15, v15, v0, v1
	v_add_u32_e32 v14, 6, v15
	v_and_b32_e32 v0, 0xfffff, v13
	v_add_u32_e32 v12, v0, v12
	v_mov_b32_e32 v13, v51
	v_cmp_ne_u32_e32 vcc, 0, v14
                                        ; implicit-def: $vgpr7
	s_and_saveexec_b64 s[28:29], vcc
	s_xor_b64 s[28:29], exec, s[28:29]
; %bb.11071:                            ;   in Loop: Header=BB6_10567 Depth=3
	v_cmp_lt_u64_e32 vcc, s[88:89], v[12:13]
	v_add_u32_e32 v0, 7, v15
	v_cndmask_b32_e32 v7, v14, v0, vcc
	v_cndmask_b32_e64 v0, 0, 1, vcc
	v_lshrrev_b64 v[12:13], v0, v[12:13]
; %bb.11072:                            ;   in Loop: Header=BB6_10567 Depth=3
	s_andn2_saveexec_b64 s[28:29], s[28:29]
; %bb.11073:                            ;   in Loop: Header=BB6_10567 Depth=3
	v_bfe_u32 v7, v12, 23, 1
; %bb.11074:                            ;   in Loop: Header=BB6_10567 Depth=3
	s_or_b64 exec, exec, s[28:29]
	v_lshrrev_b64 v[12:13], 20, v[12:13]
	v_cmp_gt_i32_e32 vcc, 16, v7
	v_cndmask_b32_e32 v13, 0, v13, vcc
	v_cndmask_b32_e32 v12, 7, v12, vcc
	v_min_i32_e32 v0, 15, v7
	v_cmp_eq_u64_e64 s[28:29], 0, v[12:13]
	v_lshlrev_b32_e32 v0, 3, v0
	v_cmp_eq_u32_e32 vcc, 0, v7
	v_and_b32_e32 v0, 0xf8, v0
	v_and_or_b32 v0, v12, 7, v0
	s_and_b64 s[28:29], vcc, s[28:29]
	v_cndmask_b32_e64 v0, v0, 0, s[28:29]
	v_or_b32_e32 v0, v0, v2
	buffer_store_dword v0, off, s[0:3], s33 offset:260 ; 4-byte Folded Spill
.LBB6_11075:                            ;   in Loop: Header=BB6_10567 Depth=3
	s_or_b64 exec, exec, s[36:37]
                                        ; implicit-def: $vgpr2
.LBB6_11076:                            ;   in Loop: Header=BB6_10567 Depth=3
	s_andn2_saveexec_b64 s[28:29], s[34:35]
	s_cbranch_execz .LBB6_11078
; %bb.11077:                            ;   in Loop: Header=BB6_10567 Depth=3
	v_or_b32_e32 v0, 0x7e, v2
	buffer_store_dword v0, off, s[0:3], s33 offset:260 ; 4-byte Folded Spill
.LBB6_11078:                            ;   in Loop: Header=BB6_10567 Depth=3
	s_or_b64 exec, exec, s[28:29]
                                        ; implicit-def: $vgpr7
.LBB6_11079:                            ;   in Loop: Header=BB6_10567 Depth=3
	s_andn2_saveexec_b64 s[28:29], s[30:31]
	s_cbranch_execz .LBB6_11081
; %bb.11080:                            ;   in Loop: Header=BB6_10567 Depth=3
	v_or_b32_sdwa v0, v7, s86 dst_sel:DWORD dst_unused:UNUSED_PAD src0_sel:BYTE_3 src1_sel:DWORD
	buffer_store_dword v0, off, s[0:3], s33 offset:260 ; 4-byte Folded Spill
.LBB6_11081:                            ;   in Loop: Header=BB6_10567 Depth=3
	s_or_b64 exec, exec, s[28:29]
	v_cmp_lt_u64_e32 vcc, s[56:57], v[8:9]
	v_mov_b32_e32 v2, 0
	s_and_saveexec_b64 s[28:29], vcc
	s_cbranch_execz .LBB6_11087
; %bb.11082:                            ;   in Loop: Header=BB6_10567 Depth=3
	v_lshrrev_b32_e32 v8, 24, v9
	v_cmp_ne_u32_e32 vcc, s96, v8
	v_bfrev_b32_e32 v2, 1
	s_and_saveexec_b64 s[30:31], vcc
	s_cbranch_execz .LBB6_11086
; %bb.11083:                            ;   in Loop: Header=BB6_10567 Depth=3
	v_bfe_u32 v7, v9, 24, 7
	v_cmp_ne_u32_e32 vcc, s86, v7
	v_mov_b32_e32 v2, 0x7f800001
	s_and_saveexec_b64 s[34:35], vcc
	s_cbranch_execz .LBB6_11085
; %bb.11084:                            ;   in Loop: Header=BB6_10567 Depth=3
	v_and_b32_e32 v0, 7, v8
	v_ffbh_u32_e32 v2, v0
	v_min_u32_e32 v2, 32, v2
	v_lshrrev_b32_e32 v1, 3, v7
	v_cmp_gt_u32_e32 vcc, 8, v7
	v_subrev_u32_e32 v7, 28, v2
	v_lshlrev_b64 v[12:13], v7, v[8:9]
	v_sub_u32_e32 v2, 29, v2
	v_and_b32_e32 v7, 7, v12
	v_cndmask_b32_e32 v1, v1, v2, vcc
	v_cndmask_b32_e32 v0, v0, v7, vcc
	v_lshlrev_b32_e32 v2, 24, v8
	v_bfrev_b32_e32 v7, 60
	v_lshlrev_b32_e32 v0, 20, v0
	v_and_b32_e32 v2, 0x80000000, v2
	v_lshl_add_u32 v1, v1, 23, v7
	v_or3_b32 v2, v2, v1, v0
.LBB6_11085:                            ;   in Loop: Header=BB6_10567 Depth=3
	s_or_b64 exec, exec, s[34:35]
.LBB6_11086:                            ;   in Loop: Header=BB6_10567 Depth=3
	s_or_b64 exec, exec, s[30:31]
.LBB6_11087:                            ;   in Loop: Header=BB6_10567 Depth=3
	s_or_b64 exec, exec, s[28:29]
	v_mul_f32_e32 v7, v5, v2
	v_and_b32_e32 v8, 0x7f800000, v7
	v_mov_b32_e32 v9, v51
	v_cmp_ne_u64_e32 vcc, s[76:77], v[8:9]
                                        ; implicit-def: $vgpr0
                                        ; kill: killed $vgpr0
	s_and_saveexec_b64 s[28:29], vcc
	s_xor_b64 s[30:31], exec, s[28:29]
	s_cbranch_execz .LBB6_11101
; %bb.11088:                            ;   in Loop: Header=BB6_10567 Depth=3
	v_and_b32_e32 v8, 0x7fffffff, v7
	v_mov_b32_e32 v9, v51
	v_cmp_gt_u64_e32 vcc, s[78:79], v[8:9]
	v_and_b32_sdwa v2, v7, s96 dst_sel:DWORD dst_unused:UNUSED_PAD src0_sel:BYTE_3 src1_sel:DWORD
                                        ; implicit-def: $vgpr0
                                        ; kill: killed $vgpr0
	s_and_saveexec_b64 s[28:29], vcc
	s_xor_b64 s[34:35], exec, s[28:29]
	s_cbranch_execz .LBB6_11098
; %bb.11089:                            ;   in Loop: Header=BB6_10567 Depth=3
	v_mov_b32_e32 v0, 0
	v_cmp_ne_u32_e32 vcc, 0, v7
	buffer_store_dword v0, off, s[0:3], s33 offset:276 ; 4-byte Folded Spill
	s_and_saveexec_b64 s[36:37], vcc
	s_cbranch_execz .LBB6_11097
; %bb.11090:                            ;   in Loop: Header=BB6_10567 Depth=3
	v_and_b32_e32 v0, 0x7fffff, v7
	v_bfe_u32 v7, v7, 23, 8
	v_cmp_gt_u32_e64 s[28:29], s97, v7
	v_sub_u32_e32 v1, 0x79, v7
	v_cmp_eq_u32_e32 vcc, 0, v7
	v_cndmask_b32_e64 v1, 0, v1, s[28:29]
	v_mov_b32_e32 v9, 0x78
	v_or_b32_e32 v8, 0x800000, v0
	v_cndmask_b32_e32 v14, v1, v9, vcc
	v_cndmask_b32_e32 v8, v8, v0, vcc
	v_add_u32_e32 v0, 20, v14
	v_lshlrev_b64 v[12:13], v0, -1
	v_mov_b32_e32 v9, v51
	v_add_u32_e32 v0, 19, v14
	v_bfi_b32 v12, v12, 0, v8
	v_lshlrev_b64 v[15:16], v0, 1
	v_lshrrev_b64 v[8:9], v14, v[8:9]
	v_bfi_b32 v13, v13, 0, 0
	v_cmp_eq_u64_e64 s[28:29], v[12:13], v[15:16]
	v_mov_b32_e32 v13, v9
	v_mov_b32_e32 v12, v8
	s_and_saveexec_b64 s[38:39], s[28:29]
; %bb.11091:                            ;   in Loop: Header=BB6_10567 Depth=3
	v_bfe_u32 v0, v8, 20, 1
	v_add_co_u32_e64 v0, s[28:29], v8, v0
	v_add_co_u32_e64 v12, s[28:29], -1, v0
; %bb.11092:                            ;   in Loop: Header=BB6_10567 Depth=3
	s_or_b64 exec, exec, s[38:39]
	v_add_u32_e32 v0, 0xffffff81, v7
	v_mov_b32_e32 v1, 0xffffff82
	v_cndmask_b32_e32 v0, v0, v1, vcc
	v_lshrrev_b32_e32 v1, 23, v8
	v_add3_u32 v14, v14, v0, v1
	v_add_u32_e32 v13, 6, v14
	v_and_b32_e32 v0, 0xfffff, v12
	v_add_u32_e32 v8, v0, v8
	v_mov_b32_e32 v9, v51
	v_cmp_ne_u32_e32 vcc, 0, v13
                                        ; implicit-def: $vgpr7
	s_and_saveexec_b64 s[28:29], vcc
	s_xor_b64 s[28:29], exec, s[28:29]
; %bb.11093:                            ;   in Loop: Header=BB6_10567 Depth=3
	v_cmp_lt_u64_e32 vcc, s[88:89], v[8:9]
	v_add_u32_e32 v0, 7, v14
	v_cndmask_b32_e32 v7, v13, v0, vcc
	v_cndmask_b32_e64 v0, 0, 1, vcc
	v_lshrrev_b64 v[8:9], v0, v[8:9]
; %bb.11094:                            ;   in Loop: Header=BB6_10567 Depth=3
	s_andn2_saveexec_b64 s[28:29], s[28:29]
; %bb.11095:                            ;   in Loop: Header=BB6_10567 Depth=3
	v_bfe_u32 v7, v8, 23, 1
; %bb.11096:                            ;   in Loop: Header=BB6_10567 Depth=3
	s_or_b64 exec, exec, s[28:29]
	v_lshrrev_b64 v[8:9], 20, v[8:9]
	v_cmp_gt_i32_e32 vcc, 16, v7
	v_cndmask_b32_e32 v9, 0, v9, vcc
	v_cndmask_b32_e32 v8, 7, v8, vcc
	v_min_i32_e32 v0, 15, v7
	v_cmp_eq_u64_e64 s[28:29], 0, v[8:9]
	v_lshlrev_b32_e32 v0, 3, v0
	v_cmp_eq_u32_e32 vcc, 0, v7
	v_and_b32_e32 v0, 0xf8, v0
	v_and_or_b32 v0, v8, 7, v0
	s_and_b64 s[28:29], vcc, s[28:29]
	v_cndmask_b32_e64 v0, v0, 0, s[28:29]
	v_or_b32_e32 v0, v0, v2
	buffer_store_dword v0, off, s[0:3], s33 offset:276 ; 4-byte Folded Spill
.LBB6_11097:                            ;   in Loop: Header=BB6_10567 Depth=3
	s_or_b64 exec, exec, s[36:37]
                                        ; implicit-def: $vgpr2
.LBB6_11098:                            ;   in Loop: Header=BB6_10567 Depth=3
	s_andn2_saveexec_b64 s[28:29], s[34:35]
	s_cbranch_execz .LBB6_11100
; %bb.11099:                            ;   in Loop: Header=BB6_10567 Depth=3
	v_or_b32_e32 v0, 0x7e, v2
	buffer_store_dword v0, off, s[0:3], s33 offset:276 ; 4-byte Folded Spill
.LBB6_11100:                            ;   in Loop: Header=BB6_10567 Depth=3
	s_or_b64 exec, exec, s[28:29]
                                        ; implicit-def: $vgpr7
.LBB6_11101:                            ;   in Loop: Header=BB6_10567 Depth=3
	s_andn2_saveexec_b64 s[28:29], s[30:31]
	s_cbranch_execz .LBB6_11103
; %bb.11102:                            ;   in Loop: Header=BB6_10567 Depth=3
	v_or_b32_sdwa v0, v7, s86 dst_sel:DWORD dst_unused:UNUSED_PAD src0_sel:BYTE_3 src1_sel:DWORD
	buffer_store_dword v0, off, s[0:3], s33 offset:276 ; 4-byte Folded Spill
.LBB6_11103:                            ;   in Loop: Header=BB6_10567 Depth=3
	s_or_b64 exec, exec, s[28:29]
	v_cmp_ne_u16_sdwa vcc, v10, v51 src0_sel:BYTE_0 src1_sel:DWORD
	v_mov_b32_e32 v2, 0
	s_and_saveexec_b64 s[28:29], vcc
	s_cbranch_execz .LBB6_11109
; %bb.11104:                            ;   in Loop: Header=BB6_10567 Depth=3
	v_cmp_ne_u16_sdwa vcc, v10, s96 src0_sel:BYTE_0 src1_sel:DWORD
	v_bfrev_b32_e32 v2, 1
	s_and_saveexec_b64 s[30:31], vcc
	s_cbranch_execz .LBB6_11108
; %bb.11105:                            ;   in Loop: Header=BB6_10567 Depth=3
	v_and_b32_e32 v7, 0x7f, v10
	v_cmp_ne_u32_e32 vcc, s86, v7
	v_mov_b32_e32 v2, 0x7f800001
	s_and_saveexec_b64 s[34:35], vcc
	s_cbranch_execz .LBB6_11107
; %bb.11106:                            ;   in Loop: Header=BB6_10567 Depth=3
	v_and_b32_e32 v0, 7, v10
	v_ffbh_u32_e32 v0, v0
	v_min_u32_e32 v0, 32, v0
	v_lshrrev_b32_e32 v1, 3, v7
	v_cmp_gt_u32_e32 vcc, 8, v7
	v_subrev_u32_e32 v2, 28, v0
	v_sub_u32_e32 v0, 29, v0
	v_cndmask_b32_e32 v0, v1, v0, vcc
	v_cndmask_b32_e32 v1, 0, v2, vcc
	v_lshlrev_b64 v[7:8], v1, v[10:11]
	v_lshlrev_b32_e32 v2, 24, v10
	v_lshlrev_b32_e32 v1, 20, v7
	v_bfrev_b32_e32 v7, 60
	v_and_b32_e32 v1, 0x700000, v1
	v_and_b32_e32 v2, 0x80000000, v2
	v_lshl_add_u32 v0, v0, 23, v7
	v_or3_b32 v2, v2, v0, v1
.LBB6_11107:                            ;   in Loop: Header=BB6_10567 Depth=3
	s_or_b64 exec, exec, s[34:35]
.LBB6_11108:                            ;   in Loop: Header=BB6_10567 Depth=3
	s_or_b64 exec, exec, s[30:31]
.LBB6_11109:                            ;   in Loop: Header=BB6_10567 Depth=3
	s_or_b64 exec, exec, s[28:29]
	v_mul_f32_e32 v7, v5, v2
	v_and_b32_e32 v8, 0x7f800000, v7
	v_mov_b32_e32 v9, v51
	v_cmp_ne_u64_e32 vcc, s[76:77], v[8:9]
                                        ; implicit-def: $vgpr56
	s_and_saveexec_b64 s[28:29], vcc
	s_xor_b64 s[30:31], exec, s[28:29]
	s_cbranch_execz .LBB6_11123
; %bb.11110:                            ;   in Loop: Header=BB6_10567 Depth=3
	v_and_b32_e32 v8, 0x7fffffff, v7
	v_mov_b32_e32 v9, v51
	v_cmp_gt_u64_e32 vcc, s[78:79], v[8:9]
	v_and_b32_sdwa v2, v7, s96 dst_sel:DWORD dst_unused:UNUSED_PAD src0_sel:BYTE_3 src1_sel:DWORD
                                        ; implicit-def: $vgpr56
	s_and_saveexec_b64 s[28:29], vcc
	s_xor_b64 s[34:35], exec, s[28:29]
	s_cbranch_execz .LBB6_11120
; %bb.11111:                            ;   in Loop: Header=BB6_10567 Depth=3
	v_mov_b32_e32 v56, 0
	v_cmp_ne_u32_e32 vcc, 0, v7
	s_and_saveexec_b64 s[36:37], vcc
	s_cbranch_execz .LBB6_11119
; %bb.11112:                            ;   in Loop: Header=BB6_10567 Depth=3
	v_and_b32_e32 v0, 0x7fffff, v7
	v_bfe_u32 v7, v7, 23, 8
	v_cmp_gt_u32_e64 s[28:29], s97, v7
	v_sub_u32_e32 v1, 0x79, v7
	v_cmp_eq_u32_e32 vcc, 0, v7
	v_cndmask_b32_e64 v1, 0, v1, s[28:29]
	v_mov_b32_e32 v9, 0x78
	v_or_b32_e32 v8, 0x800000, v0
	v_cndmask_b32_e32 v14, v1, v9, vcc
	v_cndmask_b32_e32 v8, v8, v0, vcc
	v_add_u32_e32 v0, 20, v14
	v_lshlrev_b64 v[12:13], v0, -1
	v_mov_b32_e32 v9, v51
	v_add_u32_e32 v0, 19, v14
	v_bfi_b32 v12, v12, 0, v8
	v_lshlrev_b64 v[15:16], v0, 1
	v_lshrrev_b64 v[8:9], v14, v[8:9]
	v_bfi_b32 v13, v13, 0, 0
	v_cmp_eq_u64_e64 s[28:29], v[12:13], v[15:16]
	v_mov_b32_e32 v13, v9
	v_mov_b32_e32 v12, v8
	s_and_saveexec_b64 s[38:39], s[28:29]
; %bb.11113:                            ;   in Loop: Header=BB6_10567 Depth=3
	v_bfe_u32 v0, v8, 20, 1
	v_add_co_u32_e64 v0, s[28:29], v8, v0
	v_add_co_u32_e64 v12, s[28:29], -1, v0
; %bb.11114:                            ;   in Loop: Header=BB6_10567 Depth=3
	s_or_b64 exec, exec, s[38:39]
	v_add_u32_e32 v0, 0xffffff81, v7
	v_mov_b32_e32 v1, 0xffffff82
	v_cndmask_b32_e32 v0, v0, v1, vcc
	v_lshrrev_b32_e32 v1, 23, v8
	v_add3_u32 v14, v14, v0, v1
	v_add_u32_e32 v13, 6, v14
	v_and_b32_e32 v0, 0xfffff, v12
	v_add_u32_e32 v8, v0, v8
	v_mov_b32_e32 v9, v51
	v_cmp_ne_u32_e32 vcc, 0, v13
                                        ; implicit-def: $vgpr7
	s_and_saveexec_b64 s[28:29], vcc
	s_xor_b64 s[28:29], exec, s[28:29]
; %bb.11115:                            ;   in Loop: Header=BB6_10567 Depth=3
	v_cmp_lt_u64_e32 vcc, s[88:89], v[8:9]
	v_add_u32_e32 v0, 7, v14
	v_cndmask_b32_e32 v7, v13, v0, vcc
	v_cndmask_b32_e64 v0, 0, 1, vcc
	v_lshrrev_b64 v[8:9], v0, v[8:9]
; %bb.11116:                            ;   in Loop: Header=BB6_10567 Depth=3
	s_andn2_saveexec_b64 s[28:29], s[28:29]
; %bb.11117:                            ;   in Loop: Header=BB6_10567 Depth=3
	v_bfe_u32 v7, v8, 23, 1
; %bb.11118:                            ;   in Loop: Header=BB6_10567 Depth=3
	s_or_b64 exec, exec, s[28:29]
	v_lshrrev_b64 v[8:9], 20, v[8:9]
	v_cmp_gt_i32_e32 vcc, 16, v7
	v_cndmask_b32_e32 v9, 0, v9, vcc
	v_cndmask_b32_e32 v8, 7, v8, vcc
	v_min_i32_e32 v0, 15, v7
	v_cmp_eq_u64_e64 s[28:29], 0, v[8:9]
	v_lshlrev_b32_e32 v0, 3, v0
	v_cmp_eq_u32_e32 vcc, 0, v7
	v_and_b32_e32 v0, 0xf8, v0
	v_and_or_b32 v0, v8, 7, v0
	s_and_b64 s[28:29], vcc, s[28:29]
	v_cndmask_b32_e64 v0, v0, 0, s[28:29]
	v_or_b32_e32 v56, v0, v2
.LBB6_11119:                            ;   in Loop: Header=BB6_10567 Depth=3
	s_or_b64 exec, exec, s[36:37]
                                        ; implicit-def: $vgpr2
.LBB6_11120:                            ;   in Loop: Header=BB6_10567 Depth=3
	s_andn2_saveexec_b64 s[28:29], s[34:35]
; %bb.11121:                            ;   in Loop: Header=BB6_10567 Depth=3
	v_or_b32_e32 v56, 0x7e, v2
; %bb.11122:                            ;   in Loop: Header=BB6_10567 Depth=3
	s_or_b64 exec, exec, s[28:29]
                                        ; implicit-def: $vgpr7
.LBB6_11123:                            ;   in Loop: Header=BB6_10567 Depth=3
	s_andn2_saveexec_b64 s[28:29], s[30:31]
; %bb.11124:                            ;   in Loop: Header=BB6_10567 Depth=3
	v_or_b32_sdwa v56, v7, s86 dst_sel:DWORD dst_unused:UNUSED_PAD src0_sel:BYTE_3 src1_sel:DWORD
; %bb.11125:                            ;   in Loop: Header=BB6_10567 Depth=3
	s_or_b64 exec, exec, s[28:29]
	v_lshrrev_b16_e32 v8, 8, v10
	v_cmp_ne_u16_e32 vcc, 0, v8
	v_mov_b32_e32 v2, 0
	s_and_saveexec_b64 s[28:29], vcc
	s_cbranch_execz .LBB6_11131
; %bb.11126:                            ;   in Loop: Header=BB6_10567 Depth=3
	v_cmp_ne_u16_e32 vcc, s96, v8
	v_bfrev_b32_e32 v2, 1
	s_and_saveexec_b64 s[30:31], vcc
	s_cbranch_execz .LBB6_11130
; %bb.11127:                            ;   in Loop: Header=BB6_10567 Depth=3
	v_and_b32_e32 v7, 0x7f, v8
	v_cmp_ne_u32_e32 vcc, s86, v7
	v_mov_b32_e32 v2, 0x7f800001
	s_and_saveexec_b64 s[34:35], vcc
	s_cbranch_execz .LBB6_11129
; %bb.11128:                            ;   in Loop: Header=BB6_10567 Depth=3
	v_and_b32_e32 v0, 7, v8
	v_ffbh_u32_e32 v2, v0
	v_min_u32_e32 v2, 32, v2
	v_lshrrev_b32_e32 v1, 3, v7
	v_cmp_gt_u32_e32 vcc, 8, v7
	v_subrev_u32_e32 v7, 28, v2
	v_lshlrev_b64 v[7:8], v7, v[8:9]
	v_sub_u32_e32 v2, 29, v2
	v_and_b32_e32 v7, 7, v7
	v_cndmask_b32_e32 v1, v1, v2, vcc
	v_cndmask_b32_e32 v0, v0, v7, vcc
	v_lshlrev_b32_e32 v2, 16, v10
	v_bfrev_b32_e32 v7, 60
	v_lshlrev_b32_e32 v0, 20, v0
	v_and_b32_e32 v2, 0x80000000, v2
	v_lshl_add_u32 v1, v1, 23, v7
	v_or3_b32 v2, v2, v1, v0
.LBB6_11129:                            ;   in Loop: Header=BB6_10567 Depth=3
	s_or_b64 exec, exec, s[34:35]
.LBB6_11130:                            ;   in Loop: Header=BB6_10567 Depth=3
	s_or_b64 exec, exec, s[30:31]
.LBB6_11131:                            ;   in Loop: Header=BB6_10567 Depth=3
	s_or_b64 exec, exec, s[28:29]
	v_mul_f32_e32 v7, v5, v2
	v_and_b32_e32 v8, 0x7f800000, v7
	v_mov_b32_e32 v9, v51
	v_cmp_ne_u64_e32 vcc, s[76:77], v[8:9]
                                        ; implicit-def: $vgpr0
                                        ; kill: killed $vgpr0
	s_and_saveexec_b64 s[28:29], vcc
	s_xor_b64 s[30:31], exec, s[28:29]
	s_cbranch_execz .LBB6_11145
; %bb.11132:                            ;   in Loop: Header=BB6_10567 Depth=3
	v_and_b32_e32 v8, 0x7fffffff, v7
	v_mov_b32_e32 v9, v51
	v_cmp_gt_u64_e32 vcc, s[78:79], v[8:9]
	v_and_b32_sdwa v2, v7, s96 dst_sel:DWORD dst_unused:UNUSED_PAD src0_sel:BYTE_3 src1_sel:DWORD
                                        ; implicit-def: $vgpr0
                                        ; kill: killed $vgpr0
	s_and_saveexec_b64 s[28:29], vcc
	s_xor_b64 s[34:35], exec, s[28:29]
	s_cbranch_execz .LBB6_11142
; %bb.11133:                            ;   in Loop: Header=BB6_10567 Depth=3
	v_mov_b32_e32 v0, 0
	v_cmp_ne_u32_e32 vcc, 0, v7
	buffer_store_dword v0, off, s[0:3], s33 offset:228 ; 4-byte Folded Spill
	s_and_saveexec_b64 s[36:37], vcc
	s_cbranch_execz .LBB6_11141
; %bb.11134:                            ;   in Loop: Header=BB6_10567 Depth=3
	v_and_b32_e32 v0, 0x7fffff, v7
	v_bfe_u32 v7, v7, 23, 8
	v_cmp_gt_u32_e64 s[28:29], s97, v7
	v_sub_u32_e32 v1, 0x79, v7
	v_cmp_eq_u32_e32 vcc, 0, v7
	v_cndmask_b32_e64 v1, 0, v1, s[28:29]
	v_mov_b32_e32 v9, 0x78
	v_or_b32_e32 v8, 0x800000, v0
	v_cndmask_b32_e32 v14, v1, v9, vcc
	v_cndmask_b32_e32 v8, v8, v0, vcc
	v_add_u32_e32 v0, 20, v14
	v_lshlrev_b64 v[12:13], v0, -1
	v_mov_b32_e32 v9, v51
	v_add_u32_e32 v0, 19, v14
	v_bfi_b32 v12, v12, 0, v8
	v_lshlrev_b64 v[15:16], v0, 1
	v_lshrrev_b64 v[8:9], v14, v[8:9]
	v_bfi_b32 v13, v13, 0, 0
	v_cmp_eq_u64_e64 s[28:29], v[12:13], v[15:16]
	v_mov_b32_e32 v13, v9
	v_mov_b32_e32 v12, v8
	s_and_saveexec_b64 s[38:39], s[28:29]
; %bb.11135:                            ;   in Loop: Header=BB6_10567 Depth=3
	v_bfe_u32 v0, v8, 20, 1
	v_add_co_u32_e64 v0, s[28:29], v8, v0
	v_add_co_u32_e64 v12, s[28:29], -1, v0
; %bb.11136:                            ;   in Loop: Header=BB6_10567 Depth=3
	s_or_b64 exec, exec, s[38:39]
	v_add_u32_e32 v0, 0xffffff81, v7
	v_mov_b32_e32 v1, 0xffffff82
	v_cndmask_b32_e32 v0, v0, v1, vcc
	v_lshrrev_b32_e32 v1, 23, v8
	v_add3_u32 v14, v14, v0, v1
	v_add_u32_e32 v13, 6, v14
	v_and_b32_e32 v0, 0xfffff, v12
	v_add_u32_e32 v8, v0, v8
	v_mov_b32_e32 v9, v51
	v_cmp_ne_u32_e32 vcc, 0, v13
                                        ; implicit-def: $vgpr7
	s_and_saveexec_b64 s[28:29], vcc
	s_xor_b64 s[28:29], exec, s[28:29]
; %bb.11137:                            ;   in Loop: Header=BB6_10567 Depth=3
	v_cmp_lt_u64_e32 vcc, s[88:89], v[8:9]
	v_add_u32_e32 v0, 7, v14
	v_cndmask_b32_e32 v7, v13, v0, vcc
	v_cndmask_b32_e64 v0, 0, 1, vcc
	v_lshrrev_b64 v[8:9], v0, v[8:9]
; %bb.11138:                            ;   in Loop: Header=BB6_10567 Depth=3
	s_andn2_saveexec_b64 s[28:29], s[28:29]
; %bb.11139:                            ;   in Loop: Header=BB6_10567 Depth=3
	v_bfe_u32 v7, v8, 23, 1
; %bb.11140:                            ;   in Loop: Header=BB6_10567 Depth=3
	s_or_b64 exec, exec, s[28:29]
	v_lshrrev_b64 v[8:9], 20, v[8:9]
	v_cmp_gt_i32_e32 vcc, 16, v7
	v_cndmask_b32_e32 v9, 0, v9, vcc
	v_cndmask_b32_e32 v8, 7, v8, vcc
	v_min_i32_e32 v0, 15, v7
	v_cmp_eq_u64_e64 s[28:29], 0, v[8:9]
	v_lshlrev_b32_e32 v0, 3, v0
	v_cmp_eq_u32_e32 vcc, 0, v7
	v_and_b32_e32 v0, 0xf8, v0
	v_and_or_b32 v0, v8, 7, v0
	s_and_b64 s[28:29], vcc, s[28:29]
	v_cndmask_b32_e64 v0, v0, 0, s[28:29]
	v_or_b32_e32 v0, v0, v2
	buffer_store_dword v0, off, s[0:3], s33 offset:228 ; 4-byte Folded Spill
.LBB6_11141:                            ;   in Loop: Header=BB6_10567 Depth=3
	s_or_b64 exec, exec, s[36:37]
                                        ; implicit-def: $vgpr2
.LBB6_11142:                            ;   in Loop: Header=BB6_10567 Depth=3
	s_andn2_saveexec_b64 s[28:29], s[34:35]
	s_cbranch_execz .LBB6_11144
; %bb.11143:                            ;   in Loop: Header=BB6_10567 Depth=3
	v_or_b32_e32 v0, 0x7e, v2
	buffer_store_dword v0, off, s[0:3], s33 offset:228 ; 4-byte Folded Spill
.LBB6_11144:                            ;   in Loop: Header=BB6_10567 Depth=3
	s_or_b64 exec, exec, s[28:29]
                                        ; implicit-def: $vgpr7
.LBB6_11145:                            ;   in Loop: Header=BB6_10567 Depth=3
	s_andn2_saveexec_b64 s[28:29], s[30:31]
	s_cbranch_execz .LBB6_11147
; %bb.11146:                            ;   in Loop: Header=BB6_10567 Depth=3
	v_or_b32_sdwa v0, v7, s86 dst_sel:DWORD dst_unused:UNUSED_PAD src0_sel:BYTE_3 src1_sel:DWORD
	buffer_store_dword v0, off, s[0:3], s33 offset:228 ; 4-byte Folded Spill
.LBB6_11147:                            ;   in Loop: Header=BB6_10567 Depth=3
	s_or_b64 exec, exec, s[28:29]
	v_lshrrev_b32_e32 v8, 16, v10
	v_cmp_ne_u16_sdwa vcc, v8, v51 src0_sel:BYTE_0 src1_sel:DWORD
	v_mov_b32_e32 v2, 0
	s_and_saveexec_b64 s[28:29], vcc
	s_cbranch_execz .LBB6_11153
; %bb.11148:                            ;   in Loop: Header=BB6_10567 Depth=3
	v_cmp_ne_u16_sdwa vcc, v8, s96 src0_sel:BYTE_0 src1_sel:DWORD
	v_bfrev_b32_e32 v2, 1
	s_and_saveexec_b64 s[30:31], vcc
	s_cbranch_execz .LBB6_11152
; %bb.11149:                            ;   in Loop: Header=BB6_10567 Depth=3
	v_bfe_u32 v7, v10, 16, 7
	v_cmp_ne_u32_e32 vcc, s86, v7
	v_mov_b32_e32 v2, 0x7f800001
	s_and_saveexec_b64 s[34:35], vcc
	s_cbranch_execz .LBB6_11151
; %bb.11150:                            ;   in Loop: Header=BB6_10567 Depth=3
	v_and_b32_e32 v0, 7, v8
	v_ffbh_u32_e32 v2, v0
	v_min_u32_e32 v2, 32, v2
	v_lshrrev_b32_e32 v1, 3, v7
	v_cmp_gt_u32_e32 vcc, 8, v7
	v_subrev_u32_e32 v7, 28, v2
	v_lshlrev_b64 v[12:13], v7, v[8:9]
	v_sub_u32_e32 v2, 29, v2
	v_and_b32_e32 v7, 7, v12
	v_cndmask_b32_e32 v1, v1, v2, vcc
	v_cndmask_b32_e32 v0, v0, v7, vcc
	v_lshlrev_b32_e32 v2, 24, v8
	v_bfrev_b32_e32 v7, 60
	v_lshlrev_b32_e32 v0, 20, v0
	v_and_b32_e32 v2, 0x80000000, v2
	v_lshl_add_u32 v1, v1, 23, v7
	v_or3_b32 v2, v2, v1, v0
.LBB6_11151:                            ;   in Loop: Header=BB6_10567 Depth=3
	s_or_b64 exec, exec, s[34:35]
.LBB6_11152:                            ;   in Loop: Header=BB6_10567 Depth=3
	s_or_b64 exec, exec, s[30:31]
.LBB6_11153:                            ;   in Loop: Header=BB6_10567 Depth=3
	s_or_b64 exec, exec, s[28:29]
	v_mul_f32_e32 v7, v5, v2
	v_and_b32_e32 v8, 0x7f800000, v7
	v_mov_b32_e32 v9, v51
	v_cmp_ne_u64_e32 vcc, s[76:77], v[8:9]
                                        ; implicit-def: $vgpr0
                                        ; kill: killed $vgpr0
	s_and_saveexec_b64 s[28:29], vcc
	s_xor_b64 s[30:31], exec, s[28:29]
	s_cbranch_execz .LBB6_11167
; %bb.11154:                            ;   in Loop: Header=BB6_10567 Depth=3
	v_and_b32_e32 v8, 0x7fffffff, v7
	v_mov_b32_e32 v9, v51
	v_cmp_gt_u64_e32 vcc, s[78:79], v[8:9]
	v_and_b32_sdwa v2, v7, s96 dst_sel:DWORD dst_unused:UNUSED_PAD src0_sel:BYTE_3 src1_sel:DWORD
                                        ; implicit-def: $vgpr0
                                        ; kill: killed $vgpr0
	s_and_saveexec_b64 s[28:29], vcc
	s_xor_b64 s[34:35], exec, s[28:29]
	s_cbranch_execz .LBB6_11164
; %bb.11155:                            ;   in Loop: Header=BB6_10567 Depth=3
	v_mov_b32_e32 v0, 0
	v_cmp_ne_u32_e32 vcc, 0, v7
	buffer_store_dword v0, off, s[0:3], s33 offset:248 ; 4-byte Folded Spill
	s_and_saveexec_b64 s[36:37], vcc
	s_cbranch_execz .LBB6_11163
; %bb.11156:                            ;   in Loop: Header=BB6_10567 Depth=3
	v_and_b32_e32 v0, 0x7fffff, v7
	v_bfe_u32 v7, v7, 23, 8
	v_cmp_gt_u32_e64 s[28:29], s97, v7
	v_sub_u32_e32 v1, 0x79, v7
	v_cmp_eq_u32_e32 vcc, 0, v7
	v_cndmask_b32_e64 v1, 0, v1, s[28:29]
	v_mov_b32_e32 v9, 0x78
	v_or_b32_e32 v8, 0x800000, v0
	v_cndmask_b32_e32 v14, v1, v9, vcc
	v_cndmask_b32_e32 v8, v8, v0, vcc
	v_add_u32_e32 v0, 20, v14
	v_lshlrev_b64 v[12:13], v0, -1
	v_mov_b32_e32 v9, v51
	v_add_u32_e32 v0, 19, v14
	v_bfi_b32 v12, v12, 0, v8
	v_lshlrev_b64 v[15:16], v0, 1
	v_lshrrev_b64 v[8:9], v14, v[8:9]
	v_bfi_b32 v13, v13, 0, 0
	v_cmp_eq_u64_e64 s[28:29], v[12:13], v[15:16]
	v_mov_b32_e32 v13, v9
	v_mov_b32_e32 v12, v8
	s_and_saveexec_b64 s[38:39], s[28:29]
; %bb.11157:                            ;   in Loop: Header=BB6_10567 Depth=3
	v_bfe_u32 v0, v8, 20, 1
	v_add_co_u32_e64 v0, s[28:29], v8, v0
	v_add_co_u32_e64 v12, s[28:29], -1, v0
; %bb.11158:                            ;   in Loop: Header=BB6_10567 Depth=3
	s_or_b64 exec, exec, s[38:39]
	v_add_u32_e32 v0, 0xffffff81, v7
	v_mov_b32_e32 v1, 0xffffff82
	v_cndmask_b32_e32 v0, v0, v1, vcc
	v_lshrrev_b32_e32 v1, 23, v8
	v_add3_u32 v14, v14, v0, v1
	v_add_u32_e32 v13, 6, v14
	v_and_b32_e32 v0, 0xfffff, v12
	v_add_u32_e32 v8, v0, v8
	v_mov_b32_e32 v9, v51
	v_cmp_ne_u32_e32 vcc, 0, v13
                                        ; implicit-def: $vgpr7
	s_and_saveexec_b64 s[28:29], vcc
	s_xor_b64 s[28:29], exec, s[28:29]
; %bb.11159:                            ;   in Loop: Header=BB6_10567 Depth=3
	v_cmp_lt_u64_e32 vcc, s[88:89], v[8:9]
	v_add_u32_e32 v0, 7, v14
	v_cndmask_b32_e32 v7, v13, v0, vcc
	v_cndmask_b32_e64 v0, 0, 1, vcc
	v_lshrrev_b64 v[8:9], v0, v[8:9]
; %bb.11160:                            ;   in Loop: Header=BB6_10567 Depth=3
	s_andn2_saveexec_b64 s[28:29], s[28:29]
; %bb.11161:                            ;   in Loop: Header=BB6_10567 Depth=3
	v_bfe_u32 v7, v8, 23, 1
; %bb.11162:                            ;   in Loop: Header=BB6_10567 Depth=3
	s_or_b64 exec, exec, s[28:29]
	v_lshrrev_b64 v[8:9], 20, v[8:9]
	v_cmp_gt_i32_e32 vcc, 16, v7
	v_cndmask_b32_e32 v9, 0, v9, vcc
	v_cndmask_b32_e32 v8, 7, v8, vcc
	v_min_i32_e32 v0, 15, v7
	v_cmp_eq_u64_e64 s[28:29], 0, v[8:9]
	v_lshlrev_b32_e32 v0, 3, v0
	v_cmp_eq_u32_e32 vcc, 0, v7
	v_and_b32_e32 v0, 0xf8, v0
	v_and_or_b32 v0, v8, 7, v0
	s_and_b64 s[28:29], vcc, s[28:29]
	v_cndmask_b32_e64 v0, v0, 0, s[28:29]
	v_or_b32_e32 v0, v0, v2
	buffer_store_dword v0, off, s[0:3], s33 offset:248 ; 4-byte Folded Spill
.LBB6_11163:                            ;   in Loop: Header=BB6_10567 Depth=3
	s_or_b64 exec, exec, s[36:37]
                                        ; implicit-def: $vgpr2
.LBB6_11164:                            ;   in Loop: Header=BB6_10567 Depth=3
	s_andn2_saveexec_b64 s[28:29], s[34:35]
	s_cbranch_execz .LBB6_11166
; %bb.11165:                            ;   in Loop: Header=BB6_10567 Depth=3
	v_or_b32_e32 v0, 0x7e, v2
	buffer_store_dword v0, off, s[0:3], s33 offset:248 ; 4-byte Folded Spill
.LBB6_11166:                            ;   in Loop: Header=BB6_10567 Depth=3
	s_or_b64 exec, exec, s[28:29]
                                        ; implicit-def: $vgpr7
.LBB6_11167:                            ;   in Loop: Header=BB6_10567 Depth=3
	s_andn2_saveexec_b64 s[28:29], s[30:31]
	s_cbranch_execz .LBB6_11169
; %bb.11168:                            ;   in Loop: Header=BB6_10567 Depth=3
	v_or_b32_sdwa v0, v7, s86 dst_sel:DWORD dst_unused:UNUSED_PAD src0_sel:BYTE_3 src1_sel:DWORD
	buffer_store_dword v0, off, s[0:3], s33 offset:248 ; 4-byte Folded Spill
.LBB6_11169:                            ;   in Loop: Header=BB6_10567 Depth=3
	s_or_b64 exec, exec, s[28:29]
	v_cmp_lt_u32_e32 vcc, s57, v10
	v_mov_b32_e32 v2, 0
	s_and_saveexec_b64 s[28:29], vcc
	s_cbranch_execz .LBB6_11175
; %bb.11170:                            ;   in Loop: Header=BB6_10567 Depth=3
	v_lshrrev_b32_e32 v8, 24, v10
	v_cmp_ne_u32_e32 vcc, s96, v8
	v_bfrev_b32_e32 v2, 1
	s_and_saveexec_b64 s[30:31], vcc
	s_cbranch_execz .LBB6_11174
; %bb.11171:                            ;   in Loop: Header=BB6_10567 Depth=3
	v_bfe_u32 v7, v10, 24, 7
	v_cmp_ne_u32_e32 vcc, s86, v7
	v_mov_b32_e32 v2, 0x7f800001
	s_and_saveexec_b64 s[34:35], vcc
	s_cbranch_execz .LBB6_11173
; %bb.11172:                            ;   in Loop: Header=BB6_10567 Depth=3
	v_and_b32_e32 v0, 7, v8
	v_ffbh_u32_e32 v2, v0
	v_min_u32_e32 v2, 32, v2
	v_lshrrev_b32_e32 v1, 3, v7
	v_cmp_gt_u32_e32 vcc, 8, v7
	v_subrev_u32_e32 v7, 28, v2
	v_lshlrev_b64 v[12:13], v7, v[8:9]
	v_sub_u32_e32 v2, 29, v2
	v_and_b32_e32 v7, 7, v12
	v_cndmask_b32_e32 v1, v1, v2, vcc
	v_cndmask_b32_e32 v0, v0, v7, vcc
	v_lshlrev_b32_e32 v2, 24, v8
	v_bfrev_b32_e32 v7, 60
	v_lshlrev_b32_e32 v0, 20, v0
	v_and_b32_e32 v2, 0x80000000, v2
	v_lshl_add_u32 v1, v1, 23, v7
	v_or3_b32 v2, v2, v1, v0
.LBB6_11173:                            ;   in Loop: Header=BB6_10567 Depth=3
	s_or_b64 exec, exec, s[34:35]
.LBB6_11174:                            ;   in Loop: Header=BB6_10567 Depth=3
	s_or_b64 exec, exec, s[30:31]
.LBB6_11175:                            ;   in Loop: Header=BB6_10567 Depth=3
	s_or_b64 exec, exec, s[28:29]
	v_mul_f32_e32 v7, v5, v2
	v_and_b32_e32 v8, 0x7f800000, v7
	v_mov_b32_e32 v9, v51
	v_cmp_ne_u64_e32 vcc, s[76:77], v[8:9]
                                        ; implicit-def: $vgpr0
                                        ; kill: killed $vgpr0
	s_and_saveexec_b64 s[28:29], vcc
	s_xor_b64 s[30:31], exec, s[28:29]
	s_cbranch_execz .LBB6_11189
; %bb.11176:                            ;   in Loop: Header=BB6_10567 Depth=3
	v_and_b32_e32 v8, 0x7fffffff, v7
	v_mov_b32_e32 v9, v51
	v_cmp_gt_u64_e32 vcc, s[78:79], v[8:9]
	v_and_b32_sdwa v2, v7, s96 dst_sel:DWORD dst_unused:UNUSED_PAD src0_sel:BYTE_3 src1_sel:DWORD
                                        ; implicit-def: $vgpr0
                                        ; kill: killed $vgpr0
	s_and_saveexec_b64 s[28:29], vcc
	s_xor_b64 s[34:35], exec, s[28:29]
	s_cbranch_execz .LBB6_11186
; %bb.11177:                            ;   in Loop: Header=BB6_10567 Depth=3
	v_mov_b32_e32 v0, 0
	v_cmp_ne_u32_e32 vcc, 0, v7
	buffer_store_dword v0, off, s[0:3], s33 offset:264 ; 4-byte Folded Spill
	s_and_saveexec_b64 s[36:37], vcc
	s_cbranch_execz .LBB6_11185
; %bb.11178:                            ;   in Loop: Header=BB6_10567 Depth=3
	v_and_b32_e32 v0, 0x7fffff, v7
	v_bfe_u32 v7, v7, 23, 8
	v_cmp_gt_u32_e64 s[28:29], s97, v7
	v_sub_u32_e32 v1, 0x79, v7
	v_cmp_eq_u32_e32 vcc, 0, v7
	v_cndmask_b32_e64 v1, 0, v1, s[28:29]
	v_mov_b32_e32 v9, 0x78
	v_or_b32_e32 v8, 0x800000, v0
	v_cndmask_b32_e32 v14, v1, v9, vcc
	v_cndmask_b32_e32 v8, v8, v0, vcc
	v_add_u32_e32 v0, 20, v14
	v_lshlrev_b64 v[12:13], v0, -1
	v_mov_b32_e32 v9, v51
	v_add_u32_e32 v0, 19, v14
	v_bfi_b32 v12, v12, 0, v8
	v_lshlrev_b64 v[15:16], v0, 1
	v_lshrrev_b64 v[8:9], v14, v[8:9]
	v_bfi_b32 v13, v13, 0, 0
	v_cmp_eq_u64_e64 s[28:29], v[12:13], v[15:16]
	v_mov_b32_e32 v13, v9
	v_mov_b32_e32 v12, v8
	s_and_saveexec_b64 s[38:39], s[28:29]
; %bb.11179:                            ;   in Loop: Header=BB6_10567 Depth=3
	v_bfe_u32 v0, v8, 20, 1
	v_add_co_u32_e64 v0, s[28:29], v8, v0
	v_add_co_u32_e64 v12, s[28:29], -1, v0
; %bb.11180:                            ;   in Loop: Header=BB6_10567 Depth=3
	s_or_b64 exec, exec, s[38:39]
	v_add_u32_e32 v0, 0xffffff81, v7
	v_mov_b32_e32 v1, 0xffffff82
	v_cndmask_b32_e32 v0, v0, v1, vcc
	v_lshrrev_b32_e32 v1, 23, v8
	v_add3_u32 v14, v14, v0, v1
	v_add_u32_e32 v13, 6, v14
	v_and_b32_e32 v0, 0xfffff, v12
	v_add_u32_e32 v8, v0, v8
	v_mov_b32_e32 v9, v51
	v_cmp_ne_u32_e32 vcc, 0, v13
                                        ; implicit-def: $vgpr7
	s_and_saveexec_b64 s[28:29], vcc
	s_xor_b64 s[28:29], exec, s[28:29]
; %bb.11181:                            ;   in Loop: Header=BB6_10567 Depth=3
	v_cmp_lt_u64_e32 vcc, s[88:89], v[8:9]
	v_add_u32_e32 v0, 7, v14
	v_cndmask_b32_e32 v7, v13, v0, vcc
	v_cndmask_b32_e64 v0, 0, 1, vcc
	v_lshrrev_b64 v[8:9], v0, v[8:9]
; %bb.11182:                            ;   in Loop: Header=BB6_10567 Depth=3
	s_andn2_saveexec_b64 s[28:29], s[28:29]
; %bb.11183:                            ;   in Loop: Header=BB6_10567 Depth=3
	v_bfe_u32 v7, v8, 23, 1
; %bb.11184:                            ;   in Loop: Header=BB6_10567 Depth=3
	s_or_b64 exec, exec, s[28:29]
	v_lshrrev_b64 v[8:9], 20, v[8:9]
	v_cmp_gt_i32_e32 vcc, 16, v7
	v_cndmask_b32_e32 v9, 0, v9, vcc
	v_cndmask_b32_e32 v8, 7, v8, vcc
	v_min_i32_e32 v0, 15, v7
	v_cmp_eq_u64_e64 s[28:29], 0, v[8:9]
	v_lshlrev_b32_e32 v0, 3, v0
	v_cmp_eq_u32_e32 vcc, 0, v7
	v_and_b32_e32 v0, 0xf8, v0
	v_and_or_b32 v0, v8, 7, v0
	s_and_b64 s[28:29], vcc, s[28:29]
	v_cndmask_b32_e64 v0, v0, 0, s[28:29]
	v_or_b32_e32 v0, v0, v2
	buffer_store_dword v0, off, s[0:3], s33 offset:264 ; 4-byte Folded Spill
.LBB6_11185:                            ;   in Loop: Header=BB6_10567 Depth=3
	s_or_b64 exec, exec, s[36:37]
                                        ; implicit-def: $vgpr2
.LBB6_11186:                            ;   in Loop: Header=BB6_10567 Depth=3
	s_andn2_saveexec_b64 s[28:29], s[34:35]
	s_cbranch_execz .LBB6_11188
; %bb.11187:                            ;   in Loop: Header=BB6_10567 Depth=3
	v_or_b32_e32 v0, 0x7e, v2
	buffer_store_dword v0, off, s[0:3], s33 offset:264 ; 4-byte Folded Spill
.LBB6_11188:                            ;   in Loop: Header=BB6_10567 Depth=3
	s_or_b64 exec, exec, s[28:29]
                                        ; implicit-def: $vgpr7
.LBB6_11189:                            ;   in Loop: Header=BB6_10567 Depth=3
	s_andn2_saveexec_b64 s[28:29], s[30:31]
	s_cbranch_execz .LBB6_11191
; %bb.11190:                            ;   in Loop: Header=BB6_10567 Depth=3
	v_or_b32_sdwa v0, v7, s86 dst_sel:DWORD dst_unused:UNUSED_PAD src0_sel:BYTE_3 src1_sel:DWORD
	buffer_store_dword v0, off, s[0:3], s33 offset:264 ; 4-byte Folded Spill
.LBB6_11191:                            ;   in Loop: Header=BB6_10567 Depth=3
	s_or_b64 exec, exec, s[28:29]
	v_mov_b32_e32 v8, v11
	v_mov_b32_e32 v9, v51
	v_cmp_ne_u16_sdwa vcc, v11, v51 src0_sel:BYTE_0 src1_sel:DWORD
	v_mov_b32_e32 v2, 0
	s_and_saveexec_b64 s[28:29], vcc
	s_cbranch_execz .LBB6_11197
; %bb.11192:                            ;   in Loop: Header=BB6_10567 Depth=3
	v_cmp_ne_u16_sdwa vcc, v11, s96 src0_sel:BYTE_0 src1_sel:DWORD
	v_bfrev_b32_e32 v2, 1
	s_and_saveexec_b64 s[30:31], vcc
	s_cbranch_execz .LBB6_11196
; %bb.11193:                            ;   in Loop: Header=BB6_10567 Depth=3
	v_and_b32_e32 v7, 0x7f, v11
	v_cmp_ne_u32_e32 vcc, s86, v7
	v_mov_b32_e32 v2, 0x7f800001
	s_and_saveexec_b64 s[34:35], vcc
	s_cbranch_execz .LBB6_11195
; %bb.11194:                            ;   in Loop: Header=BB6_10567 Depth=3
	v_and_b32_e32 v0, 7, v11
	v_ffbh_u32_e32 v0, v0
	v_min_u32_e32 v0, 32, v0
	v_lshrrev_b32_e32 v1, 3, v7
	v_cmp_gt_u32_e32 vcc, 8, v7
	v_subrev_u32_e32 v2, 28, v0
	v_sub_u32_e32 v0, 29, v0
	v_cndmask_b32_e32 v0, v1, v0, vcc
	v_cndmask_b32_e32 v1, 0, v2, vcc
	v_lshlrev_b64 v[12:13], v1, v[8:9]
	v_lshlrev_b32_e32 v2, 24, v8
	v_lshlrev_b32_e32 v1, 20, v12
	v_bfrev_b32_e32 v7, 60
	v_and_b32_e32 v1, 0x700000, v1
	v_and_b32_e32 v2, 0x80000000, v2
	v_lshl_add_u32 v0, v0, 23, v7
	v_or3_b32 v2, v2, v0, v1
.LBB6_11195:                            ;   in Loop: Header=BB6_10567 Depth=3
	s_or_b64 exec, exec, s[34:35]
.LBB6_11196:                            ;   in Loop: Header=BB6_10567 Depth=3
	s_or_b64 exec, exec, s[30:31]
.LBB6_11197:                            ;   in Loop: Header=BB6_10567 Depth=3
	s_or_b64 exec, exec, s[28:29]
	v_mul_f32_e32 v7, v5, v2
	v_and_b32_e32 v12, 0x7f800000, v7
	v_mov_b32_e32 v13, v51
	v_cmp_ne_u64_e32 vcc, s[76:77], v[12:13]
                                        ; implicit-def: $vgpr59
	s_and_saveexec_b64 s[28:29], vcc
	s_xor_b64 s[30:31], exec, s[28:29]
	s_cbranch_execz .LBB6_11211
; %bb.11198:                            ;   in Loop: Header=BB6_10567 Depth=3
	v_and_b32_e32 v12, 0x7fffffff, v7
	v_mov_b32_e32 v13, v51
	v_cmp_gt_u64_e32 vcc, s[78:79], v[12:13]
	v_and_b32_sdwa v2, v7, s96 dst_sel:DWORD dst_unused:UNUSED_PAD src0_sel:BYTE_3 src1_sel:DWORD
                                        ; implicit-def: $vgpr59
	s_and_saveexec_b64 s[28:29], vcc
	s_xor_b64 s[34:35], exec, s[28:29]
	s_cbranch_execz .LBB6_11208
; %bb.11199:                            ;   in Loop: Header=BB6_10567 Depth=3
	v_mov_b32_e32 v59, 0
	v_cmp_ne_u32_e32 vcc, 0, v7
	s_and_saveexec_b64 s[36:37], vcc
	s_cbranch_execz .LBB6_11207
; %bb.11200:                            ;   in Loop: Header=BB6_10567 Depth=3
	v_and_b32_e32 v0, 0x7fffff, v7
	v_bfe_u32 v7, v7, 23, 8
	v_cmp_gt_u32_e64 s[28:29], s97, v7
	v_sub_u32_e32 v1, 0x79, v7
	v_cmp_eq_u32_e32 vcc, 0, v7
	v_cndmask_b32_e64 v1, 0, v1, s[28:29]
	v_mov_b32_e32 v9, 0x78
	v_or_b32_e32 v12, 0x800000, v0
	v_cndmask_b32_e32 v9, v1, v9, vcc
	v_cndmask_b32_e32 v12, v12, v0, vcc
	v_add_u32_e32 v0, 20, v9
	v_lshlrev_b64 v[14:15], v0, -1
	v_mov_b32_e32 v13, v51
	v_add_u32_e32 v0, 19, v9
	v_bfi_b32 v14, v14, 0, v12
	v_lshlrev_b64 v[16:17], v0, 1
	v_lshrrev_b64 v[12:13], v9, v[12:13]
	v_bfi_b32 v15, v15, 0, 0
	v_cmp_eq_u64_e64 s[28:29], v[14:15], v[16:17]
	v_mov_b32_e32 v14, v13
	v_mov_b32_e32 v13, v12
	s_and_saveexec_b64 s[38:39], s[28:29]
; %bb.11201:                            ;   in Loop: Header=BB6_10567 Depth=3
	v_bfe_u32 v0, v12, 20, 1
	v_add_co_u32_e64 v0, s[28:29], v12, v0
	v_add_co_u32_e64 v13, s[28:29], -1, v0
; %bb.11202:                            ;   in Loop: Header=BB6_10567 Depth=3
	s_or_b64 exec, exec, s[38:39]
	v_add_u32_e32 v0, 0xffffff81, v7
	v_mov_b32_e32 v1, 0xffffff82
	v_cndmask_b32_e32 v0, v0, v1, vcc
	v_lshrrev_b32_e32 v1, 23, v12
	v_add3_u32 v14, v9, v0, v1
	v_add_u32_e32 v9, 6, v14
	v_and_b32_e32 v0, 0xfffff, v13
	v_add_u32_e32 v12, v0, v12
	v_mov_b32_e32 v13, v51
	v_cmp_ne_u32_e32 vcc, 0, v9
                                        ; implicit-def: $vgpr7
	s_and_saveexec_b64 s[28:29], vcc
	s_xor_b64 s[28:29], exec, s[28:29]
; %bb.11203:                            ;   in Loop: Header=BB6_10567 Depth=3
	v_cmp_lt_u64_e32 vcc, s[88:89], v[12:13]
	v_add_u32_e32 v0, 7, v14
	v_cndmask_b32_e32 v7, v9, v0, vcc
	v_cndmask_b32_e64 v0, 0, 1, vcc
	v_lshrrev_b64 v[12:13], v0, v[12:13]
; %bb.11204:                            ;   in Loop: Header=BB6_10567 Depth=3
	s_andn2_saveexec_b64 s[28:29], s[28:29]
; %bb.11205:                            ;   in Loop: Header=BB6_10567 Depth=3
	v_bfe_u32 v7, v12, 23, 1
; %bb.11206:                            ;   in Loop: Header=BB6_10567 Depth=3
	s_or_b64 exec, exec, s[28:29]
	v_lshrrev_b64 v[12:13], 20, v[12:13]
	v_cmp_gt_i32_e32 vcc, 16, v7
	v_cndmask_b32_e32 v13, 0, v13, vcc
	v_cndmask_b32_e32 v12, 7, v12, vcc
	v_min_i32_e32 v0, 15, v7
	v_cmp_eq_u64_e64 s[28:29], 0, v[12:13]
	v_lshlrev_b32_e32 v0, 3, v0
	v_cmp_eq_u32_e32 vcc, 0, v7
	v_and_b32_e32 v0, 0xf8, v0
	v_and_or_b32 v0, v12, 7, v0
	s_and_b64 s[28:29], vcc, s[28:29]
	v_cndmask_b32_e64 v0, v0, 0, s[28:29]
	v_or_b32_e32 v59, v0, v2
.LBB6_11207:                            ;   in Loop: Header=BB6_10567 Depth=3
	s_or_b64 exec, exec, s[36:37]
                                        ; implicit-def: $vgpr2
.LBB6_11208:                            ;   in Loop: Header=BB6_10567 Depth=3
	s_andn2_saveexec_b64 s[28:29], s[34:35]
; %bb.11209:                            ;   in Loop: Header=BB6_10567 Depth=3
	v_or_b32_e32 v59, 0x7e, v2
; %bb.11210:                            ;   in Loop: Header=BB6_10567 Depth=3
	s_or_b64 exec, exec, s[28:29]
                                        ; implicit-def: $vgpr7
.LBB6_11211:                            ;   in Loop: Header=BB6_10567 Depth=3
	s_andn2_saveexec_b64 s[28:29], s[30:31]
; %bb.11212:                            ;   in Loop: Header=BB6_10567 Depth=3
	v_or_b32_sdwa v59, v7, s86 dst_sel:DWORD dst_unused:UNUSED_PAD src0_sel:BYTE_3 src1_sel:DWORD
; %bb.11213:                            ;   in Loop: Header=BB6_10567 Depth=3
	s_or_b64 exec, exec, s[28:29]
	v_lshrrev_b16_e32 v9, 8, v8
	v_cmp_ne_u16_e32 vcc, 0, v9
	v_mov_b32_e32 v2, 0
	s_and_saveexec_b64 s[28:29], vcc
	s_cbranch_execz .LBB6_11219
; %bb.11214:                            ;   in Loop: Header=BB6_10567 Depth=3
	v_cmp_ne_u16_e32 vcc, s96, v9
	v_bfrev_b32_e32 v2, 1
	s_and_saveexec_b64 s[30:31], vcc
	s_cbranch_execz .LBB6_11218
; %bb.11215:                            ;   in Loop: Header=BB6_10567 Depth=3
	v_and_b32_e32 v7, 0x7f, v9
	v_cmp_ne_u32_e32 vcc, s86, v7
	v_mov_b32_e32 v2, 0x7f800001
	s_and_saveexec_b64 s[34:35], vcc
	s_cbranch_execz .LBB6_11217
; %bb.11216:                            ;   in Loop: Header=BB6_10567 Depth=3
	v_and_b32_e32 v0, 7, v9
	v_ffbh_u32_e32 v2, v0
	v_min_u32_e32 v2, 32, v2
	v_lshrrev_b32_e32 v1, 3, v7
	v_cmp_gt_u32_e32 vcc, 8, v7
	v_subrev_u32_e32 v7, 28, v2
	v_lshlrev_b64 v[12:13], v7, v[9:10]
	v_sub_u32_e32 v2, 29, v2
	v_and_b32_e32 v7, 7, v12
	v_cndmask_b32_e32 v1, v1, v2, vcc
	v_cndmask_b32_e32 v0, v0, v7, vcc
	v_lshlrev_b32_e32 v2, 16, v8
	v_bfrev_b32_e32 v7, 60
	v_lshlrev_b32_e32 v0, 20, v0
	v_and_b32_e32 v2, 0x80000000, v2
	v_lshl_add_u32 v1, v1, 23, v7
	v_or3_b32 v2, v2, v1, v0
.LBB6_11217:                            ;   in Loop: Header=BB6_10567 Depth=3
	s_or_b64 exec, exec, s[34:35]
.LBB6_11218:                            ;   in Loop: Header=BB6_10567 Depth=3
	s_or_b64 exec, exec, s[30:31]
.LBB6_11219:                            ;   in Loop: Header=BB6_10567 Depth=3
	s_or_b64 exec, exec, s[28:29]
	v_mul_f32_e32 v7, v5, v2
	v_and_b32_e32 v8, 0x7f800000, v7
	v_mov_b32_e32 v9, v51
	v_cmp_ne_u64_e32 vcc, s[76:77], v[8:9]
                                        ; implicit-def: $vgpr0
                                        ; kill: killed $vgpr0
	s_and_saveexec_b64 s[28:29], vcc
	s_xor_b64 s[30:31], exec, s[28:29]
	s_cbranch_execz .LBB6_11233
; %bb.11220:                            ;   in Loop: Header=BB6_10567 Depth=3
	v_and_b32_e32 v8, 0x7fffffff, v7
	v_mov_b32_e32 v9, v51
	v_cmp_gt_u64_e32 vcc, s[78:79], v[8:9]
	v_and_b32_sdwa v2, v7, s96 dst_sel:DWORD dst_unused:UNUSED_PAD src0_sel:BYTE_3 src1_sel:DWORD
                                        ; implicit-def: $vgpr0
                                        ; kill: killed $vgpr0
	s_and_saveexec_b64 s[28:29], vcc
	s_xor_b64 s[34:35], exec, s[28:29]
	s_cbranch_execz .LBB6_11230
; %bb.11221:                            ;   in Loop: Header=BB6_10567 Depth=3
	v_mov_b32_e32 v0, 0
	v_cmp_ne_u32_e32 vcc, 0, v7
	buffer_store_dword v0, off, s[0:3], s33 offset:216 ; 4-byte Folded Spill
	s_and_saveexec_b64 s[36:37], vcc
	s_cbranch_execz .LBB6_11229
; %bb.11222:                            ;   in Loop: Header=BB6_10567 Depth=3
	v_and_b32_e32 v0, 0x7fffff, v7
	v_bfe_u32 v7, v7, 23, 8
	v_cmp_gt_u32_e64 s[28:29], s97, v7
	v_sub_u32_e32 v1, 0x79, v7
	v_cmp_eq_u32_e32 vcc, 0, v7
	v_cndmask_b32_e64 v1, 0, v1, s[28:29]
	v_mov_b32_e32 v9, 0x78
	v_or_b32_e32 v8, 0x800000, v0
	v_cndmask_b32_e32 v14, v1, v9, vcc
	v_cndmask_b32_e32 v8, v8, v0, vcc
	v_add_u32_e32 v0, 20, v14
	v_lshlrev_b64 v[12:13], v0, -1
	v_mov_b32_e32 v9, v51
	v_add_u32_e32 v0, 19, v14
	v_bfi_b32 v12, v12, 0, v8
	v_lshlrev_b64 v[15:16], v0, 1
	v_lshrrev_b64 v[8:9], v14, v[8:9]
	v_bfi_b32 v13, v13, 0, 0
	v_cmp_eq_u64_e64 s[28:29], v[12:13], v[15:16]
	v_mov_b32_e32 v13, v9
	v_mov_b32_e32 v12, v8
	s_and_saveexec_b64 s[38:39], s[28:29]
; %bb.11223:                            ;   in Loop: Header=BB6_10567 Depth=3
	v_bfe_u32 v0, v8, 20, 1
	v_add_co_u32_e64 v0, s[28:29], v8, v0
	v_add_co_u32_e64 v12, s[28:29], -1, v0
; %bb.11224:                            ;   in Loop: Header=BB6_10567 Depth=3
	s_or_b64 exec, exec, s[38:39]
	v_add_u32_e32 v0, 0xffffff81, v7
	v_mov_b32_e32 v1, 0xffffff82
	v_cndmask_b32_e32 v0, v0, v1, vcc
	v_lshrrev_b32_e32 v1, 23, v8
	v_add3_u32 v14, v14, v0, v1
	v_add_u32_e32 v13, 6, v14
	v_and_b32_e32 v0, 0xfffff, v12
	v_add_u32_e32 v8, v0, v8
	v_mov_b32_e32 v9, v51
	v_cmp_ne_u32_e32 vcc, 0, v13
                                        ; implicit-def: $vgpr7
	s_and_saveexec_b64 s[28:29], vcc
	s_xor_b64 s[28:29], exec, s[28:29]
; %bb.11225:                            ;   in Loop: Header=BB6_10567 Depth=3
	v_cmp_lt_u64_e32 vcc, s[88:89], v[8:9]
	v_add_u32_e32 v0, 7, v14
	v_cndmask_b32_e32 v7, v13, v0, vcc
	v_cndmask_b32_e64 v0, 0, 1, vcc
	v_lshrrev_b64 v[8:9], v0, v[8:9]
; %bb.11226:                            ;   in Loop: Header=BB6_10567 Depth=3
	s_andn2_saveexec_b64 s[28:29], s[28:29]
; %bb.11227:                            ;   in Loop: Header=BB6_10567 Depth=3
	v_bfe_u32 v7, v8, 23, 1
; %bb.11228:                            ;   in Loop: Header=BB6_10567 Depth=3
	s_or_b64 exec, exec, s[28:29]
	v_lshrrev_b64 v[8:9], 20, v[8:9]
	v_cmp_gt_i32_e32 vcc, 16, v7
	v_cndmask_b32_e32 v9, 0, v9, vcc
	v_cndmask_b32_e32 v8, 7, v8, vcc
	v_min_i32_e32 v0, 15, v7
	v_cmp_eq_u64_e64 s[28:29], 0, v[8:9]
	v_lshlrev_b32_e32 v0, 3, v0
	v_cmp_eq_u32_e32 vcc, 0, v7
	v_and_b32_e32 v0, 0xf8, v0
	v_and_or_b32 v0, v8, 7, v0
	s_and_b64 s[28:29], vcc, s[28:29]
	v_cndmask_b32_e64 v0, v0, 0, s[28:29]
	v_or_b32_e32 v0, v0, v2
	buffer_store_dword v0, off, s[0:3], s33 offset:216 ; 4-byte Folded Spill
.LBB6_11229:                            ;   in Loop: Header=BB6_10567 Depth=3
	s_or_b64 exec, exec, s[36:37]
                                        ; implicit-def: $vgpr2
.LBB6_11230:                            ;   in Loop: Header=BB6_10567 Depth=3
	s_andn2_saveexec_b64 s[28:29], s[34:35]
	s_cbranch_execz .LBB6_11232
; %bb.11231:                            ;   in Loop: Header=BB6_10567 Depth=3
	v_or_b32_e32 v0, 0x7e, v2
	buffer_store_dword v0, off, s[0:3], s33 offset:216 ; 4-byte Folded Spill
.LBB6_11232:                            ;   in Loop: Header=BB6_10567 Depth=3
	s_or_b64 exec, exec, s[28:29]
                                        ; implicit-def: $vgpr7
.LBB6_11233:                            ;   in Loop: Header=BB6_10567 Depth=3
	s_andn2_saveexec_b64 s[28:29], s[30:31]
	s_cbranch_execz .LBB6_11235
; %bb.11234:                            ;   in Loop: Header=BB6_10567 Depth=3
	v_or_b32_sdwa v0, v7, s86 dst_sel:DWORD dst_unused:UNUSED_PAD src0_sel:BYTE_3 src1_sel:DWORD
	buffer_store_dword v0, off, s[0:3], s33 offset:216 ; 4-byte Folded Spill
.LBB6_11235:                            ;   in Loop: Header=BB6_10567 Depth=3
	s_or_b64 exec, exec, s[28:29]
	v_lshrrev_b32_e32 v8, 16, v11
	v_cmp_ne_u16_sdwa vcc, v8, v51 src0_sel:BYTE_0 src1_sel:DWORD
	v_mov_b32_e32 v2, 0
	s_and_saveexec_b64 s[28:29], vcc
	s_cbranch_execz .LBB6_11241
; %bb.11236:                            ;   in Loop: Header=BB6_10567 Depth=3
	v_cmp_ne_u16_sdwa vcc, v8, s96 src0_sel:BYTE_0 src1_sel:DWORD
	v_bfrev_b32_e32 v2, 1
	s_and_saveexec_b64 s[30:31], vcc
	s_cbranch_execz .LBB6_11240
; %bb.11237:                            ;   in Loop: Header=BB6_10567 Depth=3
	v_bfe_u32 v7, v11, 16, 7
	v_cmp_ne_u32_e32 vcc, s86, v7
	v_mov_b32_e32 v2, 0x7f800001
	s_and_saveexec_b64 s[34:35], vcc
	s_cbranch_execz .LBB6_11239
; %bb.11238:                            ;   in Loop: Header=BB6_10567 Depth=3
	v_and_b32_e32 v0, 7, v8
	v_ffbh_u32_e32 v2, v0
	v_min_u32_e32 v2, 32, v2
	v_lshrrev_b32_e32 v1, 3, v7
	v_cmp_gt_u32_e32 vcc, 8, v7
	v_subrev_u32_e32 v7, 28, v2
	v_lshlrev_b64 v[12:13], v7, v[8:9]
	v_sub_u32_e32 v2, 29, v2
	v_and_b32_e32 v7, 7, v12
	v_cndmask_b32_e32 v1, v1, v2, vcc
	v_cndmask_b32_e32 v0, v0, v7, vcc
	v_lshlrev_b32_e32 v2, 24, v8
	v_bfrev_b32_e32 v7, 60
	v_lshlrev_b32_e32 v0, 20, v0
	v_and_b32_e32 v2, 0x80000000, v2
	v_lshl_add_u32 v1, v1, 23, v7
	v_or3_b32 v2, v2, v1, v0
.LBB6_11239:                            ;   in Loop: Header=BB6_10567 Depth=3
	s_or_b64 exec, exec, s[34:35]
.LBB6_11240:                            ;   in Loop: Header=BB6_10567 Depth=3
	s_or_b64 exec, exec, s[30:31]
.LBB6_11241:                            ;   in Loop: Header=BB6_10567 Depth=3
	s_or_b64 exec, exec, s[28:29]
	v_mul_f32_e32 v7, v5, v2
	v_and_b32_e32 v8, 0x7f800000, v7
	v_mov_b32_e32 v9, v51
	v_cmp_ne_u64_e32 vcc, s[76:77], v[8:9]
                                        ; implicit-def: $vgpr0
                                        ; kill: killed $vgpr0
	s_and_saveexec_b64 s[28:29], vcc
	s_xor_b64 s[30:31], exec, s[28:29]
	s_cbranch_execz .LBB6_11255
; %bb.11242:                            ;   in Loop: Header=BB6_10567 Depth=3
	v_and_b32_e32 v8, 0x7fffffff, v7
	v_mov_b32_e32 v9, v51
	v_cmp_gt_u64_e32 vcc, s[78:79], v[8:9]
	v_and_b32_sdwa v2, v7, s96 dst_sel:DWORD dst_unused:UNUSED_PAD src0_sel:BYTE_3 src1_sel:DWORD
                                        ; implicit-def: $vgpr0
                                        ; kill: killed $vgpr0
	s_and_saveexec_b64 s[28:29], vcc
	s_xor_b64 s[34:35], exec, s[28:29]
	s_cbranch_execz .LBB6_11252
; %bb.11243:                            ;   in Loop: Header=BB6_10567 Depth=3
	v_mov_b32_e32 v0, 0
	v_cmp_ne_u32_e32 vcc, 0, v7
	buffer_store_dword v0, off, s[0:3], s33 offset:232 ; 4-byte Folded Spill
	s_and_saveexec_b64 s[36:37], vcc
	s_cbranch_execz .LBB6_11251
; %bb.11244:                            ;   in Loop: Header=BB6_10567 Depth=3
	v_and_b32_e32 v0, 0x7fffff, v7
	v_bfe_u32 v7, v7, 23, 8
	v_cmp_gt_u32_e64 s[28:29], s97, v7
	v_sub_u32_e32 v1, 0x79, v7
	v_cmp_eq_u32_e32 vcc, 0, v7
	v_cndmask_b32_e64 v1, 0, v1, s[28:29]
	v_mov_b32_e32 v9, 0x78
	v_or_b32_e32 v8, 0x800000, v0
	v_cndmask_b32_e32 v14, v1, v9, vcc
	v_cndmask_b32_e32 v8, v8, v0, vcc
	v_add_u32_e32 v0, 20, v14
	v_lshlrev_b64 v[12:13], v0, -1
	v_mov_b32_e32 v9, v51
	v_add_u32_e32 v0, 19, v14
	v_bfi_b32 v12, v12, 0, v8
	v_lshlrev_b64 v[15:16], v0, 1
	v_lshrrev_b64 v[8:9], v14, v[8:9]
	v_bfi_b32 v13, v13, 0, 0
	v_cmp_eq_u64_e64 s[28:29], v[12:13], v[15:16]
	v_mov_b32_e32 v13, v9
	v_mov_b32_e32 v12, v8
	s_and_saveexec_b64 s[38:39], s[28:29]
; %bb.11245:                            ;   in Loop: Header=BB6_10567 Depth=3
	v_bfe_u32 v0, v8, 20, 1
	v_add_co_u32_e64 v0, s[28:29], v8, v0
	v_add_co_u32_e64 v12, s[28:29], -1, v0
; %bb.11246:                            ;   in Loop: Header=BB6_10567 Depth=3
	s_or_b64 exec, exec, s[38:39]
	v_add_u32_e32 v0, 0xffffff81, v7
	v_mov_b32_e32 v1, 0xffffff82
	v_cndmask_b32_e32 v0, v0, v1, vcc
	v_lshrrev_b32_e32 v1, 23, v8
	v_add3_u32 v14, v14, v0, v1
	v_add_u32_e32 v13, 6, v14
	v_and_b32_e32 v0, 0xfffff, v12
	v_add_u32_e32 v8, v0, v8
	v_mov_b32_e32 v9, v51
	v_cmp_ne_u32_e32 vcc, 0, v13
                                        ; implicit-def: $vgpr7
	s_and_saveexec_b64 s[28:29], vcc
	s_xor_b64 s[28:29], exec, s[28:29]
; %bb.11247:                            ;   in Loop: Header=BB6_10567 Depth=3
	v_cmp_lt_u64_e32 vcc, s[88:89], v[8:9]
	v_add_u32_e32 v0, 7, v14
	v_cndmask_b32_e32 v7, v13, v0, vcc
	v_cndmask_b32_e64 v0, 0, 1, vcc
	v_lshrrev_b64 v[8:9], v0, v[8:9]
; %bb.11248:                            ;   in Loop: Header=BB6_10567 Depth=3
	s_andn2_saveexec_b64 s[28:29], s[28:29]
; %bb.11249:                            ;   in Loop: Header=BB6_10567 Depth=3
	v_bfe_u32 v7, v8, 23, 1
; %bb.11250:                            ;   in Loop: Header=BB6_10567 Depth=3
	s_or_b64 exec, exec, s[28:29]
	v_lshrrev_b64 v[8:9], 20, v[8:9]
	v_cmp_gt_i32_e32 vcc, 16, v7
	v_cndmask_b32_e32 v9, 0, v9, vcc
	v_cndmask_b32_e32 v8, 7, v8, vcc
	v_min_i32_e32 v0, 15, v7
	v_cmp_eq_u64_e64 s[28:29], 0, v[8:9]
	v_lshlrev_b32_e32 v0, 3, v0
	v_cmp_eq_u32_e32 vcc, 0, v7
	v_and_b32_e32 v0, 0xf8, v0
	v_and_or_b32 v0, v8, 7, v0
	s_and_b64 s[28:29], vcc, s[28:29]
	v_cndmask_b32_e64 v0, v0, 0, s[28:29]
	v_or_b32_e32 v0, v0, v2
	buffer_store_dword v0, off, s[0:3], s33 offset:232 ; 4-byte Folded Spill
.LBB6_11251:                            ;   in Loop: Header=BB6_10567 Depth=3
	s_or_b64 exec, exec, s[36:37]
                                        ; implicit-def: $vgpr2
.LBB6_11252:                            ;   in Loop: Header=BB6_10567 Depth=3
	s_andn2_saveexec_b64 s[28:29], s[34:35]
	s_cbranch_execz .LBB6_11254
; %bb.11253:                            ;   in Loop: Header=BB6_10567 Depth=3
	v_or_b32_e32 v0, 0x7e, v2
	buffer_store_dword v0, off, s[0:3], s33 offset:232 ; 4-byte Folded Spill
.LBB6_11254:                            ;   in Loop: Header=BB6_10567 Depth=3
	s_or_b64 exec, exec, s[28:29]
                                        ; implicit-def: $vgpr7
.LBB6_11255:                            ;   in Loop: Header=BB6_10567 Depth=3
	s_andn2_saveexec_b64 s[28:29], s[30:31]
	s_cbranch_execz .LBB6_11257
; %bb.11256:                            ;   in Loop: Header=BB6_10567 Depth=3
	v_or_b32_sdwa v0, v7, s86 dst_sel:DWORD dst_unused:UNUSED_PAD src0_sel:BYTE_3 src1_sel:DWORD
	buffer_store_dword v0, off, s[0:3], s33 offset:232 ; 4-byte Folded Spill
.LBB6_11257:                            ;   in Loop: Header=BB6_10567 Depth=3
	s_or_b64 exec, exec, s[28:29]
	v_cmp_lt_u64_e32 vcc, s[56:57], v[10:11]
	v_mov_b32_e32 v2, 0
	s_and_saveexec_b64 s[28:29], vcc
	s_cbranch_execz .LBB6_11263
; %bb.11258:                            ;   in Loop: Header=BB6_10567 Depth=3
	v_lshrrev_b32_e32 v8, 24, v11
	v_cmp_ne_u32_e32 vcc, s96, v8
	v_bfrev_b32_e32 v2, 1
	s_and_saveexec_b64 s[30:31], vcc
	s_cbranch_execz .LBB6_11262
; %bb.11259:                            ;   in Loop: Header=BB6_10567 Depth=3
	v_bfe_u32 v7, v11, 24, 7
	v_cmp_ne_u32_e32 vcc, s86, v7
	v_mov_b32_e32 v2, 0x7f800001
	s_and_saveexec_b64 s[34:35], vcc
	s_cbranch_execz .LBB6_11261
; %bb.11260:                            ;   in Loop: Header=BB6_10567 Depth=3
	v_and_b32_e32 v0, 7, v8
	v_ffbh_u32_e32 v2, v0
	v_min_u32_e32 v2, 32, v2
	v_lshrrev_b32_e32 v1, 3, v7
	v_cmp_gt_u32_e32 vcc, 8, v7
	v_subrev_u32_e32 v7, 28, v2
	v_lshlrev_b64 v[9:10], v7, v[8:9]
	v_sub_u32_e32 v2, 29, v2
	v_and_b32_e32 v7, 7, v9
	v_cndmask_b32_e32 v1, v1, v2, vcc
	v_cndmask_b32_e32 v0, v0, v7, vcc
	v_lshlrev_b32_e32 v2, 24, v8
	v_bfrev_b32_e32 v7, 60
	v_lshlrev_b32_e32 v0, 20, v0
	v_and_b32_e32 v2, 0x80000000, v2
	v_lshl_add_u32 v1, v1, 23, v7
	v_or3_b32 v2, v2, v1, v0
.LBB6_11261:                            ;   in Loop: Header=BB6_10567 Depth=3
	s_or_b64 exec, exec, s[34:35]
.LBB6_11262:                            ;   in Loop: Header=BB6_10567 Depth=3
	s_or_b64 exec, exec, s[30:31]
.LBB6_11263:                            ;   in Loop: Header=BB6_10567 Depth=3
	s_or_b64 exec, exec, s[28:29]
	v_mul_f32_e32 v7, v5, v2
	v_and_b32_e32 v8, 0x7f800000, v7
	v_mov_b32_e32 v9, v51
	v_cmp_ne_u64_e32 vcc, s[76:77], v[8:9]
                                        ; implicit-def: $vgpr0
                                        ; kill: killed $vgpr0
	s_and_saveexec_b64 s[28:29], vcc
	s_xor_b64 s[30:31], exec, s[28:29]
	s_cbranch_execz .LBB6_11277
; %bb.11264:                            ;   in Loop: Header=BB6_10567 Depth=3
	v_and_b32_e32 v8, 0x7fffffff, v7
	v_mov_b32_e32 v9, v51
	v_cmp_gt_u64_e32 vcc, s[78:79], v[8:9]
	v_and_b32_sdwa v2, v7, s96 dst_sel:DWORD dst_unused:UNUSED_PAD src0_sel:BYTE_3 src1_sel:DWORD
                                        ; implicit-def: $vgpr0
                                        ; kill: killed $vgpr0
	s_and_saveexec_b64 s[28:29], vcc
	s_xor_b64 s[34:35], exec, s[28:29]
	s_cbranch_execz .LBB6_11274
; %bb.11265:                            ;   in Loop: Header=BB6_10567 Depth=3
	v_mov_b32_e32 v0, 0
	v_cmp_ne_u32_e32 vcc, 0, v7
	buffer_store_dword v0, off, s[0:3], s33 offset:252 ; 4-byte Folded Spill
	s_and_saveexec_b64 s[36:37], vcc
	s_cbranch_execz .LBB6_11273
; %bb.11266:                            ;   in Loop: Header=BB6_10567 Depth=3
	v_and_b32_e32 v0, 0x7fffff, v7
	v_bfe_u32 v7, v7, 23, 8
	v_cmp_gt_u32_e64 s[28:29], s97, v7
	v_sub_u32_e32 v1, 0x79, v7
	v_cmp_eq_u32_e32 vcc, 0, v7
	v_cndmask_b32_e64 v1, 0, v1, s[28:29]
	v_mov_b32_e32 v9, 0x78
	v_or_b32_e32 v8, 0x800000, v0
	v_cndmask_b32_e32 v11, v1, v9, vcc
	v_cndmask_b32_e32 v8, v8, v0, vcc
	v_add_u32_e32 v0, 20, v11
	v_lshlrev_b64 v[12:13], v0, -1
	v_mov_b32_e32 v9, v51
	v_add_u32_e32 v0, 19, v11
	v_bfi_b32 v12, v12, 0, v8
	v_lshlrev_b64 v[14:15], v0, 1
	v_lshrrev_b64 v[8:9], v11, v[8:9]
	v_bfi_b32 v13, v13, 0, 0
	v_cmp_eq_u64_e64 s[28:29], v[12:13], v[14:15]
	v_mov_b32_e32 v10, v9
	v_mov_b32_e32 v9, v8
	s_and_saveexec_b64 s[38:39], s[28:29]
; %bb.11267:                            ;   in Loop: Header=BB6_10567 Depth=3
	v_bfe_u32 v0, v8, 20, 1
	v_add_co_u32_e64 v0, s[28:29], v8, v0
	v_add_co_u32_e64 v9, s[28:29], -1, v0
; %bb.11268:                            ;   in Loop: Header=BB6_10567 Depth=3
	s_or_b64 exec, exec, s[38:39]
	v_add_u32_e32 v0, 0xffffff81, v7
	v_mov_b32_e32 v1, 0xffffff82
	v_cndmask_b32_e32 v0, v0, v1, vcc
	v_lshrrev_b32_e32 v1, 23, v8
	v_add3_u32 v11, v11, v0, v1
	v_add_u32_e32 v10, 6, v11
	v_and_b32_e32 v0, 0xfffff, v9
	v_add_u32_e32 v8, v0, v8
	v_mov_b32_e32 v9, v51
	v_cmp_ne_u32_e32 vcc, 0, v10
                                        ; implicit-def: $vgpr7
	s_and_saveexec_b64 s[28:29], vcc
	s_xor_b64 s[28:29], exec, s[28:29]
; %bb.11269:                            ;   in Loop: Header=BB6_10567 Depth=3
	v_cmp_lt_u64_e32 vcc, s[88:89], v[8:9]
	v_add_u32_e32 v0, 7, v11
	v_cndmask_b32_e32 v7, v10, v0, vcc
	v_cndmask_b32_e64 v0, 0, 1, vcc
	v_lshrrev_b64 v[8:9], v0, v[8:9]
; %bb.11270:                            ;   in Loop: Header=BB6_10567 Depth=3
	s_andn2_saveexec_b64 s[28:29], s[28:29]
; %bb.11271:                            ;   in Loop: Header=BB6_10567 Depth=3
	v_bfe_u32 v7, v8, 23, 1
; %bb.11272:                            ;   in Loop: Header=BB6_10567 Depth=3
	s_or_b64 exec, exec, s[28:29]
	v_lshrrev_b64 v[8:9], 20, v[8:9]
	v_cmp_gt_i32_e32 vcc, 16, v7
	v_cndmask_b32_e32 v9, 0, v9, vcc
	v_cndmask_b32_e32 v8, 7, v8, vcc
	v_min_i32_e32 v0, 15, v7
	v_cmp_eq_u64_e64 s[28:29], 0, v[8:9]
	v_lshlrev_b32_e32 v0, 3, v0
	v_cmp_eq_u32_e32 vcc, 0, v7
	v_and_b32_e32 v0, 0xf8, v0
	v_and_or_b32 v0, v8, 7, v0
	s_and_b64 s[28:29], vcc, s[28:29]
	v_cndmask_b32_e64 v0, v0, 0, s[28:29]
	v_or_b32_e32 v0, v0, v2
	buffer_store_dword v0, off, s[0:3], s33 offset:252 ; 4-byte Folded Spill
.LBB6_11273:                            ;   in Loop: Header=BB6_10567 Depth=3
	s_or_b64 exec, exec, s[36:37]
                                        ; implicit-def: $vgpr2
.LBB6_11274:                            ;   in Loop: Header=BB6_10567 Depth=3
	s_andn2_saveexec_b64 s[28:29], s[34:35]
	s_cbranch_execz .LBB6_11276
; %bb.11275:                            ;   in Loop: Header=BB6_10567 Depth=3
	v_or_b32_e32 v0, 0x7e, v2
	buffer_store_dword v0, off, s[0:3], s33 offset:252 ; 4-byte Folded Spill
.LBB6_11276:                            ;   in Loop: Header=BB6_10567 Depth=3
	s_or_b64 exec, exec, s[28:29]
                                        ; implicit-def: $vgpr7
.LBB6_11277:                            ;   in Loop: Header=BB6_10567 Depth=3
	s_andn2_saveexec_b64 s[28:29], s[30:31]
	s_cbranch_execz .LBB6_11279
; %bb.11278:                            ;   in Loop: Header=BB6_10567 Depth=3
	v_or_b32_sdwa v0, v7, s86 dst_sel:DWORD dst_unused:UNUSED_PAD src0_sel:BYTE_3 src1_sel:DWORD
	buffer_store_dword v0, off, s[0:3], s33 offset:252 ; 4-byte Folded Spill
.LBB6_11279:                            ;   in Loop: Header=BB6_10567 Depth=3
	s_or_b64 exec, exec, s[28:29]
	global_load_dwordx4 v[8:11], v[60:61], off offset:2048 glc slc
	v_mov_b32_e32 v2, 0
	s_waitcnt vmcnt(0)
	v_cmp_ne_u16_sdwa vcc, v8, v51 src0_sel:BYTE_0 src1_sel:DWORD
	s_and_saveexec_b64 s[28:29], vcc
	s_cbranch_execz .LBB6_11285
; %bb.11280:                            ;   in Loop: Header=BB6_10567 Depth=3
	v_cmp_ne_u16_sdwa vcc, v8, s96 src0_sel:BYTE_0 src1_sel:DWORD
	v_bfrev_b32_e32 v2, 1
	s_and_saveexec_b64 s[30:31], vcc
	s_cbranch_execz .LBB6_11284
; %bb.11281:                            ;   in Loop: Header=BB6_10567 Depth=3
	v_and_b32_e32 v7, 0x7f, v8
	v_cmp_ne_u32_e32 vcc, s86, v7
	v_mov_b32_e32 v2, 0x7f800001
	s_and_saveexec_b64 s[34:35], vcc
	s_cbranch_execz .LBB6_11283
; %bb.11282:                            ;   in Loop: Header=BB6_10567 Depth=3
	v_and_b32_e32 v0, 7, v8
	v_ffbh_u32_e32 v0, v0
	v_min_u32_e32 v0, 32, v0
	v_lshrrev_b32_e32 v1, 3, v7
	v_cmp_gt_u32_e32 vcc, 8, v7
	v_subrev_u32_e32 v2, 28, v0
	v_sub_u32_e32 v0, 29, v0
	v_cndmask_b32_e32 v0, v1, v0, vcc
	v_cndmask_b32_e32 v1, 0, v2, vcc
	v_lshlrev_b64 v[12:13], v1, v[8:9]
	v_lshlrev_b32_e32 v2, 24, v8
	v_lshlrev_b32_e32 v1, 20, v12
	v_bfrev_b32_e32 v7, 60
	v_and_b32_e32 v1, 0x700000, v1
	v_and_b32_e32 v2, 0x80000000, v2
	v_lshl_add_u32 v0, v0, 23, v7
	v_or3_b32 v2, v2, v0, v1
.LBB6_11283:                            ;   in Loop: Header=BB6_10567 Depth=3
	s_or_b64 exec, exec, s[34:35]
.LBB6_11284:                            ;   in Loop: Header=BB6_10567 Depth=3
	s_or_b64 exec, exec, s[30:31]
.LBB6_11285:                            ;   in Loop: Header=BB6_10567 Depth=3
	s_or_b64 exec, exec, s[28:29]
	v_mul_f32_e32 v7, v5, v2
	v_and_b32_e32 v12, 0x7f800000, v7
	v_mov_b32_e32 v13, v51
	v_cmp_ne_u64_e32 vcc, s[76:77], v[12:13]
                                        ; implicit-def: $vgpr36
	s_and_saveexec_b64 s[28:29], vcc
	s_xor_b64 s[30:31], exec, s[28:29]
	s_cbranch_execz .LBB6_11299
; %bb.11286:                            ;   in Loop: Header=BB6_10567 Depth=3
	v_and_b32_e32 v12, 0x7fffffff, v7
	v_mov_b32_e32 v13, v51
	v_cmp_gt_u64_e32 vcc, s[78:79], v[12:13]
	v_and_b32_sdwa v2, v7, s96 dst_sel:DWORD dst_unused:UNUSED_PAD src0_sel:BYTE_3 src1_sel:DWORD
                                        ; implicit-def: $vgpr36
	s_and_saveexec_b64 s[28:29], vcc
	s_xor_b64 s[34:35], exec, s[28:29]
	s_cbranch_execz .LBB6_11296
; %bb.11287:                            ;   in Loop: Header=BB6_10567 Depth=3
	v_mov_b32_e32 v36, 0
	v_cmp_ne_u32_e32 vcc, 0, v7
	s_and_saveexec_b64 s[36:37], vcc
	s_cbranch_execz .LBB6_11295
; %bb.11288:                            ;   in Loop: Header=BB6_10567 Depth=3
	v_and_b32_e32 v0, 0x7fffff, v7
	v_bfe_u32 v7, v7, 23, 8
	v_cmp_gt_u32_e64 s[28:29], s97, v7
	v_sub_u32_e32 v1, 0x79, v7
	v_cmp_eq_u32_e32 vcc, 0, v7
	v_cndmask_b32_e64 v1, 0, v1, s[28:29]
	v_mov_b32_e32 v13, 0x78
	v_or_b32_e32 v12, 0x800000, v0
	v_cndmask_b32_e32 v15, v1, v13, vcc
	v_cndmask_b32_e32 v12, v12, v0, vcc
	v_add_u32_e32 v0, 20, v15
	v_lshlrev_b64 v[16:17], v0, -1
	v_mov_b32_e32 v13, v51
	v_add_u32_e32 v0, 19, v15
	v_bfi_b32 v16, v16, 0, v12
	v_lshlrev_b64 v[18:19], v0, 1
	v_lshrrev_b64 v[12:13], v15, v[12:13]
	v_bfi_b32 v17, v17, 0, 0
	v_cmp_eq_u64_e64 s[28:29], v[16:17], v[18:19]
	v_mov_b32_e32 v14, v13
	v_mov_b32_e32 v13, v12
	s_and_saveexec_b64 s[38:39], s[28:29]
; %bb.11289:                            ;   in Loop: Header=BB6_10567 Depth=3
	v_bfe_u32 v0, v12, 20, 1
	v_add_co_u32_e64 v0, s[28:29], v12, v0
	v_add_co_u32_e64 v13, s[28:29], -1, v0
; %bb.11290:                            ;   in Loop: Header=BB6_10567 Depth=3
	s_or_b64 exec, exec, s[38:39]
	v_add_u32_e32 v0, 0xffffff81, v7
	v_mov_b32_e32 v1, 0xffffff82
	v_cndmask_b32_e32 v0, v0, v1, vcc
	v_lshrrev_b32_e32 v1, 23, v12
	v_add3_u32 v15, v15, v0, v1
	v_add_u32_e32 v14, 6, v15
	v_and_b32_e32 v0, 0xfffff, v13
	v_add_u32_e32 v12, v0, v12
	v_mov_b32_e32 v13, v51
	v_cmp_ne_u32_e32 vcc, 0, v14
                                        ; implicit-def: $vgpr7
	s_and_saveexec_b64 s[28:29], vcc
	s_xor_b64 s[28:29], exec, s[28:29]
; %bb.11291:                            ;   in Loop: Header=BB6_10567 Depth=3
	v_cmp_lt_u64_e32 vcc, s[88:89], v[12:13]
	v_add_u32_e32 v0, 7, v15
	v_cndmask_b32_e32 v7, v14, v0, vcc
	v_cndmask_b32_e64 v0, 0, 1, vcc
	v_lshrrev_b64 v[12:13], v0, v[12:13]
; %bb.11292:                            ;   in Loop: Header=BB6_10567 Depth=3
	s_andn2_saveexec_b64 s[28:29], s[28:29]
; %bb.11293:                            ;   in Loop: Header=BB6_10567 Depth=3
	v_bfe_u32 v7, v12, 23, 1
; %bb.11294:                            ;   in Loop: Header=BB6_10567 Depth=3
	s_or_b64 exec, exec, s[28:29]
	v_lshrrev_b64 v[12:13], 20, v[12:13]
	v_cmp_gt_i32_e32 vcc, 16, v7
	v_cndmask_b32_e32 v13, 0, v13, vcc
	v_cndmask_b32_e32 v12, 7, v12, vcc
	v_min_i32_e32 v0, 15, v7
	v_cmp_eq_u64_e64 s[28:29], 0, v[12:13]
	v_lshlrev_b32_e32 v0, 3, v0
	v_cmp_eq_u32_e32 vcc, 0, v7
	v_and_b32_e32 v0, 0xf8, v0
	v_and_or_b32 v0, v12, 7, v0
	s_and_b64 s[28:29], vcc, s[28:29]
	v_cndmask_b32_e64 v0, v0, 0, s[28:29]
	v_or_b32_e32 v36, v0, v2
.LBB6_11295:                            ;   in Loop: Header=BB6_10567 Depth=3
	s_or_b64 exec, exec, s[36:37]
                                        ; implicit-def: $vgpr2
.LBB6_11296:                            ;   in Loop: Header=BB6_10567 Depth=3
	s_andn2_saveexec_b64 s[28:29], s[34:35]
; %bb.11297:                            ;   in Loop: Header=BB6_10567 Depth=3
	v_or_b32_e32 v36, 0x7e, v2
; %bb.11298:                            ;   in Loop: Header=BB6_10567 Depth=3
	s_or_b64 exec, exec, s[28:29]
                                        ; implicit-def: $vgpr7
.LBB6_11299:                            ;   in Loop: Header=BB6_10567 Depth=3
	s_andn2_saveexec_b64 s[28:29], s[30:31]
; %bb.11300:                            ;   in Loop: Header=BB6_10567 Depth=3
	v_or_b32_sdwa v36, v7, s86 dst_sel:DWORD dst_unused:UNUSED_PAD src0_sel:BYTE_3 src1_sel:DWORD
; %bb.11301:                            ;   in Loop: Header=BB6_10567 Depth=3
	s_or_b64 exec, exec, s[28:29]
	v_lshrrev_b16_e32 v12, 8, v8
	v_cmp_ne_u16_e32 vcc, 0, v12
	v_mov_b32_e32 v2, 0
	s_and_saveexec_b64 s[28:29], vcc
	s_cbranch_execz .LBB6_11307
; %bb.11302:                            ;   in Loop: Header=BB6_10567 Depth=3
	v_cmp_ne_u16_e32 vcc, s96, v12
	v_bfrev_b32_e32 v2, 1
	s_and_saveexec_b64 s[30:31], vcc
	s_cbranch_execz .LBB6_11306
; %bb.11303:                            ;   in Loop: Header=BB6_10567 Depth=3
	v_and_b32_e32 v7, 0x7f, v12
	v_cmp_ne_u32_e32 vcc, s86, v7
	v_mov_b32_e32 v2, 0x7f800001
	s_and_saveexec_b64 s[34:35], vcc
	s_cbranch_execz .LBB6_11305
; %bb.11304:                            ;   in Loop: Header=BB6_10567 Depth=3
	v_and_b32_e32 v0, 7, v12
	v_ffbh_u32_e32 v2, v0
	v_min_u32_e32 v2, 32, v2
	v_lshrrev_b32_e32 v1, 3, v7
	v_cmp_gt_u32_e32 vcc, 8, v7
	v_subrev_u32_e32 v7, 28, v2
	v_lshlrev_b64 v[12:13], v7, v[12:13]
	v_sub_u32_e32 v2, 29, v2
	v_and_b32_e32 v7, 7, v12
	v_cndmask_b32_e32 v1, v1, v2, vcc
	v_cndmask_b32_e32 v0, v0, v7, vcc
	v_lshlrev_b32_e32 v2, 16, v8
	v_bfrev_b32_e32 v7, 60
	v_lshlrev_b32_e32 v0, 20, v0
	v_and_b32_e32 v2, 0x80000000, v2
	v_lshl_add_u32 v1, v1, 23, v7
	v_or3_b32 v2, v2, v1, v0
.LBB6_11305:                            ;   in Loop: Header=BB6_10567 Depth=3
	s_or_b64 exec, exec, s[34:35]
.LBB6_11306:                            ;   in Loop: Header=BB6_10567 Depth=3
	s_or_b64 exec, exec, s[30:31]
.LBB6_11307:                            ;   in Loop: Header=BB6_10567 Depth=3
	s_or_b64 exec, exec, s[28:29]
	v_mul_f32_e32 v7, v5, v2
	v_and_b32_e32 v12, 0x7f800000, v7
	v_mov_b32_e32 v13, v51
	v_cmp_ne_u64_e32 vcc, s[76:77], v[12:13]
                                        ; implicit-def: $vgpr0
                                        ; kill: killed $vgpr0
	s_and_saveexec_b64 s[28:29], vcc
	s_xor_b64 s[30:31], exec, s[28:29]
	s_cbranch_execz .LBB6_11321
; %bb.11308:                            ;   in Loop: Header=BB6_10567 Depth=3
	v_and_b32_e32 v12, 0x7fffffff, v7
	v_mov_b32_e32 v13, v51
	v_cmp_gt_u64_e32 vcc, s[78:79], v[12:13]
	v_and_b32_sdwa v2, v7, s96 dst_sel:DWORD dst_unused:UNUSED_PAD src0_sel:BYTE_3 src1_sel:DWORD
                                        ; implicit-def: $vgpr0
                                        ; kill: killed $vgpr0
	s_and_saveexec_b64 s[28:29], vcc
	s_xor_b64 s[34:35], exec, s[28:29]
	s_cbranch_execz .LBB6_11318
; %bb.11309:                            ;   in Loop: Header=BB6_10567 Depth=3
	v_mov_b32_e32 v0, 0
	v_cmp_ne_u32_e32 vcc, 0, v7
	buffer_store_dword v0, off, s[0:3], s33 offset:200 ; 4-byte Folded Spill
	s_and_saveexec_b64 s[36:37], vcc
	s_cbranch_execz .LBB6_11317
; %bb.11310:                            ;   in Loop: Header=BB6_10567 Depth=3
	v_and_b32_e32 v0, 0x7fffff, v7
	v_bfe_u32 v7, v7, 23, 8
	v_cmp_gt_u32_e64 s[28:29], s97, v7
	v_sub_u32_e32 v1, 0x79, v7
	v_cmp_eq_u32_e32 vcc, 0, v7
	v_cndmask_b32_e64 v1, 0, v1, s[28:29]
	v_mov_b32_e32 v13, 0x78
	v_or_b32_e32 v12, 0x800000, v0
	v_cndmask_b32_e32 v15, v1, v13, vcc
	v_cndmask_b32_e32 v12, v12, v0, vcc
	v_add_u32_e32 v0, 20, v15
	v_lshlrev_b64 v[16:17], v0, -1
	v_mov_b32_e32 v13, v51
	v_add_u32_e32 v0, 19, v15
	v_bfi_b32 v16, v16, 0, v12
	v_lshlrev_b64 v[18:19], v0, 1
	v_lshrrev_b64 v[12:13], v15, v[12:13]
	v_bfi_b32 v17, v17, 0, 0
	v_cmp_eq_u64_e64 s[28:29], v[16:17], v[18:19]
	v_mov_b32_e32 v14, v13
	v_mov_b32_e32 v13, v12
	s_and_saveexec_b64 s[38:39], s[28:29]
; %bb.11311:                            ;   in Loop: Header=BB6_10567 Depth=3
	v_bfe_u32 v0, v12, 20, 1
	v_add_co_u32_e64 v0, s[28:29], v12, v0
	v_add_co_u32_e64 v13, s[28:29], -1, v0
; %bb.11312:                            ;   in Loop: Header=BB6_10567 Depth=3
	s_or_b64 exec, exec, s[38:39]
	v_add_u32_e32 v0, 0xffffff81, v7
	v_mov_b32_e32 v1, 0xffffff82
	v_cndmask_b32_e32 v0, v0, v1, vcc
	v_lshrrev_b32_e32 v1, 23, v12
	v_add3_u32 v15, v15, v0, v1
	v_add_u32_e32 v14, 6, v15
	v_and_b32_e32 v0, 0xfffff, v13
	v_add_u32_e32 v12, v0, v12
	v_mov_b32_e32 v13, v51
	v_cmp_ne_u32_e32 vcc, 0, v14
                                        ; implicit-def: $vgpr7
	s_and_saveexec_b64 s[28:29], vcc
	s_xor_b64 s[28:29], exec, s[28:29]
; %bb.11313:                            ;   in Loop: Header=BB6_10567 Depth=3
	v_cmp_lt_u64_e32 vcc, s[88:89], v[12:13]
	v_add_u32_e32 v0, 7, v15
	v_cndmask_b32_e32 v7, v14, v0, vcc
	v_cndmask_b32_e64 v0, 0, 1, vcc
	v_lshrrev_b64 v[12:13], v0, v[12:13]
; %bb.11314:                            ;   in Loop: Header=BB6_10567 Depth=3
	s_andn2_saveexec_b64 s[28:29], s[28:29]
; %bb.11315:                            ;   in Loop: Header=BB6_10567 Depth=3
	v_bfe_u32 v7, v12, 23, 1
; %bb.11316:                            ;   in Loop: Header=BB6_10567 Depth=3
	s_or_b64 exec, exec, s[28:29]
	v_lshrrev_b64 v[12:13], 20, v[12:13]
	v_cmp_gt_i32_e32 vcc, 16, v7
	v_cndmask_b32_e32 v13, 0, v13, vcc
	v_cndmask_b32_e32 v12, 7, v12, vcc
	v_min_i32_e32 v0, 15, v7
	v_cmp_eq_u64_e64 s[28:29], 0, v[12:13]
	v_lshlrev_b32_e32 v0, 3, v0
	v_cmp_eq_u32_e32 vcc, 0, v7
	v_and_b32_e32 v0, 0xf8, v0
	v_and_or_b32 v0, v12, 7, v0
	s_and_b64 s[28:29], vcc, s[28:29]
	v_cndmask_b32_e64 v0, v0, 0, s[28:29]
	v_or_b32_e32 v0, v0, v2
	buffer_store_dword v0, off, s[0:3], s33 offset:200 ; 4-byte Folded Spill
.LBB6_11317:                            ;   in Loop: Header=BB6_10567 Depth=3
	s_or_b64 exec, exec, s[36:37]
                                        ; implicit-def: $vgpr2
.LBB6_11318:                            ;   in Loop: Header=BB6_10567 Depth=3
	s_andn2_saveexec_b64 s[28:29], s[34:35]
	s_cbranch_execz .LBB6_11320
; %bb.11319:                            ;   in Loop: Header=BB6_10567 Depth=3
	v_or_b32_e32 v0, 0x7e, v2
	buffer_store_dword v0, off, s[0:3], s33 offset:200 ; 4-byte Folded Spill
.LBB6_11320:                            ;   in Loop: Header=BB6_10567 Depth=3
	s_or_b64 exec, exec, s[28:29]
                                        ; implicit-def: $vgpr7
.LBB6_11321:                            ;   in Loop: Header=BB6_10567 Depth=3
	s_andn2_saveexec_b64 s[28:29], s[30:31]
	s_cbranch_execz .LBB6_11323
; %bb.11322:                            ;   in Loop: Header=BB6_10567 Depth=3
	v_or_b32_sdwa v0, v7, s86 dst_sel:DWORD dst_unused:UNUSED_PAD src0_sel:BYTE_3 src1_sel:DWORD
	buffer_store_dword v0, off, s[0:3], s33 offset:200 ; 4-byte Folded Spill
.LBB6_11323:                            ;   in Loop: Header=BB6_10567 Depth=3
	s_or_b64 exec, exec, s[28:29]
	v_lshrrev_b32_e32 v12, 16, v8
	v_cmp_ne_u16_sdwa vcc, v12, v51 src0_sel:BYTE_0 src1_sel:DWORD
	v_mov_b32_e32 v2, 0
	s_and_saveexec_b64 s[28:29], vcc
	s_cbranch_execz .LBB6_11329
; %bb.11324:                            ;   in Loop: Header=BB6_10567 Depth=3
	v_cmp_ne_u16_sdwa vcc, v12, s96 src0_sel:BYTE_0 src1_sel:DWORD
	v_bfrev_b32_e32 v2, 1
	s_and_saveexec_b64 s[30:31], vcc
	s_cbranch_execz .LBB6_11328
; %bb.11325:                            ;   in Loop: Header=BB6_10567 Depth=3
	v_bfe_u32 v7, v8, 16, 7
	v_cmp_ne_u32_e32 vcc, s86, v7
	v_mov_b32_e32 v2, 0x7f800001
	s_and_saveexec_b64 s[34:35], vcc
	s_cbranch_execz .LBB6_11327
; %bb.11326:                            ;   in Loop: Header=BB6_10567 Depth=3
	v_and_b32_e32 v0, 7, v12
	v_ffbh_u32_e32 v2, v0
	v_min_u32_e32 v2, 32, v2
	v_lshrrev_b32_e32 v1, 3, v7
	v_cmp_gt_u32_e32 vcc, 8, v7
	v_subrev_u32_e32 v7, 28, v2
	v_lshlrev_b64 v[13:14], v7, v[12:13]
	v_sub_u32_e32 v2, 29, v2
	v_and_b32_e32 v7, 7, v13
	v_cndmask_b32_e32 v1, v1, v2, vcc
	v_cndmask_b32_e32 v0, v0, v7, vcc
	v_lshlrev_b32_e32 v2, 24, v12
	v_bfrev_b32_e32 v7, 60
	v_lshlrev_b32_e32 v0, 20, v0
	v_and_b32_e32 v2, 0x80000000, v2
	v_lshl_add_u32 v1, v1, 23, v7
	v_or3_b32 v2, v2, v1, v0
.LBB6_11327:                            ;   in Loop: Header=BB6_10567 Depth=3
	s_or_b64 exec, exec, s[34:35]
.LBB6_11328:                            ;   in Loop: Header=BB6_10567 Depth=3
	s_or_b64 exec, exec, s[30:31]
.LBB6_11329:                            ;   in Loop: Header=BB6_10567 Depth=3
	s_or_b64 exec, exec, s[28:29]
	v_mul_f32_e32 v7, v5, v2
	v_and_b32_e32 v12, 0x7f800000, v7
	v_mov_b32_e32 v13, v51
	v_cmp_ne_u64_e32 vcc, s[76:77], v[12:13]
                                        ; implicit-def: $vgpr0
                                        ; kill: killed $vgpr0
	s_and_saveexec_b64 s[28:29], vcc
	s_xor_b64 s[30:31], exec, s[28:29]
	s_cbranch_execz .LBB6_11343
; %bb.11330:                            ;   in Loop: Header=BB6_10567 Depth=3
	v_and_b32_e32 v12, 0x7fffffff, v7
	v_mov_b32_e32 v13, v51
	v_cmp_gt_u64_e32 vcc, s[78:79], v[12:13]
	v_and_b32_sdwa v2, v7, s96 dst_sel:DWORD dst_unused:UNUSED_PAD src0_sel:BYTE_3 src1_sel:DWORD
                                        ; implicit-def: $vgpr0
                                        ; kill: killed $vgpr0
	s_and_saveexec_b64 s[28:29], vcc
	s_xor_b64 s[34:35], exec, s[28:29]
	s_cbranch_execz .LBB6_11340
; %bb.11331:                            ;   in Loop: Header=BB6_10567 Depth=3
	v_mov_b32_e32 v0, 0
	v_cmp_ne_u32_e32 vcc, 0, v7
	buffer_store_dword v0, off, s[0:3], s33 offset:220 ; 4-byte Folded Spill
	s_and_saveexec_b64 s[36:37], vcc
	s_cbranch_execz .LBB6_11339
; %bb.11332:                            ;   in Loop: Header=BB6_10567 Depth=3
	v_and_b32_e32 v0, 0x7fffff, v7
	v_bfe_u32 v7, v7, 23, 8
	v_cmp_gt_u32_e64 s[28:29], s97, v7
	v_sub_u32_e32 v1, 0x79, v7
	v_cmp_eq_u32_e32 vcc, 0, v7
	v_cndmask_b32_e64 v1, 0, v1, s[28:29]
	v_mov_b32_e32 v13, 0x78
	v_or_b32_e32 v12, 0x800000, v0
	v_cndmask_b32_e32 v15, v1, v13, vcc
	v_cndmask_b32_e32 v12, v12, v0, vcc
	v_add_u32_e32 v0, 20, v15
	v_lshlrev_b64 v[16:17], v0, -1
	v_mov_b32_e32 v13, v51
	v_add_u32_e32 v0, 19, v15
	v_bfi_b32 v16, v16, 0, v12
	v_lshlrev_b64 v[18:19], v0, 1
	v_lshrrev_b64 v[12:13], v15, v[12:13]
	v_bfi_b32 v17, v17, 0, 0
	v_cmp_eq_u64_e64 s[28:29], v[16:17], v[18:19]
	v_mov_b32_e32 v14, v13
	v_mov_b32_e32 v13, v12
	s_and_saveexec_b64 s[38:39], s[28:29]
; %bb.11333:                            ;   in Loop: Header=BB6_10567 Depth=3
	v_bfe_u32 v0, v12, 20, 1
	v_add_co_u32_e64 v0, s[28:29], v12, v0
	v_add_co_u32_e64 v13, s[28:29], -1, v0
; %bb.11334:                            ;   in Loop: Header=BB6_10567 Depth=3
	s_or_b64 exec, exec, s[38:39]
	v_add_u32_e32 v0, 0xffffff81, v7
	v_mov_b32_e32 v1, 0xffffff82
	v_cndmask_b32_e32 v0, v0, v1, vcc
	v_lshrrev_b32_e32 v1, 23, v12
	v_add3_u32 v15, v15, v0, v1
	v_add_u32_e32 v14, 6, v15
	v_and_b32_e32 v0, 0xfffff, v13
	v_add_u32_e32 v12, v0, v12
	v_mov_b32_e32 v13, v51
	v_cmp_ne_u32_e32 vcc, 0, v14
                                        ; implicit-def: $vgpr7
	s_and_saveexec_b64 s[28:29], vcc
	s_xor_b64 s[28:29], exec, s[28:29]
; %bb.11335:                            ;   in Loop: Header=BB6_10567 Depth=3
	v_cmp_lt_u64_e32 vcc, s[88:89], v[12:13]
	v_add_u32_e32 v0, 7, v15
	v_cndmask_b32_e32 v7, v14, v0, vcc
	v_cndmask_b32_e64 v0, 0, 1, vcc
	v_lshrrev_b64 v[12:13], v0, v[12:13]
; %bb.11336:                            ;   in Loop: Header=BB6_10567 Depth=3
	s_andn2_saveexec_b64 s[28:29], s[28:29]
; %bb.11337:                            ;   in Loop: Header=BB6_10567 Depth=3
	v_bfe_u32 v7, v12, 23, 1
; %bb.11338:                            ;   in Loop: Header=BB6_10567 Depth=3
	s_or_b64 exec, exec, s[28:29]
	v_lshrrev_b64 v[12:13], 20, v[12:13]
	v_cmp_gt_i32_e32 vcc, 16, v7
	v_cndmask_b32_e32 v13, 0, v13, vcc
	v_cndmask_b32_e32 v12, 7, v12, vcc
	v_min_i32_e32 v0, 15, v7
	v_cmp_eq_u64_e64 s[28:29], 0, v[12:13]
	v_lshlrev_b32_e32 v0, 3, v0
	v_cmp_eq_u32_e32 vcc, 0, v7
	v_and_b32_e32 v0, 0xf8, v0
	v_and_or_b32 v0, v12, 7, v0
	s_and_b64 s[28:29], vcc, s[28:29]
	v_cndmask_b32_e64 v0, v0, 0, s[28:29]
	v_or_b32_e32 v0, v0, v2
	buffer_store_dword v0, off, s[0:3], s33 offset:220 ; 4-byte Folded Spill
.LBB6_11339:                            ;   in Loop: Header=BB6_10567 Depth=3
	s_or_b64 exec, exec, s[36:37]
                                        ; implicit-def: $vgpr2
.LBB6_11340:                            ;   in Loop: Header=BB6_10567 Depth=3
	s_andn2_saveexec_b64 s[28:29], s[34:35]
	s_cbranch_execz .LBB6_11342
; %bb.11341:                            ;   in Loop: Header=BB6_10567 Depth=3
	v_or_b32_e32 v0, 0x7e, v2
	buffer_store_dword v0, off, s[0:3], s33 offset:220 ; 4-byte Folded Spill
.LBB6_11342:                            ;   in Loop: Header=BB6_10567 Depth=3
	s_or_b64 exec, exec, s[28:29]
                                        ; implicit-def: $vgpr7
.LBB6_11343:                            ;   in Loop: Header=BB6_10567 Depth=3
	s_andn2_saveexec_b64 s[28:29], s[30:31]
	s_cbranch_execz .LBB6_11345
; %bb.11344:                            ;   in Loop: Header=BB6_10567 Depth=3
	v_or_b32_sdwa v0, v7, s86 dst_sel:DWORD dst_unused:UNUSED_PAD src0_sel:BYTE_3 src1_sel:DWORD
	buffer_store_dword v0, off, s[0:3], s33 offset:220 ; 4-byte Folded Spill
.LBB6_11345:                            ;   in Loop: Header=BB6_10567 Depth=3
	s_or_b64 exec, exec, s[28:29]
	v_cmp_lt_u32_e32 vcc, s57, v8
	v_mov_b32_e32 v2, 0
	s_and_saveexec_b64 s[28:29], vcc
	s_cbranch_execz .LBB6_11351
; %bb.11346:                            ;   in Loop: Header=BB6_10567 Depth=3
	v_lshrrev_b32_e32 v12, 24, v8
	v_cmp_ne_u32_e32 vcc, s96, v12
	v_bfrev_b32_e32 v2, 1
	s_and_saveexec_b64 s[30:31], vcc
	s_cbranch_execz .LBB6_11350
; %bb.11347:                            ;   in Loop: Header=BB6_10567 Depth=3
	v_bfe_u32 v7, v8, 24, 7
	v_cmp_ne_u32_e32 vcc, s86, v7
	v_mov_b32_e32 v2, 0x7f800001
	s_and_saveexec_b64 s[34:35], vcc
	s_cbranch_execz .LBB6_11349
; %bb.11348:                            ;   in Loop: Header=BB6_10567 Depth=3
	v_and_b32_e32 v0, 7, v12
	v_ffbh_u32_e32 v2, v0
	v_min_u32_e32 v2, 32, v2
	v_lshrrev_b32_e32 v1, 3, v7
	v_cmp_gt_u32_e32 vcc, 8, v7
	v_subrev_u32_e32 v7, 28, v2
	v_lshlrev_b64 v[13:14], v7, v[12:13]
	v_sub_u32_e32 v2, 29, v2
	v_and_b32_e32 v7, 7, v13
	v_cndmask_b32_e32 v1, v1, v2, vcc
	v_cndmask_b32_e32 v0, v0, v7, vcc
	v_lshlrev_b32_e32 v2, 24, v12
	v_bfrev_b32_e32 v7, 60
	v_lshlrev_b32_e32 v0, 20, v0
	v_and_b32_e32 v2, 0x80000000, v2
	v_lshl_add_u32 v1, v1, 23, v7
	v_or3_b32 v2, v2, v1, v0
.LBB6_11349:                            ;   in Loop: Header=BB6_10567 Depth=3
	s_or_b64 exec, exec, s[34:35]
.LBB6_11350:                            ;   in Loop: Header=BB6_10567 Depth=3
	s_or_b64 exec, exec, s[30:31]
.LBB6_11351:                            ;   in Loop: Header=BB6_10567 Depth=3
	s_or_b64 exec, exec, s[28:29]
	v_mul_f32_e32 v7, v5, v2
	v_and_b32_e32 v12, 0x7f800000, v7
	v_mov_b32_e32 v13, v51
	v_cmp_ne_u64_e32 vcc, s[76:77], v[12:13]
                                        ; implicit-def: $vgpr0
                                        ; kill: killed $vgpr0
	s_and_saveexec_b64 s[28:29], vcc
	s_xor_b64 s[30:31], exec, s[28:29]
	s_cbranch_execz .LBB6_11365
; %bb.11352:                            ;   in Loop: Header=BB6_10567 Depth=3
	v_and_b32_e32 v12, 0x7fffffff, v7
	v_mov_b32_e32 v13, v51
	v_cmp_gt_u64_e32 vcc, s[78:79], v[12:13]
	v_and_b32_sdwa v2, v7, s96 dst_sel:DWORD dst_unused:UNUSED_PAD src0_sel:BYTE_3 src1_sel:DWORD
                                        ; implicit-def: $vgpr0
                                        ; kill: killed $vgpr0
	s_and_saveexec_b64 s[28:29], vcc
	s_xor_b64 s[34:35], exec, s[28:29]
	s_cbranch_execz .LBB6_11362
; %bb.11353:                            ;   in Loop: Header=BB6_10567 Depth=3
	v_mov_b32_e32 v0, 0
	v_cmp_ne_u32_e32 vcc, 0, v7
	buffer_store_dword v0, off, s[0:3], s33 offset:236 ; 4-byte Folded Spill
	s_and_saveexec_b64 s[36:37], vcc
	s_cbranch_execz .LBB6_11361
; %bb.11354:                            ;   in Loop: Header=BB6_10567 Depth=3
	v_and_b32_e32 v0, 0x7fffff, v7
	v_bfe_u32 v7, v7, 23, 8
	v_cmp_gt_u32_e64 s[28:29], s97, v7
	v_sub_u32_e32 v1, 0x79, v7
	v_cmp_eq_u32_e32 vcc, 0, v7
	v_cndmask_b32_e64 v1, 0, v1, s[28:29]
	v_mov_b32_e32 v13, 0x78
	v_or_b32_e32 v12, 0x800000, v0
	v_cndmask_b32_e32 v15, v1, v13, vcc
	v_cndmask_b32_e32 v12, v12, v0, vcc
	v_add_u32_e32 v0, 20, v15
	v_lshlrev_b64 v[16:17], v0, -1
	v_mov_b32_e32 v13, v51
	v_add_u32_e32 v0, 19, v15
	v_bfi_b32 v16, v16, 0, v12
	v_lshlrev_b64 v[18:19], v0, 1
	v_lshrrev_b64 v[12:13], v15, v[12:13]
	v_bfi_b32 v17, v17, 0, 0
	v_cmp_eq_u64_e64 s[28:29], v[16:17], v[18:19]
	v_mov_b32_e32 v14, v13
	v_mov_b32_e32 v13, v12
	s_and_saveexec_b64 s[38:39], s[28:29]
; %bb.11355:                            ;   in Loop: Header=BB6_10567 Depth=3
	v_bfe_u32 v0, v12, 20, 1
	v_add_co_u32_e64 v0, s[28:29], v12, v0
	v_add_co_u32_e64 v13, s[28:29], -1, v0
; %bb.11356:                            ;   in Loop: Header=BB6_10567 Depth=3
	s_or_b64 exec, exec, s[38:39]
	v_add_u32_e32 v0, 0xffffff81, v7
	v_mov_b32_e32 v1, 0xffffff82
	v_cndmask_b32_e32 v0, v0, v1, vcc
	v_lshrrev_b32_e32 v1, 23, v12
	v_add3_u32 v15, v15, v0, v1
	v_add_u32_e32 v14, 6, v15
	v_and_b32_e32 v0, 0xfffff, v13
	v_add_u32_e32 v12, v0, v12
	v_mov_b32_e32 v13, v51
	v_cmp_ne_u32_e32 vcc, 0, v14
                                        ; implicit-def: $vgpr7
	s_and_saveexec_b64 s[28:29], vcc
	s_xor_b64 s[28:29], exec, s[28:29]
; %bb.11357:                            ;   in Loop: Header=BB6_10567 Depth=3
	v_cmp_lt_u64_e32 vcc, s[88:89], v[12:13]
	v_add_u32_e32 v0, 7, v15
	v_cndmask_b32_e32 v7, v14, v0, vcc
	v_cndmask_b32_e64 v0, 0, 1, vcc
	v_lshrrev_b64 v[12:13], v0, v[12:13]
; %bb.11358:                            ;   in Loop: Header=BB6_10567 Depth=3
	s_andn2_saveexec_b64 s[28:29], s[28:29]
; %bb.11359:                            ;   in Loop: Header=BB6_10567 Depth=3
	v_bfe_u32 v7, v12, 23, 1
; %bb.11360:                            ;   in Loop: Header=BB6_10567 Depth=3
	s_or_b64 exec, exec, s[28:29]
	v_lshrrev_b64 v[12:13], 20, v[12:13]
	v_cmp_gt_i32_e32 vcc, 16, v7
	v_cndmask_b32_e32 v13, 0, v13, vcc
	v_cndmask_b32_e32 v12, 7, v12, vcc
	v_min_i32_e32 v0, 15, v7
	v_cmp_eq_u64_e64 s[28:29], 0, v[12:13]
	v_lshlrev_b32_e32 v0, 3, v0
	v_cmp_eq_u32_e32 vcc, 0, v7
	v_and_b32_e32 v0, 0xf8, v0
	v_and_or_b32 v0, v12, 7, v0
	s_and_b64 s[28:29], vcc, s[28:29]
	v_cndmask_b32_e64 v0, v0, 0, s[28:29]
	v_or_b32_e32 v0, v0, v2
	buffer_store_dword v0, off, s[0:3], s33 offset:236 ; 4-byte Folded Spill
.LBB6_11361:                            ;   in Loop: Header=BB6_10567 Depth=3
	s_or_b64 exec, exec, s[36:37]
                                        ; implicit-def: $vgpr2
.LBB6_11362:                            ;   in Loop: Header=BB6_10567 Depth=3
	s_andn2_saveexec_b64 s[28:29], s[34:35]
	s_cbranch_execz .LBB6_11364
; %bb.11363:                            ;   in Loop: Header=BB6_10567 Depth=3
	v_or_b32_e32 v0, 0x7e, v2
	buffer_store_dword v0, off, s[0:3], s33 offset:236 ; 4-byte Folded Spill
.LBB6_11364:                            ;   in Loop: Header=BB6_10567 Depth=3
	s_or_b64 exec, exec, s[28:29]
                                        ; implicit-def: $vgpr7
.LBB6_11365:                            ;   in Loop: Header=BB6_10567 Depth=3
	s_andn2_saveexec_b64 s[28:29], s[30:31]
	s_cbranch_execz .LBB6_11367
; %bb.11366:                            ;   in Loop: Header=BB6_10567 Depth=3
	v_or_b32_sdwa v0, v7, s86 dst_sel:DWORD dst_unused:UNUSED_PAD src0_sel:BYTE_3 src1_sel:DWORD
	buffer_store_dword v0, off, s[0:3], s33 offset:236 ; 4-byte Folded Spill
.LBB6_11367:                            ;   in Loop: Header=BB6_10567 Depth=3
	s_or_b64 exec, exec, s[28:29]
	v_mov_b32_e32 v12, v9
	v_mov_b32_e32 v13, v51
	v_cmp_ne_u16_sdwa vcc, v9, v51 src0_sel:BYTE_0 src1_sel:DWORD
	v_mov_b32_e32 v2, 0
	s_and_saveexec_b64 s[28:29], vcc
	s_cbranch_execz .LBB6_11373
; %bb.11368:                            ;   in Loop: Header=BB6_10567 Depth=3
	v_cmp_ne_u16_sdwa vcc, v9, s96 src0_sel:BYTE_0 src1_sel:DWORD
	v_bfrev_b32_e32 v2, 1
	s_and_saveexec_b64 s[30:31], vcc
	s_cbranch_execz .LBB6_11372
; %bb.11369:                            ;   in Loop: Header=BB6_10567 Depth=3
	v_and_b32_e32 v7, 0x7f, v9
	v_cmp_ne_u32_e32 vcc, s86, v7
	v_mov_b32_e32 v2, 0x7f800001
	s_and_saveexec_b64 s[34:35], vcc
	s_cbranch_execz .LBB6_11371
; %bb.11370:                            ;   in Loop: Header=BB6_10567 Depth=3
	v_and_b32_e32 v0, 7, v9
	v_ffbh_u32_e32 v0, v0
	v_min_u32_e32 v0, 32, v0
	v_lshrrev_b32_e32 v1, 3, v7
	v_cmp_gt_u32_e32 vcc, 8, v7
	v_subrev_u32_e32 v2, 28, v0
	v_sub_u32_e32 v0, 29, v0
	v_cndmask_b32_e32 v0, v1, v0, vcc
	v_cndmask_b32_e32 v1, 0, v2, vcc
	v_lshlrev_b64 v[13:14], v1, v[12:13]
	v_lshlrev_b32_e32 v2, 24, v12
	v_lshlrev_b32_e32 v1, 20, v13
	v_bfrev_b32_e32 v7, 60
	v_and_b32_e32 v1, 0x700000, v1
	v_and_b32_e32 v2, 0x80000000, v2
	v_lshl_add_u32 v0, v0, 23, v7
	v_or3_b32 v2, v2, v0, v1
.LBB6_11371:                            ;   in Loop: Header=BB6_10567 Depth=3
	s_or_b64 exec, exec, s[34:35]
.LBB6_11372:                            ;   in Loop: Header=BB6_10567 Depth=3
	s_or_b64 exec, exec, s[30:31]
.LBB6_11373:                            ;   in Loop: Header=BB6_10567 Depth=3
	s_or_b64 exec, exec, s[28:29]
	v_mul_f32_e32 v7, v5, v2
	v_and_b32_e32 v13, 0x7f800000, v7
	v_mov_b32_e32 v14, v51
	v_cmp_ne_u64_e32 vcc, s[76:77], v[13:14]
                                        ; implicit-def: $vgpr30
	s_and_saveexec_b64 s[28:29], vcc
	s_xor_b64 s[30:31], exec, s[28:29]
	s_cbranch_execz .LBB6_11387
; %bb.11374:                            ;   in Loop: Header=BB6_10567 Depth=3
	v_and_b32_e32 v13, 0x7fffffff, v7
	v_mov_b32_e32 v14, v51
	v_cmp_gt_u64_e32 vcc, s[78:79], v[13:14]
	v_and_b32_sdwa v2, v7, s96 dst_sel:DWORD dst_unused:UNUSED_PAD src0_sel:BYTE_3 src1_sel:DWORD
                                        ; implicit-def: $vgpr30
	s_and_saveexec_b64 s[28:29], vcc
	s_xor_b64 s[34:35], exec, s[28:29]
	s_cbranch_execz .LBB6_11384
; %bb.11375:                            ;   in Loop: Header=BB6_10567 Depth=3
	v_mov_b32_e32 v30, 0
	v_cmp_ne_u32_e32 vcc, 0, v7
	s_and_saveexec_b64 s[36:37], vcc
	s_cbranch_execz .LBB6_11383
; %bb.11376:                            ;   in Loop: Header=BB6_10567 Depth=3
	v_and_b32_e32 v0, 0x7fffff, v7
	v_bfe_u32 v7, v7, 23, 8
	v_cmp_gt_u32_e64 s[28:29], s97, v7
	v_sub_u32_e32 v1, 0x79, v7
	v_cmp_eq_u32_e32 vcc, 0, v7
	v_cndmask_b32_e64 v1, 0, v1, s[28:29]
	v_mov_b32_e32 v14, 0x78
	v_or_b32_e32 v13, 0x800000, v0
	v_cndmask_b32_e32 v16, v1, v14, vcc
	v_cndmask_b32_e32 v13, v13, v0, vcc
	v_add_u32_e32 v0, 20, v16
	v_lshlrev_b64 v[17:18], v0, -1
	v_mov_b32_e32 v14, v51
	v_add_u32_e32 v0, 19, v16
	v_bfi_b32 v17, v17, 0, v13
	v_lshlrev_b64 v[19:20], v0, 1
	v_lshrrev_b64 v[13:14], v16, v[13:14]
	v_bfi_b32 v18, v18, 0, 0
	v_cmp_eq_u64_e64 s[28:29], v[17:18], v[19:20]
	v_mov_b32_e32 v15, v14
	v_mov_b32_e32 v14, v13
	s_and_saveexec_b64 s[38:39], s[28:29]
; %bb.11377:                            ;   in Loop: Header=BB6_10567 Depth=3
	v_bfe_u32 v0, v13, 20, 1
	v_add_co_u32_e64 v0, s[28:29], v13, v0
	v_add_co_u32_e64 v14, s[28:29], -1, v0
; %bb.11378:                            ;   in Loop: Header=BB6_10567 Depth=3
	s_or_b64 exec, exec, s[38:39]
	v_add_u32_e32 v0, 0xffffff81, v7
	v_mov_b32_e32 v1, 0xffffff82
	v_cndmask_b32_e32 v0, v0, v1, vcc
	v_lshrrev_b32_e32 v1, 23, v13
	v_add3_u32 v16, v16, v0, v1
	v_add_u32_e32 v15, 6, v16
	v_and_b32_e32 v0, 0xfffff, v14
	v_add_u32_e32 v13, v0, v13
	v_mov_b32_e32 v14, v51
	v_cmp_ne_u32_e32 vcc, 0, v15
                                        ; implicit-def: $vgpr7
	s_and_saveexec_b64 s[28:29], vcc
	s_xor_b64 s[28:29], exec, s[28:29]
; %bb.11379:                            ;   in Loop: Header=BB6_10567 Depth=3
	v_cmp_lt_u64_e32 vcc, s[88:89], v[13:14]
	v_add_u32_e32 v0, 7, v16
	v_cndmask_b32_e32 v7, v15, v0, vcc
	v_cndmask_b32_e64 v0, 0, 1, vcc
	v_lshrrev_b64 v[13:14], v0, v[13:14]
; %bb.11380:                            ;   in Loop: Header=BB6_10567 Depth=3
	s_andn2_saveexec_b64 s[28:29], s[28:29]
; %bb.11381:                            ;   in Loop: Header=BB6_10567 Depth=3
	v_bfe_u32 v7, v13, 23, 1
; %bb.11382:                            ;   in Loop: Header=BB6_10567 Depth=3
	s_or_b64 exec, exec, s[28:29]
	v_lshrrev_b64 v[13:14], 20, v[13:14]
	v_cmp_gt_i32_e32 vcc, 16, v7
	v_cndmask_b32_e32 v14, 0, v14, vcc
	v_cndmask_b32_e32 v13, 7, v13, vcc
	v_min_i32_e32 v0, 15, v7
	v_cmp_eq_u64_e64 s[28:29], 0, v[13:14]
	v_lshlrev_b32_e32 v0, 3, v0
	v_cmp_eq_u32_e32 vcc, 0, v7
	v_and_b32_e32 v0, 0xf8, v0
	v_and_or_b32 v0, v13, 7, v0
	s_and_b64 s[28:29], vcc, s[28:29]
	v_cndmask_b32_e64 v0, v0, 0, s[28:29]
	v_or_b32_e32 v30, v0, v2
.LBB6_11383:                            ;   in Loop: Header=BB6_10567 Depth=3
	s_or_b64 exec, exec, s[36:37]
                                        ; implicit-def: $vgpr2
.LBB6_11384:                            ;   in Loop: Header=BB6_10567 Depth=3
	s_andn2_saveexec_b64 s[28:29], s[34:35]
; %bb.11385:                            ;   in Loop: Header=BB6_10567 Depth=3
	v_or_b32_e32 v30, 0x7e, v2
; %bb.11386:                            ;   in Loop: Header=BB6_10567 Depth=3
	s_or_b64 exec, exec, s[28:29]
                                        ; implicit-def: $vgpr7
.LBB6_11387:                            ;   in Loop: Header=BB6_10567 Depth=3
	s_andn2_saveexec_b64 s[28:29], s[30:31]
; %bb.11388:                            ;   in Loop: Header=BB6_10567 Depth=3
	v_or_b32_sdwa v30, v7, s86 dst_sel:DWORD dst_unused:UNUSED_PAD src0_sel:BYTE_3 src1_sel:DWORD
; %bb.11389:                            ;   in Loop: Header=BB6_10567 Depth=3
	s_or_b64 exec, exec, s[28:29]
	v_lshrrev_b16_e32 v13, 8, v12
	v_cmp_ne_u16_e32 vcc, 0, v13
	v_mov_b32_e32 v2, 0
	s_and_saveexec_b64 s[28:29], vcc
	s_cbranch_execz .LBB6_11395
; %bb.11390:                            ;   in Loop: Header=BB6_10567 Depth=3
	v_cmp_ne_u16_e32 vcc, s96, v13
	v_bfrev_b32_e32 v2, 1
	s_and_saveexec_b64 s[30:31], vcc
	s_cbranch_execz .LBB6_11394
; %bb.11391:                            ;   in Loop: Header=BB6_10567 Depth=3
	v_and_b32_e32 v7, 0x7f, v13
	v_cmp_ne_u32_e32 vcc, s86, v7
	v_mov_b32_e32 v2, 0x7f800001
	s_and_saveexec_b64 s[34:35], vcc
	s_cbranch_execz .LBB6_11393
; %bb.11392:                            ;   in Loop: Header=BB6_10567 Depth=3
	v_and_b32_e32 v0, 7, v13
	v_ffbh_u32_e32 v2, v0
	v_min_u32_e32 v2, 32, v2
	v_lshrrev_b32_e32 v1, 3, v7
	v_cmp_gt_u32_e32 vcc, 8, v7
	v_subrev_u32_e32 v7, 28, v2
	v_lshlrev_b64 v[13:14], v7, v[13:14]
	v_sub_u32_e32 v2, 29, v2
	v_and_b32_e32 v7, 7, v13
	v_cndmask_b32_e32 v1, v1, v2, vcc
	v_cndmask_b32_e32 v0, v0, v7, vcc
	v_lshlrev_b32_e32 v2, 16, v12
	v_bfrev_b32_e32 v7, 60
	v_lshlrev_b32_e32 v0, 20, v0
	v_and_b32_e32 v2, 0x80000000, v2
	v_lshl_add_u32 v1, v1, 23, v7
	v_or3_b32 v2, v2, v1, v0
.LBB6_11393:                            ;   in Loop: Header=BB6_10567 Depth=3
	s_or_b64 exec, exec, s[34:35]
.LBB6_11394:                            ;   in Loop: Header=BB6_10567 Depth=3
	s_or_b64 exec, exec, s[30:31]
.LBB6_11395:                            ;   in Loop: Header=BB6_10567 Depth=3
	s_or_b64 exec, exec, s[28:29]
	v_mul_f32_e32 v7, v5, v2
	v_and_b32_e32 v12, 0x7f800000, v7
	v_mov_b32_e32 v13, v51
	v_cmp_ne_u64_e32 vcc, s[76:77], v[12:13]
                                        ; implicit-def: $vgpr0
                                        ; kill: killed $vgpr0
	s_and_saveexec_b64 s[28:29], vcc
	s_xor_b64 s[30:31], exec, s[28:29]
	s_cbranch_execz .LBB6_11409
; %bb.11396:                            ;   in Loop: Header=BB6_10567 Depth=3
	v_and_b32_e32 v12, 0x7fffffff, v7
	v_mov_b32_e32 v13, v51
	v_cmp_gt_u64_e32 vcc, s[78:79], v[12:13]
	v_and_b32_sdwa v2, v7, s96 dst_sel:DWORD dst_unused:UNUSED_PAD src0_sel:BYTE_3 src1_sel:DWORD
                                        ; implicit-def: $vgpr0
                                        ; kill: killed $vgpr0
	s_and_saveexec_b64 s[28:29], vcc
	s_xor_b64 s[34:35], exec, s[28:29]
	s_cbranch_execz .LBB6_11406
; %bb.11397:                            ;   in Loop: Header=BB6_10567 Depth=3
	v_mov_b32_e32 v0, 0
	v_cmp_ne_u32_e32 vcc, 0, v7
	buffer_store_dword v0, off, s[0:3], s33 offset:184 ; 4-byte Folded Spill
	s_and_saveexec_b64 s[36:37], vcc
	s_cbranch_execz .LBB6_11405
; %bb.11398:                            ;   in Loop: Header=BB6_10567 Depth=3
	v_and_b32_e32 v0, 0x7fffff, v7
	v_bfe_u32 v7, v7, 23, 8
	v_cmp_gt_u32_e64 s[28:29], s97, v7
	v_sub_u32_e32 v1, 0x79, v7
	v_cmp_eq_u32_e32 vcc, 0, v7
	v_cndmask_b32_e64 v1, 0, v1, s[28:29]
	v_mov_b32_e32 v13, 0x78
	v_or_b32_e32 v12, 0x800000, v0
	v_cndmask_b32_e32 v15, v1, v13, vcc
	v_cndmask_b32_e32 v12, v12, v0, vcc
	v_add_u32_e32 v0, 20, v15
	v_lshlrev_b64 v[16:17], v0, -1
	v_mov_b32_e32 v13, v51
	v_add_u32_e32 v0, 19, v15
	v_bfi_b32 v16, v16, 0, v12
	v_lshlrev_b64 v[18:19], v0, 1
	v_lshrrev_b64 v[12:13], v15, v[12:13]
	v_bfi_b32 v17, v17, 0, 0
	v_cmp_eq_u64_e64 s[28:29], v[16:17], v[18:19]
	v_mov_b32_e32 v14, v13
	v_mov_b32_e32 v13, v12
	s_and_saveexec_b64 s[38:39], s[28:29]
; %bb.11399:                            ;   in Loop: Header=BB6_10567 Depth=3
	v_bfe_u32 v0, v12, 20, 1
	v_add_co_u32_e64 v0, s[28:29], v12, v0
	v_add_co_u32_e64 v13, s[28:29], -1, v0
; %bb.11400:                            ;   in Loop: Header=BB6_10567 Depth=3
	s_or_b64 exec, exec, s[38:39]
	v_add_u32_e32 v0, 0xffffff81, v7
	v_mov_b32_e32 v1, 0xffffff82
	v_cndmask_b32_e32 v0, v0, v1, vcc
	v_lshrrev_b32_e32 v1, 23, v12
	v_add3_u32 v15, v15, v0, v1
	v_add_u32_e32 v14, 6, v15
	v_and_b32_e32 v0, 0xfffff, v13
	v_add_u32_e32 v12, v0, v12
	v_mov_b32_e32 v13, v51
	v_cmp_ne_u32_e32 vcc, 0, v14
                                        ; implicit-def: $vgpr7
	s_and_saveexec_b64 s[28:29], vcc
	s_xor_b64 s[28:29], exec, s[28:29]
; %bb.11401:                            ;   in Loop: Header=BB6_10567 Depth=3
	v_cmp_lt_u64_e32 vcc, s[88:89], v[12:13]
	v_add_u32_e32 v0, 7, v15
	v_cndmask_b32_e32 v7, v14, v0, vcc
	v_cndmask_b32_e64 v0, 0, 1, vcc
	v_lshrrev_b64 v[12:13], v0, v[12:13]
; %bb.11402:                            ;   in Loop: Header=BB6_10567 Depth=3
	s_andn2_saveexec_b64 s[28:29], s[28:29]
; %bb.11403:                            ;   in Loop: Header=BB6_10567 Depth=3
	v_bfe_u32 v7, v12, 23, 1
; %bb.11404:                            ;   in Loop: Header=BB6_10567 Depth=3
	s_or_b64 exec, exec, s[28:29]
	v_lshrrev_b64 v[12:13], 20, v[12:13]
	v_cmp_gt_i32_e32 vcc, 16, v7
	v_cndmask_b32_e32 v13, 0, v13, vcc
	v_cndmask_b32_e32 v12, 7, v12, vcc
	v_min_i32_e32 v0, 15, v7
	v_cmp_eq_u64_e64 s[28:29], 0, v[12:13]
	v_lshlrev_b32_e32 v0, 3, v0
	v_cmp_eq_u32_e32 vcc, 0, v7
	v_and_b32_e32 v0, 0xf8, v0
	v_and_or_b32 v0, v12, 7, v0
	s_and_b64 s[28:29], vcc, s[28:29]
	v_cndmask_b32_e64 v0, v0, 0, s[28:29]
	v_or_b32_e32 v0, v0, v2
	buffer_store_dword v0, off, s[0:3], s33 offset:184 ; 4-byte Folded Spill
.LBB6_11405:                            ;   in Loop: Header=BB6_10567 Depth=3
	s_or_b64 exec, exec, s[36:37]
                                        ; implicit-def: $vgpr2
.LBB6_11406:                            ;   in Loop: Header=BB6_10567 Depth=3
	s_andn2_saveexec_b64 s[28:29], s[34:35]
	s_cbranch_execz .LBB6_11408
; %bb.11407:                            ;   in Loop: Header=BB6_10567 Depth=3
	v_or_b32_e32 v0, 0x7e, v2
	buffer_store_dword v0, off, s[0:3], s33 offset:184 ; 4-byte Folded Spill
.LBB6_11408:                            ;   in Loop: Header=BB6_10567 Depth=3
	s_or_b64 exec, exec, s[28:29]
                                        ; implicit-def: $vgpr7
.LBB6_11409:                            ;   in Loop: Header=BB6_10567 Depth=3
	s_andn2_saveexec_b64 s[28:29], s[30:31]
	s_cbranch_execz .LBB6_11411
; %bb.11410:                            ;   in Loop: Header=BB6_10567 Depth=3
	v_or_b32_sdwa v0, v7, s86 dst_sel:DWORD dst_unused:UNUSED_PAD src0_sel:BYTE_3 src1_sel:DWORD
	buffer_store_dword v0, off, s[0:3], s33 offset:184 ; 4-byte Folded Spill
.LBB6_11411:                            ;   in Loop: Header=BB6_10567 Depth=3
	s_or_b64 exec, exec, s[28:29]
	v_lshrrev_b32_e32 v12, 16, v9
	v_cmp_ne_u16_sdwa vcc, v12, v51 src0_sel:BYTE_0 src1_sel:DWORD
	v_mov_b32_e32 v2, 0
	s_and_saveexec_b64 s[28:29], vcc
	s_cbranch_execz .LBB6_11417
; %bb.11412:                            ;   in Loop: Header=BB6_10567 Depth=3
	v_cmp_ne_u16_sdwa vcc, v12, s96 src0_sel:BYTE_0 src1_sel:DWORD
	v_bfrev_b32_e32 v2, 1
	s_and_saveexec_b64 s[30:31], vcc
	s_cbranch_execz .LBB6_11416
; %bb.11413:                            ;   in Loop: Header=BB6_10567 Depth=3
	v_bfe_u32 v7, v9, 16, 7
	v_cmp_ne_u32_e32 vcc, s86, v7
	v_mov_b32_e32 v2, 0x7f800001
	s_and_saveexec_b64 s[34:35], vcc
	s_cbranch_execz .LBB6_11415
; %bb.11414:                            ;   in Loop: Header=BB6_10567 Depth=3
	v_and_b32_e32 v0, 7, v12
	v_ffbh_u32_e32 v2, v0
	v_min_u32_e32 v2, 32, v2
	v_lshrrev_b32_e32 v1, 3, v7
	v_cmp_gt_u32_e32 vcc, 8, v7
	v_subrev_u32_e32 v7, 28, v2
	v_lshlrev_b64 v[13:14], v7, v[12:13]
	v_sub_u32_e32 v2, 29, v2
	v_and_b32_e32 v7, 7, v13
	v_cndmask_b32_e32 v1, v1, v2, vcc
	v_cndmask_b32_e32 v0, v0, v7, vcc
	v_lshlrev_b32_e32 v2, 24, v12
	v_bfrev_b32_e32 v7, 60
	v_lshlrev_b32_e32 v0, 20, v0
	v_and_b32_e32 v2, 0x80000000, v2
	v_lshl_add_u32 v1, v1, 23, v7
	v_or3_b32 v2, v2, v1, v0
.LBB6_11415:                            ;   in Loop: Header=BB6_10567 Depth=3
	s_or_b64 exec, exec, s[34:35]
.LBB6_11416:                            ;   in Loop: Header=BB6_10567 Depth=3
	s_or_b64 exec, exec, s[30:31]
.LBB6_11417:                            ;   in Loop: Header=BB6_10567 Depth=3
	s_or_b64 exec, exec, s[28:29]
	v_mul_f32_e32 v7, v5, v2
	v_and_b32_e32 v12, 0x7f800000, v7
	v_mov_b32_e32 v13, v51
	v_cmp_ne_u64_e32 vcc, s[76:77], v[12:13]
                                        ; implicit-def: $vgpr0
                                        ; kill: killed $vgpr0
	s_and_saveexec_b64 s[28:29], vcc
	s_xor_b64 s[30:31], exec, s[28:29]
	s_cbranch_execz .LBB6_11431
; %bb.11418:                            ;   in Loop: Header=BB6_10567 Depth=3
	v_and_b32_e32 v12, 0x7fffffff, v7
	v_mov_b32_e32 v13, v51
	v_cmp_gt_u64_e32 vcc, s[78:79], v[12:13]
	v_and_b32_sdwa v2, v7, s96 dst_sel:DWORD dst_unused:UNUSED_PAD src0_sel:BYTE_3 src1_sel:DWORD
                                        ; implicit-def: $vgpr0
                                        ; kill: killed $vgpr0
	s_and_saveexec_b64 s[28:29], vcc
	s_xor_b64 s[34:35], exec, s[28:29]
	s_cbranch_execz .LBB6_11428
; %bb.11419:                            ;   in Loop: Header=BB6_10567 Depth=3
	v_mov_b32_e32 v0, 0
	v_cmp_ne_u32_e32 vcc, 0, v7
	buffer_store_dword v0, off, s[0:3], s33 offset:204 ; 4-byte Folded Spill
	s_and_saveexec_b64 s[36:37], vcc
	s_cbranch_execz .LBB6_11427
; %bb.11420:                            ;   in Loop: Header=BB6_10567 Depth=3
	v_and_b32_e32 v0, 0x7fffff, v7
	v_bfe_u32 v7, v7, 23, 8
	v_cmp_gt_u32_e64 s[28:29], s97, v7
	v_sub_u32_e32 v1, 0x79, v7
	v_cmp_eq_u32_e32 vcc, 0, v7
	v_cndmask_b32_e64 v1, 0, v1, s[28:29]
	v_mov_b32_e32 v13, 0x78
	v_or_b32_e32 v12, 0x800000, v0
	v_cndmask_b32_e32 v15, v1, v13, vcc
	v_cndmask_b32_e32 v12, v12, v0, vcc
	v_add_u32_e32 v0, 20, v15
	v_lshlrev_b64 v[16:17], v0, -1
	v_mov_b32_e32 v13, v51
	v_add_u32_e32 v0, 19, v15
	v_bfi_b32 v16, v16, 0, v12
	v_lshlrev_b64 v[18:19], v0, 1
	v_lshrrev_b64 v[12:13], v15, v[12:13]
	v_bfi_b32 v17, v17, 0, 0
	v_cmp_eq_u64_e64 s[28:29], v[16:17], v[18:19]
	v_mov_b32_e32 v14, v13
	v_mov_b32_e32 v13, v12
	s_and_saveexec_b64 s[38:39], s[28:29]
; %bb.11421:                            ;   in Loop: Header=BB6_10567 Depth=3
	v_bfe_u32 v0, v12, 20, 1
	v_add_co_u32_e64 v0, s[28:29], v12, v0
	v_add_co_u32_e64 v13, s[28:29], -1, v0
; %bb.11422:                            ;   in Loop: Header=BB6_10567 Depth=3
	s_or_b64 exec, exec, s[38:39]
	v_add_u32_e32 v0, 0xffffff81, v7
	v_mov_b32_e32 v1, 0xffffff82
	v_cndmask_b32_e32 v0, v0, v1, vcc
	v_lshrrev_b32_e32 v1, 23, v12
	v_add3_u32 v15, v15, v0, v1
	v_add_u32_e32 v14, 6, v15
	v_and_b32_e32 v0, 0xfffff, v13
	v_add_u32_e32 v12, v0, v12
	v_mov_b32_e32 v13, v51
	v_cmp_ne_u32_e32 vcc, 0, v14
                                        ; implicit-def: $vgpr7
	s_and_saveexec_b64 s[28:29], vcc
	s_xor_b64 s[28:29], exec, s[28:29]
; %bb.11423:                            ;   in Loop: Header=BB6_10567 Depth=3
	v_cmp_lt_u64_e32 vcc, s[88:89], v[12:13]
	v_add_u32_e32 v0, 7, v15
	v_cndmask_b32_e32 v7, v14, v0, vcc
	v_cndmask_b32_e64 v0, 0, 1, vcc
	v_lshrrev_b64 v[12:13], v0, v[12:13]
; %bb.11424:                            ;   in Loop: Header=BB6_10567 Depth=3
	s_andn2_saveexec_b64 s[28:29], s[28:29]
; %bb.11425:                            ;   in Loop: Header=BB6_10567 Depth=3
	v_bfe_u32 v7, v12, 23, 1
; %bb.11426:                            ;   in Loop: Header=BB6_10567 Depth=3
	s_or_b64 exec, exec, s[28:29]
	v_lshrrev_b64 v[12:13], 20, v[12:13]
	v_cmp_gt_i32_e32 vcc, 16, v7
	v_cndmask_b32_e32 v13, 0, v13, vcc
	v_cndmask_b32_e32 v12, 7, v12, vcc
	v_min_i32_e32 v0, 15, v7
	v_cmp_eq_u64_e64 s[28:29], 0, v[12:13]
	v_lshlrev_b32_e32 v0, 3, v0
	v_cmp_eq_u32_e32 vcc, 0, v7
	v_and_b32_e32 v0, 0xf8, v0
	v_and_or_b32 v0, v12, 7, v0
	s_and_b64 s[28:29], vcc, s[28:29]
	v_cndmask_b32_e64 v0, v0, 0, s[28:29]
	v_or_b32_e32 v0, v0, v2
	buffer_store_dword v0, off, s[0:3], s33 offset:204 ; 4-byte Folded Spill
.LBB6_11427:                            ;   in Loop: Header=BB6_10567 Depth=3
	s_or_b64 exec, exec, s[36:37]
                                        ; implicit-def: $vgpr2
.LBB6_11428:                            ;   in Loop: Header=BB6_10567 Depth=3
	s_andn2_saveexec_b64 s[28:29], s[34:35]
	s_cbranch_execz .LBB6_11430
; %bb.11429:                            ;   in Loop: Header=BB6_10567 Depth=3
	v_or_b32_e32 v0, 0x7e, v2
	buffer_store_dword v0, off, s[0:3], s33 offset:204 ; 4-byte Folded Spill
.LBB6_11430:                            ;   in Loop: Header=BB6_10567 Depth=3
	s_or_b64 exec, exec, s[28:29]
                                        ; implicit-def: $vgpr7
.LBB6_11431:                            ;   in Loop: Header=BB6_10567 Depth=3
	s_andn2_saveexec_b64 s[28:29], s[30:31]
	s_cbranch_execz .LBB6_11433
; %bb.11432:                            ;   in Loop: Header=BB6_10567 Depth=3
	v_or_b32_sdwa v0, v7, s86 dst_sel:DWORD dst_unused:UNUSED_PAD src0_sel:BYTE_3 src1_sel:DWORD
	buffer_store_dword v0, off, s[0:3], s33 offset:204 ; 4-byte Folded Spill
.LBB6_11433:                            ;   in Loop: Header=BB6_10567 Depth=3
	s_or_b64 exec, exec, s[28:29]
	v_cmp_lt_u64_e32 vcc, s[56:57], v[8:9]
	v_mov_b32_e32 v2, 0
	s_and_saveexec_b64 s[28:29], vcc
	s_cbranch_execz .LBB6_11439
; %bb.11434:                            ;   in Loop: Header=BB6_10567 Depth=3
	v_lshrrev_b32_e32 v8, 24, v9
	v_cmp_ne_u32_e32 vcc, s96, v8
	v_bfrev_b32_e32 v2, 1
	s_and_saveexec_b64 s[30:31], vcc
	s_cbranch_execz .LBB6_11438
; %bb.11435:                            ;   in Loop: Header=BB6_10567 Depth=3
	v_bfe_u32 v7, v9, 24, 7
	v_cmp_ne_u32_e32 vcc, s86, v7
	v_mov_b32_e32 v2, 0x7f800001
	s_and_saveexec_b64 s[34:35], vcc
	s_cbranch_execz .LBB6_11437
; %bb.11436:                            ;   in Loop: Header=BB6_10567 Depth=3
	v_and_b32_e32 v0, 7, v8
	v_ffbh_u32_e32 v2, v0
	v_min_u32_e32 v2, 32, v2
	v_lshrrev_b32_e32 v1, 3, v7
	v_cmp_gt_u32_e32 vcc, 8, v7
	v_subrev_u32_e32 v7, 28, v2
	v_lshlrev_b64 v[12:13], v7, v[8:9]
	v_sub_u32_e32 v2, 29, v2
	v_and_b32_e32 v7, 7, v12
	v_cndmask_b32_e32 v1, v1, v2, vcc
	v_cndmask_b32_e32 v0, v0, v7, vcc
	v_lshlrev_b32_e32 v2, 24, v8
	v_bfrev_b32_e32 v7, 60
	v_lshlrev_b32_e32 v0, 20, v0
	v_and_b32_e32 v2, 0x80000000, v2
	v_lshl_add_u32 v1, v1, 23, v7
	v_or3_b32 v2, v2, v1, v0
.LBB6_11437:                            ;   in Loop: Header=BB6_10567 Depth=3
	s_or_b64 exec, exec, s[34:35]
.LBB6_11438:                            ;   in Loop: Header=BB6_10567 Depth=3
	s_or_b64 exec, exec, s[30:31]
.LBB6_11439:                            ;   in Loop: Header=BB6_10567 Depth=3
	s_or_b64 exec, exec, s[28:29]
	v_mul_f32_e32 v7, v5, v2
	v_and_b32_e32 v8, 0x7f800000, v7
	v_mov_b32_e32 v9, v51
	v_cmp_ne_u64_e32 vcc, s[76:77], v[8:9]
                                        ; implicit-def: $vgpr0
                                        ; kill: killed $vgpr0
	s_and_saveexec_b64 s[28:29], vcc
	s_xor_b64 s[30:31], exec, s[28:29]
	s_cbranch_execz .LBB6_11453
; %bb.11440:                            ;   in Loop: Header=BB6_10567 Depth=3
	v_and_b32_e32 v8, 0x7fffffff, v7
	v_mov_b32_e32 v9, v51
	v_cmp_gt_u64_e32 vcc, s[78:79], v[8:9]
	v_and_b32_sdwa v2, v7, s96 dst_sel:DWORD dst_unused:UNUSED_PAD src0_sel:BYTE_3 src1_sel:DWORD
                                        ; implicit-def: $vgpr0
                                        ; kill: killed $vgpr0
	s_and_saveexec_b64 s[28:29], vcc
	s_xor_b64 s[34:35], exec, s[28:29]
	s_cbranch_execz .LBB6_11450
; %bb.11441:                            ;   in Loop: Header=BB6_10567 Depth=3
	v_mov_b32_e32 v0, 0
	v_cmp_ne_u32_e32 vcc, 0, v7
	buffer_store_dword v0, off, s[0:3], s33 offset:224 ; 4-byte Folded Spill
	s_and_saveexec_b64 s[36:37], vcc
	s_cbranch_execz .LBB6_11449
; %bb.11442:                            ;   in Loop: Header=BB6_10567 Depth=3
	v_and_b32_e32 v0, 0x7fffff, v7
	v_bfe_u32 v7, v7, 23, 8
	v_cmp_gt_u32_e64 s[28:29], s97, v7
	v_sub_u32_e32 v1, 0x79, v7
	v_cmp_eq_u32_e32 vcc, 0, v7
	v_cndmask_b32_e64 v1, 0, v1, s[28:29]
	v_mov_b32_e32 v9, 0x78
	v_or_b32_e32 v8, 0x800000, v0
	v_cndmask_b32_e32 v14, v1, v9, vcc
	v_cndmask_b32_e32 v8, v8, v0, vcc
	v_add_u32_e32 v0, 20, v14
	v_lshlrev_b64 v[12:13], v0, -1
	v_mov_b32_e32 v9, v51
	v_add_u32_e32 v0, 19, v14
	v_bfi_b32 v12, v12, 0, v8
	v_lshlrev_b64 v[15:16], v0, 1
	v_lshrrev_b64 v[8:9], v14, v[8:9]
	v_bfi_b32 v13, v13, 0, 0
	v_cmp_eq_u64_e64 s[28:29], v[12:13], v[15:16]
	v_mov_b32_e32 v13, v9
	v_mov_b32_e32 v12, v8
	s_and_saveexec_b64 s[38:39], s[28:29]
; %bb.11443:                            ;   in Loop: Header=BB6_10567 Depth=3
	v_bfe_u32 v0, v8, 20, 1
	v_add_co_u32_e64 v0, s[28:29], v8, v0
	v_add_co_u32_e64 v12, s[28:29], -1, v0
; %bb.11444:                            ;   in Loop: Header=BB6_10567 Depth=3
	s_or_b64 exec, exec, s[38:39]
	v_add_u32_e32 v0, 0xffffff81, v7
	v_mov_b32_e32 v1, 0xffffff82
	v_cndmask_b32_e32 v0, v0, v1, vcc
	v_lshrrev_b32_e32 v1, 23, v8
	v_add3_u32 v14, v14, v0, v1
	v_add_u32_e32 v13, 6, v14
	v_and_b32_e32 v0, 0xfffff, v12
	v_add_u32_e32 v8, v0, v8
	v_mov_b32_e32 v9, v51
	v_cmp_ne_u32_e32 vcc, 0, v13
                                        ; implicit-def: $vgpr7
	s_and_saveexec_b64 s[28:29], vcc
	s_xor_b64 s[28:29], exec, s[28:29]
; %bb.11445:                            ;   in Loop: Header=BB6_10567 Depth=3
	v_cmp_lt_u64_e32 vcc, s[88:89], v[8:9]
	v_add_u32_e32 v0, 7, v14
	v_cndmask_b32_e32 v7, v13, v0, vcc
	v_cndmask_b32_e64 v0, 0, 1, vcc
	v_lshrrev_b64 v[8:9], v0, v[8:9]
; %bb.11446:                            ;   in Loop: Header=BB6_10567 Depth=3
	s_andn2_saveexec_b64 s[28:29], s[28:29]
; %bb.11447:                            ;   in Loop: Header=BB6_10567 Depth=3
	v_bfe_u32 v7, v8, 23, 1
; %bb.11448:                            ;   in Loop: Header=BB6_10567 Depth=3
	s_or_b64 exec, exec, s[28:29]
	v_lshrrev_b64 v[8:9], 20, v[8:9]
	v_cmp_gt_i32_e32 vcc, 16, v7
	v_cndmask_b32_e32 v9, 0, v9, vcc
	v_cndmask_b32_e32 v8, 7, v8, vcc
	v_min_i32_e32 v0, 15, v7
	v_cmp_eq_u64_e64 s[28:29], 0, v[8:9]
	v_lshlrev_b32_e32 v0, 3, v0
	v_cmp_eq_u32_e32 vcc, 0, v7
	v_and_b32_e32 v0, 0xf8, v0
	v_and_or_b32 v0, v8, 7, v0
	s_and_b64 s[28:29], vcc, s[28:29]
	v_cndmask_b32_e64 v0, v0, 0, s[28:29]
	v_or_b32_e32 v0, v0, v2
	buffer_store_dword v0, off, s[0:3], s33 offset:224 ; 4-byte Folded Spill
.LBB6_11449:                            ;   in Loop: Header=BB6_10567 Depth=3
	s_or_b64 exec, exec, s[36:37]
                                        ; implicit-def: $vgpr2
.LBB6_11450:                            ;   in Loop: Header=BB6_10567 Depth=3
	s_andn2_saveexec_b64 s[28:29], s[34:35]
	s_cbranch_execz .LBB6_11452
; %bb.11451:                            ;   in Loop: Header=BB6_10567 Depth=3
	v_or_b32_e32 v0, 0x7e, v2
	buffer_store_dword v0, off, s[0:3], s33 offset:224 ; 4-byte Folded Spill
.LBB6_11452:                            ;   in Loop: Header=BB6_10567 Depth=3
	s_or_b64 exec, exec, s[28:29]
                                        ; implicit-def: $vgpr7
.LBB6_11453:                            ;   in Loop: Header=BB6_10567 Depth=3
	s_andn2_saveexec_b64 s[28:29], s[30:31]
	s_cbranch_execz .LBB6_11455
; %bb.11454:                            ;   in Loop: Header=BB6_10567 Depth=3
	v_or_b32_sdwa v0, v7, s86 dst_sel:DWORD dst_unused:UNUSED_PAD src0_sel:BYTE_3 src1_sel:DWORD
	buffer_store_dword v0, off, s[0:3], s33 offset:224 ; 4-byte Folded Spill
.LBB6_11455:                            ;   in Loop: Header=BB6_10567 Depth=3
	s_or_b64 exec, exec, s[28:29]
	v_cmp_ne_u16_sdwa vcc, v10, v51 src0_sel:BYTE_0 src1_sel:DWORD
	v_mov_b32_e32 v2, 0
	s_and_saveexec_b64 s[28:29], vcc
	s_cbranch_execz .LBB6_11461
; %bb.11456:                            ;   in Loop: Header=BB6_10567 Depth=3
	v_cmp_ne_u16_sdwa vcc, v10, s96 src0_sel:BYTE_0 src1_sel:DWORD
	v_bfrev_b32_e32 v2, 1
	s_and_saveexec_b64 s[30:31], vcc
	s_cbranch_execz .LBB6_11460
; %bb.11457:                            ;   in Loop: Header=BB6_10567 Depth=3
	v_and_b32_e32 v7, 0x7f, v10
	v_cmp_ne_u32_e32 vcc, s86, v7
	v_mov_b32_e32 v2, 0x7f800001
	s_and_saveexec_b64 s[34:35], vcc
	s_cbranch_execz .LBB6_11459
; %bb.11458:                            ;   in Loop: Header=BB6_10567 Depth=3
	v_and_b32_e32 v0, 7, v10
	v_ffbh_u32_e32 v0, v0
	v_min_u32_e32 v0, 32, v0
	v_lshrrev_b32_e32 v1, 3, v7
	v_cmp_gt_u32_e32 vcc, 8, v7
	v_subrev_u32_e32 v2, 28, v0
	v_sub_u32_e32 v0, 29, v0
	v_cndmask_b32_e32 v0, v1, v0, vcc
	v_cndmask_b32_e32 v1, 0, v2, vcc
	v_lshlrev_b64 v[7:8], v1, v[10:11]
	v_lshlrev_b32_e32 v2, 24, v10
	v_lshlrev_b32_e32 v1, 20, v7
	v_bfrev_b32_e32 v7, 60
	v_and_b32_e32 v1, 0x700000, v1
	v_and_b32_e32 v2, 0x80000000, v2
	v_lshl_add_u32 v0, v0, 23, v7
	v_or3_b32 v2, v2, v0, v1
.LBB6_11459:                            ;   in Loop: Header=BB6_10567 Depth=3
	s_or_b64 exec, exec, s[34:35]
.LBB6_11460:                            ;   in Loop: Header=BB6_10567 Depth=3
	s_or_b64 exec, exec, s[30:31]
.LBB6_11461:                            ;   in Loop: Header=BB6_10567 Depth=3
	s_or_b64 exec, exec, s[28:29]
	v_mul_f32_e32 v7, v5, v2
	v_and_b32_e32 v8, 0x7f800000, v7
	v_mov_b32_e32 v9, v51
	v_cmp_ne_u64_e32 vcc, s[76:77], v[8:9]
                                        ; implicit-def: $vgpr31
	s_and_saveexec_b64 s[28:29], vcc
	s_xor_b64 s[30:31], exec, s[28:29]
	s_cbranch_execz .LBB6_11475
; %bb.11462:                            ;   in Loop: Header=BB6_10567 Depth=3
	v_and_b32_e32 v8, 0x7fffffff, v7
	v_mov_b32_e32 v9, v51
	v_cmp_gt_u64_e32 vcc, s[78:79], v[8:9]
	v_and_b32_sdwa v2, v7, s96 dst_sel:DWORD dst_unused:UNUSED_PAD src0_sel:BYTE_3 src1_sel:DWORD
                                        ; implicit-def: $vgpr31
	s_and_saveexec_b64 s[28:29], vcc
	s_xor_b64 s[34:35], exec, s[28:29]
	s_cbranch_execz .LBB6_11472
; %bb.11463:                            ;   in Loop: Header=BB6_10567 Depth=3
	v_mov_b32_e32 v31, 0
	v_cmp_ne_u32_e32 vcc, 0, v7
	s_and_saveexec_b64 s[36:37], vcc
	s_cbranch_execz .LBB6_11471
; %bb.11464:                            ;   in Loop: Header=BB6_10567 Depth=3
	v_and_b32_e32 v0, 0x7fffff, v7
	v_bfe_u32 v7, v7, 23, 8
	v_cmp_gt_u32_e64 s[28:29], s97, v7
	v_sub_u32_e32 v1, 0x79, v7
	v_cmp_eq_u32_e32 vcc, 0, v7
	v_cndmask_b32_e64 v1, 0, v1, s[28:29]
	v_mov_b32_e32 v9, 0x78
	v_or_b32_e32 v8, 0x800000, v0
	v_cndmask_b32_e32 v14, v1, v9, vcc
	v_cndmask_b32_e32 v8, v8, v0, vcc
	v_add_u32_e32 v0, 20, v14
	v_lshlrev_b64 v[12:13], v0, -1
	v_mov_b32_e32 v9, v51
	v_add_u32_e32 v0, 19, v14
	v_bfi_b32 v12, v12, 0, v8
	v_lshlrev_b64 v[15:16], v0, 1
	v_lshrrev_b64 v[8:9], v14, v[8:9]
	v_bfi_b32 v13, v13, 0, 0
	v_cmp_eq_u64_e64 s[28:29], v[12:13], v[15:16]
	v_mov_b32_e32 v13, v9
	v_mov_b32_e32 v12, v8
	s_and_saveexec_b64 s[38:39], s[28:29]
; %bb.11465:                            ;   in Loop: Header=BB6_10567 Depth=3
	v_bfe_u32 v0, v8, 20, 1
	v_add_co_u32_e64 v0, s[28:29], v8, v0
	v_add_co_u32_e64 v12, s[28:29], -1, v0
; %bb.11466:                            ;   in Loop: Header=BB6_10567 Depth=3
	s_or_b64 exec, exec, s[38:39]
	v_add_u32_e32 v0, 0xffffff81, v7
	v_mov_b32_e32 v1, 0xffffff82
	v_cndmask_b32_e32 v0, v0, v1, vcc
	v_lshrrev_b32_e32 v1, 23, v8
	v_add3_u32 v14, v14, v0, v1
	v_add_u32_e32 v13, 6, v14
	v_and_b32_e32 v0, 0xfffff, v12
	v_add_u32_e32 v8, v0, v8
	v_mov_b32_e32 v9, v51
	v_cmp_ne_u32_e32 vcc, 0, v13
                                        ; implicit-def: $vgpr7
	s_and_saveexec_b64 s[28:29], vcc
	s_xor_b64 s[28:29], exec, s[28:29]
; %bb.11467:                            ;   in Loop: Header=BB6_10567 Depth=3
	v_cmp_lt_u64_e32 vcc, s[88:89], v[8:9]
	v_add_u32_e32 v0, 7, v14
	v_cndmask_b32_e32 v7, v13, v0, vcc
	v_cndmask_b32_e64 v0, 0, 1, vcc
	v_lshrrev_b64 v[8:9], v0, v[8:9]
; %bb.11468:                            ;   in Loop: Header=BB6_10567 Depth=3
	s_andn2_saveexec_b64 s[28:29], s[28:29]
; %bb.11469:                            ;   in Loop: Header=BB6_10567 Depth=3
	v_bfe_u32 v7, v8, 23, 1
; %bb.11470:                            ;   in Loop: Header=BB6_10567 Depth=3
	s_or_b64 exec, exec, s[28:29]
	v_lshrrev_b64 v[8:9], 20, v[8:9]
	v_cmp_gt_i32_e32 vcc, 16, v7
	v_cndmask_b32_e32 v9, 0, v9, vcc
	v_cndmask_b32_e32 v8, 7, v8, vcc
	v_min_i32_e32 v0, 15, v7
	v_cmp_eq_u64_e64 s[28:29], 0, v[8:9]
	v_lshlrev_b32_e32 v0, 3, v0
	v_cmp_eq_u32_e32 vcc, 0, v7
	v_and_b32_e32 v0, 0xf8, v0
	v_and_or_b32 v0, v8, 7, v0
	s_and_b64 s[28:29], vcc, s[28:29]
	v_cndmask_b32_e64 v0, v0, 0, s[28:29]
	v_or_b32_e32 v31, v0, v2
.LBB6_11471:                            ;   in Loop: Header=BB6_10567 Depth=3
	s_or_b64 exec, exec, s[36:37]
                                        ; implicit-def: $vgpr2
.LBB6_11472:                            ;   in Loop: Header=BB6_10567 Depth=3
	s_andn2_saveexec_b64 s[28:29], s[34:35]
; %bb.11473:                            ;   in Loop: Header=BB6_10567 Depth=3
	v_or_b32_e32 v31, 0x7e, v2
; %bb.11474:                            ;   in Loop: Header=BB6_10567 Depth=3
	s_or_b64 exec, exec, s[28:29]
                                        ; implicit-def: $vgpr7
.LBB6_11475:                            ;   in Loop: Header=BB6_10567 Depth=3
	s_andn2_saveexec_b64 s[28:29], s[30:31]
; %bb.11476:                            ;   in Loop: Header=BB6_10567 Depth=3
	v_or_b32_sdwa v31, v7, s86 dst_sel:DWORD dst_unused:UNUSED_PAD src0_sel:BYTE_3 src1_sel:DWORD
; %bb.11477:                            ;   in Loop: Header=BB6_10567 Depth=3
	s_or_b64 exec, exec, s[28:29]
	v_lshrrev_b16_e32 v8, 8, v10
	v_cmp_ne_u16_e32 vcc, 0, v8
	v_mov_b32_e32 v2, 0
	s_and_saveexec_b64 s[28:29], vcc
	s_cbranch_execz .LBB6_11483
; %bb.11478:                            ;   in Loop: Header=BB6_10567 Depth=3
	v_cmp_ne_u16_e32 vcc, s96, v8
	v_bfrev_b32_e32 v2, 1
	s_and_saveexec_b64 s[30:31], vcc
	s_cbranch_execz .LBB6_11482
; %bb.11479:                            ;   in Loop: Header=BB6_10567 Depth=3
	v_and_b32_e32 v7, 0x7f, v8
	v_cmp_ne_u32_e32 vcc, s86, v7
	v_mov_b32_e32 v2, 0x7f800001
	s_and_saveexec_b64 s[34:35], vcc
	s_cbranch_execz .LBB6_11481
; %bb.11480:                            ;   in Loop: Header=BB6_10567 Depth=3
	v_and_b32_e32 v0, 7, v8
	v_ffbh_u32_e32 v2, v0
	v_min_u32_e32 v2, 32, v2
	v_lshrrev_b32_e32 v1, 3, v7
	v_cmp_gt_u32_e32 vcc, 8, v7
	v_subrev_u32_e32 v7, 28, v2
	v_lshlrev_b64 v[7:8], v7, v[8:9]
	v_sub_u32_e32 v2, 29, v2
	v_and_b32_e32 v7, 7, v7
	v_cndmask_b32_e32 v1, v1, v2, vcc
	v_cndmask_b32_e32 v0, v0, v7, vcc
	v_lshlrev_b32_e32 v2, 16, v10
	v_bfrev_b32_e32 v7, 60
	v_lshlrev_b32_e32 v0, 20, v0
	v_and_b32_e32 v2, 0x80000000, v2
	v_lshl_add_u32 v1, v1, 23, v7
	v_or3_b32 v2, v2, v1, v0
.LBB6_11481:                            ;   in Loop: Header=BB6_10567 Depth=3
	s_or_b64 exec, exec, s[34:35]
.LBB6_11482:                            ;   in Loop: Header=BB6_10567 Depth=3
	s_or_b64 exec, exec, s[30:31]
.LBB6_11483:                            ;   in Loop: Header=BB6_10567 Depth=3
	s_or_b64 exec, exec, s[28:29]
	v_mul_f32_e32 v7, v5, v2
	v_and_b32_e32 v8, 0x7f800000, v7
	v_mov_b32_e32 v9, v51
	v_cmp_ne_u64_e32 vcc, s[76:77], v[8:9]
                                        ; implicit-def: $vgpr0
                                        ; kill: killed $vgpr0
	s_and_saveexec_b64 s[28:29], vcc
	s_xor_b64 s[30:31], exec, s[28:29]
	s_cbranch_execz .LBB6_11497
; %bb.11484:                            ;   in Loop: Header=BB6_10567 Depth=3
	v_and_b32_e32 v8, 0x7fffffff, v7
	v_mov_b32_e32 v9, v51
	v_cmp_gt_u64_e32 vcc, s[78:79], v[8:9]
	v_and_b32_sdwa v2, v7, s96 dst_sel:DWORD dst_unused:UNUSED_PAD src0_sel:BYTE_3 src1_sel:DWORD
                                        ; implicit-def: $vgpr0
                                        ; kill: killed $vgpr0
	s_and_saveexec_b64 s[28:29], vcc
	s_xor_b64 s[34:35], exec, s[28:29]
	s_cbranch_execz .LBB6_11494
; %bb.11485:                            ;   in Loop: Header=BB6_10567 Depth=3
	v_mov_b32_e32 v0, 0
	v_cmp_ne_u32_e32 vcc, 0, v7
	buffer_store_dword v0, off, s[0:3], s33 offset:168 ; 4-byte Folded Spill
	s_and_saveexec_b64 s[36:37], vcc
	s_cbranch_execz .LBB6_11493
; %bb.11486:                            ;   in Loop: Header=BB6_10567 Depth=3
	v_and_b32_e32 v0, 0x7fffff, v7
	v_bfe_u32 v7, v7, 23, 8
	v_cmp_gt_u32_e64 s[28:29], s97, v7
	v_sub_u32_e32 v1, 0x79, v7
	v_cmp_eq_u32_e32 vcc, 0, v7
	v_cndmask_b32_e64 v1, 0, v1, s[28:29]
	v_mov_b32_e32 v9, 0x78
	v_or_b32_e32 v8, 0x800000, v0
	v_cndmask_b32_e32 v14, v1, v9, vcc
	v_cndmask_b32_e32 v8, v8, v0, vcc
	v_add_u32_e32 v0, 20, v14
	v_lshlrev_b64 v[12:13], v0, -1
	v_mov_b32_e32 v9, v51
	v_add_u32_e32 v0, 19, v14
	v_bfi_b32 v12, v12, 0, v8
	v_lshlrev_b64 v[15:16], v0, 1
	v_lshrrev_b64 v[8:9], v14, v[8:9]
	v_bfi_b32 v13, v13, 0, 0
	v_cmp_eq_u64_e64 s[28:29], v[12:13], v[15:16]
	v_mov_b32_e32 v13, v9
	v_mov_b32_e32 v12, v8
	s_and_saveexec_b64 s[38:39], s[28:29]
; %bb.11487:                            ;   in Loop: Header=BB6_10567 Depth=3
	v_bfe_u32 v0, v8, 20, 1
	v_add_co_u32_e64 v0, s[28:29], v8, v0
	v_add_co_u32_e64 v12, s[28:29], -1, v0
; %bb.11488:                            ;   in Loop: Header=BB6_10567 Depth=3
	s_or_b64 exec, exec, s[38:39]
	v_add_u32_e32 v0, 0xffffff81, v7
	v_mov_b32_e32 v1, 0xffffff82
	v_cndmask_b32_e32 v0, v0, v1, vcc
	v_lshrrev_b32_e32 v1, 23, v8
	v_add3_u32 v14, v14, v0, v1
	v_add_u32_e32 v13, 6, v14
	v_and_b32_e32 v0, 0xfffff, v12
	v_add_u32_e32 v8, v0, v8
	v_mov_b32_e32 v9, v51
	v_cmp_ne_u32_e32 vcc, 0, v13
                                        ; implicit-def: $vgpr7
	s_and_saveexec_b64 s[28:29], vcc
	s_xor_b64 s[28:29], exec, s[28:29]
; %bb.11489:                            ;   in Loop: Header=BB6_10567 Depth=3
	v_cmp_lt_u64_e32 vcc, s[88:89], v[8:9]
	v_add_u32_e32 v0, 7, v14
	v_cndmask_b32_e32 v7, v13, v0, vcc
	v_cndmask_b32_e64 v0, 0, 1, vcc
	v_lshrrev_b64 v[8:9], v0, v[8:9]
; %bb.11490:                            ;   in Loop: Header=BB6_10567 Depth=3
	s_andn2_saveexec_b64 s[28:29], s[28:29]
; %bb.11491:                            ;   in Loop: Header=BB6_10567 Depth=3
	v_bfe_u32 v7, v8, 23, 1
; %bb.11492:                            ;   in Loop: Header=BB6_10567 Depth=3
	s_or_b64 exec, exec, s[28:29]
	v_lshrrev_b64 v[8:9], 20, v[8:9]
	v_cmp_gt_i32_e32 vcc, 16, v7
	v_cndmask_b32_e32 v9, 0, v9, vcc
	v_cndmask_b32_e32 v8, 7, v8, vcc
	v_min_i32_e32 v0, 15, v7
	v_cmp_eq_u64_e64 s[28:29], 0, v[8:9]
	v_lshlrev_b32_e32 v0, 3, v0
	v_cmp_eq_u32_e32 vcc, 0, v7
	v_and_b32_e32 v0, 0xf8, v0
	v_and_or_b32 v0, v8, 7, v0
	s_and_b64 s[28:29], vcc, s[28:29]
	v_cndmask_b32_e64 v0, v0, 0, s[28:29]
	v_or_b32_e32 v0, v0, v2
	buffer_store_dword v0, off, s[0:3], s33 offset:168 ; 4-byte Folded Spill
.LBB6_11493:                            ;   in Loop: Header=BB6_10567 Depth=3
	s_or_b64 exec, exec, s[36:37]
                                        ; implicit-def: $vgpr2
.LBB6_11494:                            ;   in Loop: Header=BB6_10567 Depth=3
	s_andn2_saveexec_b64 s[28:29], s[34:35]
	s_cbranch_execz .LBB6_11496
; %bb.11495:                            ;   in Loop: Header=BB6_10567 Depth=3
	v_or_b32_e32 v0, 0x7e, v2
	buffer_store_dword v0, off, s[0:3], s33 offset:168 ; 4-byte Folded Spill
.LBB6_11496:                            ;   in Loop: Header=BB6_10567 Depth=3
	s_or_b64 exec, exec, s[28:29]
                                        ; implicit-def: $vgpr7
.LBB6_11497:                            ;   in Loop: Header=BB6_10567 Depth=3
	s_andn2_saveexec_b64 s[28:29], s[30:31]
	s_cbranch_execz .LBB6_11499
; %bb.11498:                            ;   in Loop: Header=BB6_10567 Depth=3
	v_or_b32_sdwa v0, v7, s86 dst_sel:DWORD dst_unused:UNUSED_PAD src0_sel:BYTE_3 src1_sel:DWORD
	buffer_store_dword v0, off, s[0:3], s33 offset:168 ; 4-byte Folded Spill
.LBB6_11499:                            ;   in Loop: Header=BB6_10567 Depth=3
	s_or_b64 exec, exec, s[28:29]
	v_lshrrev_b32_e32 v8, 16, v10
	v_cmp_ne_u16_sdwa vcc, v8, v51 src0_sel:BYTE_0 src1_sel:DWORD
	v_mov_b32_e32 v2, 0
	s_and_saveexec_b64 s[28:29], vcc
	s_cbranch_execz .LBB6_11505
; %bb.11500:                            ;   in Loop: Header=BB6_10567 Depth=3
	v_cmp_ne_u16_sdwa vcc, v8, s96 src0_sel:BYTE_0 src1_sel:DWORD
	v_bfrev_b32_e32 v2, 1
	s_and_saveexec_b64 s[30:31], vcc
	s_cbranch_execz .LBB6_11504
; %bb.11501:                            ;   in Loop: Header=BB6_10567 Depth=3
	v_bfe_u32 v7, v10, 16, 7
	v_cmp_ne_u32_e32 vcc, s86, v7
	v_mov_b32_e32 v2, 0x7f800001
	s_and_saveexec_b64 s[34:35], vcc
	s_cbranch_execz .LBB6_11503
; %bb.11502:                            ;   in Loop: Header=BB6_10567 Depth=3
	v_and_b32_e32 v0, 7, v8
	v_ffbh_u32_e32 v2, v0
	v_min_u32_e32 v2, 32, v2
	v_lshrrev_b32_e32 v1, 3, v7
	v_cmp_gt_u32_e32 vcc, 8, v7
	v_subrev_u32_e32 v7, 28, v2
	v_lshlrev_b64 v[12:13], v7, v[8:9]
	v_sub_u32_e32 v2, 29, v2
	v_and_b32_e32 v7, 7, v12
	v_cndmask_b32_e32 v1, v1, v2, vcc
	v_cndmask_b32_e32 v0, v0, v7, vcc
	v_lshlrev_b32_e32 v2, 24, v8
	v_bfrev_b32_e32 v7, 60
	v_lshlrev_b32_e32 v0, 20, v0
	v_and_b32_e32 v2, 0x80000000, v2
	v_lshl_add_u32 v1, v1, 23, v7
	v_or3_b32 v2, v2, v1, v0
.LBB6_11503:                            ;   in Loop: Header=BB6_10567 Depth=3
	s_or_b64 exec, exec, s[34:35]
.LBB6_11504:                            ;   in Loop: Header=BB6_10567 Depth=3
	s_or_b64 exec, exec, s[30:31]
.LBB6_11505:                            ;   in Loop: Header=BB6_10567 Depth=3
	s_or_b64 exec, exec, s[28:29]
	v_mul_f32_e32 v7, v5, v2
	v_and_b32_e32 v8, 0x7f800000, v7
	v_mov_b32_e32 v9, v51
	v_cmp_ne_u64_e32 vcc, s[76:77], v[8:9]
                                        ; implicit-def: $vgpr0
                                        ; kill: killed $vgpr0
	s_and_saveexec_b64 s[28:29], vcc
	s_xor_b64 s[30:31], exec, s[28:29]
	s_cbranch_execz .LBB6_11519
; %bb.11506:                            ;   in Loop: Header=BB6_10567 Depth=3
	v_and_b32_e32 v8, 0x7fffffff, v7
	v_mov_b32_e32 v9, v51
	v_cmp_gt_u64_e32 vcc, s[78:79], v[8:9]
	v_and_b32_sdwa v2, v7, s96 dst_sel:DWORD dst_unused:UNUSED_PAD src0_sel:BYTE_3 src1_sel:DWORD
                                        ; implicit-def: $vgpr0
                                        ; kill: killed $vgpr0
	s_and_saveexec_b64 s[28:29], vcc
	s_xor_b64 s[34:35], exec, s[28:29]
	s_cbranch_execz .LBB6_11516
; %bb.11507:                            ;   in Loop: Header=BB6_10567 Depth=3
	v_mov_b32_e32 v0, 0
	v_cmp_ne_u32_e32 vcc, 0, v7
	buffer_store_dword v0, off, s[0:3], s33 offset:192 ; 4-byte Folded Spill
	s_and_saveexec_b64 s[36:37], vcc
	s_cbranch_execz .LBB6_11515
; %bb.11508:                            ;   in Loop: Header=BB6_10567 Depth=3
	v_and_b32_e32 v0, 0x7fffff, v7
	v_bfe_u32 v7, v7, 23, 8
	v_cmp_gt_u32_e64 s[28:29], s97, v7
	v_sub_u32_e32 v1, 0x79, v7
	v_cmp_eq_u32_e32 vcc, 0, v7
	v_cndmask_b32_e64 v1, 0, v1, s[28:29]
	v_mov_b32_e32 v9, 0x78
	v_or_b32_e32 v8, 0x800000, v0
	v_cndmask_b32_e32 v14, v1, v9, vcc
	v_cndmask_b32_e32 v8, v8, v0, vcc
	v_add_u32_e32 v0, 20, v14
	v_lshlrev_b64 v[12:13], v0, -1
	v_mov_b32_e32 v9, v51
	v_add_u32_e32 v0, 19, v14
	v_bfi_b32 v12, v12, 0, v8
	v_lshlrev_b64 v[15:16], v0, 1
	v_lshrrev_b64 v[8:9], v14, v[8:9]
	v_bfi_b32 v13, v13, 0, 0
	v_cmp_eq_u64_e64 s[28:29], v[12:13], v[15:16]
	v_mov_b32_e32 v13, v9
	v_mov_b32_e32 v12, v8
	s_and_saveexec_b64 s[38:39], s[28:29]
; %bb.11509:                            ;   in Loop: Header=BB6_10567 Depth=3
	v_bfe_u32 v0, v8, 20, 1
	v_add_co_u32_e64 v0, s[28:29], v8, v0
	v_add_co_u32_e64 v12, s[28:29], -1, v0
; %bb.11510:                            ;   in Loop: Header=BB6_10567 Depth=3
	s_or_b64 exec, exec, s[38:39]
	v_add_u32_e32 v0, 0xffffff81, v7
	v_mov_b32_e32 v1, 0xffffff82
	v_cndmask_b32_e32 v0, v0, v1, vcc
	v_lshrrev_b32_e32 v1, 23, v8
	v_add3_u32 v14, v14, v0, v1
	v_add_u32_e32 v13, 6, v14
	v_and_b32_e32 v0, 0xfffff, v12
	v_add_u32_e32 v8, v0, v8
	v_mov_b32_e32 v9, v51
	v_cmp_ne_u32_e32 vcc, 0, v13
                                        ; implicit-def: $vgpr7
	s_and_saveexec_b64 s[28:29], vcc
	s_xor_b64 s[28:29], exec, s[28:29]
; %bb.11511:                            ;   in Loop: Header=BB6_10567 Depth=3
	v_cmp_lt_u64_e32 vcc, s[88:89], v[8:9]
	v_add_u32_e32 v0, 7, v14
	v_cndmask_b32_e32 v7, v13, v0, vcc
	v_cndmask_b32_e64 v0, 0, 1, vcc
	v_lshrrev_b64 v[8:9], v0, v[8:9]
; %bb.11512:                            ;   in Loop: Header=BB6_10567 Depth=3
	s_andn2_saveexec_b64 s[28:29], s[28:29]
; %bb.11513:                            ;   in Loop: Header=BB6_10567 Depth=3
	v_bfe_u32 v7, v8, 23, 1
; %bb.11514:                            ;   in Loop: Header=BB6_10567 Depth=3
	s_or_b64 exec, exec, s[28:29]
	v_lshrrev_b64 v[8:9], 20, v[8:9]
	v_cmp_gt_i32_e32 vcc, 16, v7
	v_cndmask_b32_e32 v9, 0, v9, vcc
	v_cndmask_b32_e32 v8, 7, v8, vcc
	v_min_i32_e32 v0, 15, v7
	v_cmp_eq_u64_e64 s[28:29], 0, v[8:9]
	v_lshlrev_b32_e32 v0, 3, v0
	v_cmp_eq_u32_e32 vcc, 0, v7
	v_and_b32_e32 v0, 0xf8, v0
	v_and_or_b32 v0, v8, 7, v0
	s_and_b64 s[28:29], vcc, s[28:29]
	v_cndmask_b32_e64 v0, v0, 0, s[28:29]
	v_or_b32_e32 v0, v0, v2
	buffer_store_dword v0, off, s[0:3], s33 offset:192 ; 4-byte Folded Spill
.LBB6_11515:                            ;   in Loop: Header=BB6_10567 Depth=3
	s_or_b64 exec, exec, s[36:37]
                                        ; implicit-def: $vgpr2
.LBB6_11516:                            ;   in Loop: Header=BB6_10567 Depth=3
	s_andn2_saveexec_b64 s[28:29], s[34:35]
	s_cbranch_execz .LBB6_11518
; %bb.11517:                            ;   in Loop: Header=BB6_10567 Depth=3
	v_or_b32_e32 v0, 0x7e, v2
	buffer_store_dword v0, off, s[0:3], s33 offset:192 ; 4-byte Folded Spill
.LBB6_11518:                            ;   in Loop: Header=BB6_10567 Depth=3
	s_or_b64 exec, exec, s[28:29]
                                        ; implicit-def: $vgpr7
.LBB6_11519:                            ;   in Loop: Header=BB6_10567 Depth=3
	s_andn2_saveexec_b64 s[28:29], s[30:31]
	s_cbranch_execz .LBB6_11521
; %bb.11520:                            ;   in Loop: Header=BB6_10567 Depth=3
	v_or_b32_sdwa v0, v7, s86 dst_sel:DWORD dst_unused:UNUSED_PAD src0_sel:BYTE_3 src1_sel:DWORD
	buffer_store_dword v0, off, s[0:3], s33 offset:192 ; 4-byte Folded Spill
.LBB6_11521:                            ;   in Loop: Header=BB6_10567 Depth=3
	s_or_b64 exec, exec, s[28:29]
	v_cmp_lt_u32_e32 vcc, s57, v10
	v_mov_b32_e32 v2, 0
	s_and_saveexec_b64 s[28:29], vcc
	s_cbranch_execz .LBB6_11527
; %bb.11522:                            ;   in Loop: Header=BB6_10567 Depth=3
	v_lshrrev_b32_e32 v8, 24, v10
	v_cmp_ne_u32_e32 vcc, s96, v8
	v_bfrev_b32_e32 v2, 1
	s_and_saveexec_b64 s[30:31], vcc
	s_cbranch_execz .LBB6_11526
; %bb.11523:                            ;   in Loop: Header=BB6_10567 Depth=3
	v_bfe_u32 v7, v10, 24, 7
	v_cmp_ne_u32_e32 vcc, s86, v7
	v_mov_b32_e32 v2, 0x7f800001
	s_and_saveexec_b64 s[34:35], vcc
	s_cbranch_execz .LBB6_11525
; %bb.11524:                            ;   in Loop: Header=BB6_10567 Depth=3
	v_and_b32_e32 v0, 7, v8
	v_ffbh_u32_e32 v2, v0
	v_min_u32_e32 v2, 32, v2
	v_lshrrev_b32_e32 v1, 3, v7
	v_cmp_gt_u32_e32 vcc, 8, v7
	v_subrev_u32_e32 v7, 28, v2
	v_lshlrev_b64 v[12:13], v7, v[8:9]
	v_sub_u32_e32 v2, 29, v2
	v_and_b32_e32 v7, 7, v12
	v_cndmask_b32_e32 v1, v1, v2, vcc
	v_cndmask_b32_e32 v0, v0, v7, vcc
	v_lshlrev_b32_e32 v2, 24, v8
	v_bfrev_b32_e32 v7, 60
	v_lshlrev_b32_e32 v0, 20, v0
	v_and_b32_e32 v2, 0x80000000, v2
	v_lshl_add_u32 v1, v1, 23, v7
	v_or3_b32 v2, v2, v1, v0
.LBB6_11525:                            ;   in Loop: Header=BB6_10567 Depth=3
	s_or_b64 exec, exec, s[34:35]
.LBB6_11526:                            ;   in Loop: Header=BB6_10567 Depth=3
	s_or_b64 exec, exec, s[30:31]
.LBB6_11527:                            ;   in Loop: Header=BB6_10567 Depth=3
	s_or_b64 exec, exec, s[28:29]
	v_mul_f32_e32 v7, v5, v2
	v_and_b32_e32 v8, 0x7f800000, v7
	v_mov_b32_e32 v9, v51
	v_cmp_ne_u64_e32 vcc, s[76:77], v[8:9]
                                        ; implicit-def: $vgpr0
                                        ; kill: killed $vgpr0
	s_and_saveexec_b64 s[28:29], vcc
	s_xor_b64 s[30:31], exec, s[28:29]
	s_cbranch_execz .LBB6_11541
; %bb.11528:                            ;   in Loop: Header=BB6_10567 Depth=3
	v_and_b32_e32 v8, 0x7fffffff, v7
	v_mov_b32_e32 v9, v51
	v_cmp_gt_u64_e32 vcc, s[78:79], v[8:9]
	v_and_b32_sdwa v2, v7, s96 dst_sel:DWORD dst_unused:UNUSED_PAD src0_sel:BYTE_3 src1_sel:DWORD
                                        ; implicit-def: $vgpr0
                                        ; kill: killed $vgpr0
	s_and_saveexec_b64 s[28:29], vcc
	s_xor_b64 s[34:35], exec, s[28:29]
	s_cbranch_execz .LBB6_11538
; %bb.11529:                            ;   in Loop: Header=BB6_10567 Depth=3
	v_mov_b32_e32 v0, 0
	v_cmp_ne_u32_e32 vcc, 0, v7
	buffer_store_dword v0, off, s[0:3], s33 offset:208 ; 4-byte Folded Spill
	s_and_saveexec_b64 s[36:37], vcc
	s_cbranch_execz .LBB6_11537
; %bb.11530:                            ;   in Loop: Header=BB6_10567 Depth=3
	v_and_b32_e32 v0, 0x7fffff, v7
	v_bfe_u32 v7, v7, 23, 8
	v_cmp_gt_u32_e64 s[28:29], s97, v7
	v_sub_u32_e32 v1, 0x79, v7
	v_cmp_eq_u32_e32 vcc, 0, v7
	v_cndmask_b32_e64 v1, 0, v1, s[28:29]
	v_mov_b32_e32 v9, 0x78
	v_or_b32_e32 v8, 0x800000, v0
	v_cndmask_b32_e32 v14, v1, v9, vcc
	v_cndmask_b32_e32 v8, v8, v0, vcc
	v_add_u32_e32 v0, 20, v14
	v_lshlrev_b64 v[12:13], v0, -1
	v_mov_b32_e32 v9, v51
	v_add_u32_e32 v0, 19, v14
	v_bfi_b32 v12, v12, 0, v8
	v_lshlrev_b64 v[15:16], v0, 1
	v_lshrrev_b64 v[8:9], v14, v[8:9]
	v_bfi_b32 v13, v13, 0, 0
	v_cmp_eq_u64_e64 s[28:29], v[12:13], v[15:16]
	v_mov_b32_e32 v13, v9
	v_mov_b32_e32 v12, v8
	s_and_saveexec_b64 s[38:39], s[28:29]
; %bb.11531:                            ;   in Loop: Header=BB6_10567 Depth=3
	v_bfe_u32 v0, v8, 20, 1
	v_add_co_u32_e64 v0, s[28:29], v8, v0
	v_add_co_u32_e64 v12, s[28:29], -1, v0
; %bb.11532:                            ;   in Loop: Header=BB6_10567 Depth=3
	s_or_b64 exec, exec, s[38:39]
	v_add_u32_e32 v0, 0xffffff81, v7
	v_mov_b32_e32 v1, 0xffffff82
	v_cndmask_b32_e32 v0, v0, v1, vcc
	v_lshrrev_b32_e32 v1, 23, v8
	v_add3_u32 v14, v14, v0, v1
	v_add_u32_e32 v13, 6, v14
	v_and_b32_e32 v0, 0xfffff, v12
	v_add_u32_e32 v8, v0, v8
	v_mov_b32_e32 v9, v51
	v_cmp_ne_u32_e32 vcc, 0, v13
                                        ; implicit-def: $vgpr7
	s_and_saveexec_b64 s[28:29], vcc
	s_xor_b64 s[28:29], exec, s[28:29]
; %bb.11533:                            ;   in Loop: Header=BB6_10567 Depth=3
	v_cmp_lt_u64_e32 vcc, s[88:89], v[8:9]
	v_add_u32_e32 v0, 7, v14
	v_cndmask_b32_e32 v7, v13, v0, vcc
	v_cndmask_b32_e64 v0, 0, 1, vcc
	v_lshrrev_b64 v[8:9], v0, v[8:9]
; %bb.11534:                            ;   in Loop: Header=BB6_10567 Depth=3
	s_andn2_saveexec_b64 s[28:29], s[28:29]
; %bb.11535:                            ;   in Loop: Header=BB6_10567 Depth=3
	v_bfe_u32 v7, v8, 23, 1
; %bb.11536:                            ;   in Loop: Header=BB6_10567 Depth=3
	s_or_b64 exec, exec, s[28:29]
	v_lshrrev_b64 v[8:9], 20, v[8:9]
	v_cmp_gt_i32_e32 vcc, 16, v7
	v_cndmask_b32_e32 v9, 0, v9, vcc
	v_cndmask_b32_e32 v8, 7, v8, vcc
	v_min_i32_e32 v0, 15, v7
	v_cmp_eq_u64_e64 s[28:29], 0, v[8:9]
	v_lshlrev_b32_e32 v0, 3, v0
	v_cmp_eq_u32_e32 vcc, 0, v7
	v_and_b32_e32 v0, 0xf8, v0
	v_and_or_b32 v0, v8, 7, v0
	s_and_b64 s[28:29], vcc, s[28:29]
	v_cndmask_b32_e64 v0, v0, 0, s[28:29]
	v_or_b32_e32 v0, v0, v2
	buffer_store_dword v0, off, s[0:3], s33 offset:208 ; 4-byte Folded Spill
.LBB6_11537:                            ;   in Loop: Header=BB6_10567 Depth=3
	s_or_b64 exec, exec, s[36:37]
                                        ; implicit-def: $vgpr2
.LBB6_11538:                            ;   in Loop: Header=BB6_10567 Depth=3
	s_andn2_saveexec_b64 s[28:29], s[34:35]
	s_cbranch_execz .LBB6_11540
; %bb.11539:                            ;   in Loop: Header=BB6_10567 Depth=3
	v_or_b32_e32 v0, 0x7e, v2
	buffer_store_dword v0, off, s[0:3], s33 offset:208 ; 4-byte Folded Spill
.LBB6_11540:                            ;   in Loop: Header=BB6_10567 Depth=3
	s_or_b64 exec, exec, s[28:29]
                                        ; implicit-def: $vgpr7
.LBB6_11541:                            ;   in Loop: Header=BB6_10567 Depth=3
	s_andn2_saveexec_b64 s[28:29], s[30:31]
	s_cbranch_execz .LBB6_11543
; %bb.11542:                            ;   in Loop: Header=BB6_10567 Depth=3
	v_or_b32_sdwa v0, v7, s86 dst_sel:DWORD dst_unused:UNUSED_PAD src0_sel:BYTE_3 src1_sel:DWORD
	buffer_store_dword v0, off, s[0:3], s33 offset:208 ; 4-byte Folded Spill
.LBB6_11543:                            ;   in Loop: Header=BB6_10567 Depth=3
	s_or_b64 exec, exec, s[28:29]
	v_mov_b32_e32 v8, v11
	v_mov_b32_e32 v9, v51
	v_cmp_ne_u16_sdwa vcc, v11, v51 src0_sel:BYTE_0 src1_sel:DWORD
	v_mov_b32_e32 v2, 0
	s_and_saveexec_b64 s[28:29], vcc
	s_cbranch_execz .LBB6_11549
; %bb.11544:                            ;   in Loop: Header=BB6_10567 Depth=3
	v_cmp_ne_u16_sdwa vcc, v11, s96 src0_sel:BYTE_0 src1_sel:DWORD
	v_bfrev_b32_e32 v2, 1
	s_and_saveexec_b64 s[30:31], vcc
	s_cbranch_execz .LBB6_11548
; %bb.11545:                            ;   in Loop: Header=BB6_10567 Depth=3
	v_and_b32_e32 v7, 0x7f, v11
	v_cmp_ne_u32_e32 vcc, s86, v7
	v_mov_b32_e32 v2, 0x7f800001
	s_and_saveexec_b64 s[34:35], vcc
	s_cbranch_execz .LBB6_11547
; %bb.11546:                            ;   in Loop: Header=BB6_10567 Depth=3
	v_and_b32_e32 v0, 7, v11
	v_ffbh_u32_e32 v0, v0
	v_min_u32_e32 v0, 32, v0
	v_lshrrev_b32_e32 v1, 3, v7
	v_cmp_gt_u32_e32 vcc, 8, v7
	v_subrev_u32_e32 v2, 28, v0
	v_sub_u32_e32 v0, 29, v0
	v_cndmask_b32_e32 v0, v1, v0, vcc
	v_cndmask_b32_e32 v1, 0, v2, vcc
	v_lshlrev_b64 v[12:13], v1, v[8:9]
	v_lshlrev_b32_e32 v2, 24, v8
	v_lshlrev_b32_e32 v1, 20, v12
	v_bfrev_b32_e32 v7, 60
	v_and_b32_e32 v1, 0x700000, v1
	v_and_b32_e32 v2, 0x80000000, v2
	v_lshl_add_u32 v0, v0, 23, v7
	v_or3_b32 v2, v2, v0, v1
.LBB6_11547:                            ;   in Loop: Header=BB6_10567 Depth=3
	s_or_b64 exec, exec, s[34:35]
.LBB6_11548:                            ;   in Loop: Header=BB6_10567 Depth=3
	s_or_b64 exec, exec, s[30:31]
.LBB6_11549:                            ;   in Loop: Header=BB6_10567 Depth=3
	s_or_b64 exec, exec, s[28:29]
	v_mul_f32_e32 v7, v5, v2
	v_and_b32_e32 v12, 0x7f800000, v7
	v_mov_b32_e32 v13, v51
	v_cmp_ne_u64_e32 vcc, s[76:77], v[12:13]
                                        ; implicit-def: $vgpr50
	s_and_saveexec_b64 s[28:29], vcc
	s_xor_b64 s[30:31], exec, s[28:29]
	s_cbranch_execz .LBB6_11563
; %bb.11550:                            ;   in Loop: Header=BB6_10567 Depth=3
	v_and_b32_e32 v12, 0x7fffffff, v7
	v_mov_b32_e32 v13, v51
	v_cmp_gt_u64_e32 vcc, s[78:79], v[12:13]
	v_and_b32_sdwa v2, v7, s96 dst_sel:DWORD dst_unused:UNUSED_PAD src0_sel:BYTE_3 src1_sel:DWORD
                                        ; implicit-def: $vgpr50
	s_and_saveexec_b64 s[28:29], vcc
	s_xor_b64 s[34:35], exec, s[28:29]
	s_cbranch_execz .LBB6_11560
; %bb.11551:                            ;   in Loop: Header=BB6_10567 Depth=3
	v_mov_b32_e32 v50, 0
	v_cmp_ne_u32_e32 vcc, 0, v7
	s_and_saveexec_b64 s[36:37], vcc
	s_cbranch_execz .LBB6_11559
; %bb.11552:                            ;   in Loop: Header=BB6_10567 Depth=3
	v_and_b32_e32 v0, 0x7fffff, v7
	v_bfe_u32 v7, v7, 23, 8
	v_cmp_gt_u32_e64 s[28:29], s97, v7
	v_sub_u32_e32 v1, 0x79, v7
	v_cmp_eq_u32_e32 vcc, 0, v7
	v_cndmask_b32_e64 v1, 0, v1, s[28:29]
	v_mov_b32_e32 v9, 0x78
	v_or_b32_e32 v12, 0x800000, v0
	v_cndmask_b32_e32 v9, v1, v9, vcc
	v_cndmask_b32_e32 v12, v12, v0, vcc
	v_add_u32_e32 v0, 20, v9
	v_lshlrev_b64 v[14:15], v0, -1
	v_mov_b32_e32 v13, v51
	v_add_u32_e32 v0, 19, v9
	v_bfi_b32 v14, v14, 0, v12
	v_lshlrev_b64 v[16:17], v0, 1
	v_lshrrev_b64 v[12:13], v9, v[12:13]
	v_bfi_b32 v15, v15, 0, 0
	v_cmp_eq_u64_e64 s[28:29], v[14:15], v[16:17]
	v_mov_b32_e32 v14, v13
	v_mov_b32_e32 v13, v12
	s_and_saveexec_b64 s[38:39], s[28:29]
; %bb.11553:                            ;   in Loop: Header=BB6_10567 Depth=3
	v_bfe_u32 v0, v12, 20, 1
	v_add_co_u32_e64 v0, s[28:29], v12, v0
	v_add_co_u32_e64 v13, s[28:29], -1, v0
; %bb.11554:                            ;   in Loop: Header=BB6_10567 Depth=3
	s_or_b64 exec, exec, s[38:39]
	v_add_u32_e32 v0, 0xffffff81, v7
	v_mov_b32_e32 v1, 0xffffff82
	v_cndmask_b32_e32 v0, v0, v1, vcc
	v_lshrrev_b32_e32 v1, 23, v12
	v_add3_u32 v14, v9, v0, v1
	v_add_u32_e32 v9, 6, v14
	v_and_b32_e32 v0, 0xfffff, v13
	v_add_u32_e32 v12, v0, v12
	v_mov_b32_e32 v13, v51
	v_cmp_ne_u32_e32 vcc, 0, v9
                                        ; implicit-def: $vgpr7
	s_and_saveexec_b64 s[28:29], vcc
	s_xor_b64 s[28:29], exec, s[28:29]
; %bb.11555:                            ;   in Loop: Header=BB6_10567 Depth=3
	v_cmp_lt_u64_e32 vcc, s[88:89], v[12:13]
	v_add_u32_e32 v0, 7, v14
	v_cndmask_b32_e32 v7, v9, v0, vcc
	v_cndmask_b32_e64 v0, 0, 1, vcc
	v_lshrrev_b64 v[12:13], v0, v[12:13]
; %bb.11556:                            ;   in Loop: Header=BB6_10567 Depth=3
	s_andn2_saveexec_b64 s[28:29], s[28:29]
; %bb.11557:                            ;   in Loop: Header=BB6_10567 Depth=3
	v_bfe_u32 v7, v12, 23, 1
; %bb.11558:                            ;   in Loop: Header=BB6_10567 Depth=3
	s_or_b64 exec, exec, s[28:29]
	v_lshrrev_b64 v[12:13], 20, v[12:13]
	v_cmp_gt_i32_e32 vcc, 16, v7
	v_cndmask_b32_e32 v13, 0, v13, vcc
	v_cndmask_b32_e32 v12, 7, v12, vcc
	v_min_i32_e32 v0, 15, v7
	v_cmp_eq_u64_e64 s[28:29], 0, v[12:13]
	v_lshlrev_b32_e32 v0, 3, v0
	v_cmp_eq_u32_e32 vcc, 0, v7
	v_and_b32_e32 v0, 0xf8, v0
	v_and_or_b32 v0, v12, 7, v0
	s_and_b64 s[28:29], vcc, s[28:29]
	v_cndmask_b32_e64 v0, v0, 0, s[28:29]
	v_or_b32_e32 v50, v0, v2
.LBB6_11559:                            ;   in Loop: Header=BB6_10567 Depth=3
	s_or_b64 exec, exec, s[36:37]
                                        ; implicit-def: $vgpr2
.LBB6_11560:                            ;   in Loop: Header=BB6_10567 Depth=3
	s_andn2_saveexec_b64 s[28:29], s[34:35]
; %bb.11561:                            ;   in Loop: Header=BB6_10567 Depth=3
	v_or_b32_e32 v50, 0x7e, v2
; %bb.11562:                            ;   in Loop: Header=BB6_10567 Depth=3
	s_or_b64 exec, exec, s[28:29]
                                        ; implicit-def: $vgpr7
.LBB6_11563:                            ;   in Loop: Header=BB6_10567 Depth=3
	s_andn2_saveexec_b64 s[28:29], s[30:31]
; %bb.11564:                            ;   in Loop: Header=BB6_10567 Depth=3
	v_or_b32_sdwa v50, v7, s86 dst_sel:DWORD dst_unused:UNUSED_PAD src0_sel:BYTE_3 src1_sel:DWORD
; %bb.11565:                            ;   in Loop: Header=BB6_10567 Depth=3
	s_or_b64 exec, exec, s[28:29]
	v_lshrrev_b16_e32 v9, 8, v8
	v_cmp_ne_u16_e32 vcc, 0, v9
	v_mov_b32_e32 v2, 0
	s_and_saveexec_b64 s[28:29], vcc
	s_cbranch_execz .LBB6_11571
; %bb.11566:                            ;   in Loop: Header=BB6_10567 Depth=3
	v_cmp_ne_u16_e32 vcc, s96, v9
	v_bfrev_b32_e32 v2, 1
	s_and_saveexec_b64 s[30:31], vcc
	s_cbranch_execz .LBB6_11570
; %bb.11567:                            ;   in Loop: Header=BB6_10567 Depth=3
	v_and_b32_e32 v7, 0x7f, v9
	v_cmp_ne_u32_e32 vcc, s86, v7
	v_mov_b32_e32 v2, 0x7f800001
	s_and_saveexec_b64 s[34:35], vcc
	s_cbranch_execz .LBB6_11569
; %bb.11568:                            ;   in Loop: Header=BB6_10567 Depth=3
	v_and_b32_e32 v0, 7, v9
	v_ffbh_u32_e32 v2, v0
	v_min_u32_e32 v2, 32, v2
	v_lshrrev_b32_e32 v1, 3, v7
	v_cmp_gt_u32_e32 vcc, 8, v7
	v_subrev_u32_e32 v7, 28, v2
	v_lshlrev_b64 v[12:13], v7, v[9:10]
	v_sub_u32_e32 v2, 29, v2
	v_and_b32_e32 v7, 7, v12
	v_cndmask_b32_e32 v1, v1, v2, vcc
	v_cndmask_b32_e32 v0, v0, v7, vcc
	v_lshlrev_b32_e32 v2, 16, v8
	v_bfrev_b32_e32 v7, 60
	v_lshlrev_b32_e32 v0, 20, v0
	v_and_b32_e32 v2, 0x80000000, v2
	v_lshl_add_u32 v1, v1, 23, v7
	v_or3_b32 v2, v2, v1, v0
.LBB6_11569:                            ;   in Loop: Header=BB6_10567 Depth=3
	s_or_b64 exec, exec, s[34:35]
.LBB6_11570:                            ;   in Loop: Header=BB6_10567 Depth=3
	s_or_b64 exec, exec, s[30:31]
.LBB6_11571:                            ;   in Loop: Header=BB6_10567 Depth=3
	s_or_b64 exec, exec, s[28:29]
	v_mul_f32_e32 v7, v5, v2
	v_and_b32_e32 v8, 0x7f800000, v7
	v_mov_b32_e32 v9, v51
	v_cmp_ne_u64_e32 vcc, s[76:77], v[8:9]
                                        ; implicit-def: $vgpr0
                                        ; kill: killed $vgpr0
	s_and_saveexec_b64 s[28:29], vcc
	s_xor_b64 s[30:31], exec, s[28:29]
	s_cbranch_execz .LBB6_11585
; %bb.11572:                            ;   in Loop: Header=BB6_10567 Depth=3
	v_and_b32_e32 v8, 0x7fffffff, v7
	v_mov_b32_e32 v9, v51
	v_cmp_gt_u64_e32 vcc, s[78:79], v[8:9]
	v_and_b32_sdwa v2, v7, s96 dst_sel:DWORD dst_unused:UNUSED_PAD src0_sel:BYTE_3 src1_sel:DWORD
                                        ; implicit-def: $vgpr0
                                        ; kill: killed $vgpr0
	s_and_saveexec_b64 s[28:29], vcc
	s_xor_b64 s[34:35], exec, s[28:29]
	s_cbranch_execz .LBB6_11582
; %bb.11573:                            ;   in Loop: Header=BB6_10567 Depth=3
	v_mov_b32_e32 v0, 0
	v_cmp_ne_u32_e32 vcc, 0, v7
	buffer_store_dword v0, off, s[0:3], s33 offset:152 ; 4-byte Folded Spill
	s_and_saveexec_b64 s[36:37], vcc
	s_cbranch_execz .LBB6_11581
; %bb.11574:                            ;   in Loop: Header=BB6_10567 Depth=3
	v_and_b32_e32 v0, 0x7fffff, v7
	v_bfe_u32 v7, v7, 23, 8
	v_cmp_gt_u32_e64 s[28:29], s97, v7
	v_sub_u32_e32 v1, 0x79, v7
	v_cmp_eq_u32_e32 vcc, 0, v7
	v_cndmask_b32_e64 v1, 0, v1, s[28:29]
	v_mov_b32_e32 v9, 0x78
	v_or_b32_e32 v8, 0x800000, v0
	v_cndmask_b32_e32 v14, v1, v9, vcc
	v_cndmask_b32_e32 v8, v8, v0, vcc
	v_add_u32_e32 v0, 20, v14
	v_lshlrev_b64 v[12:13], v0, -1
	v_mov_b32_e32 v9, v51
	v_add_u32_e32 v0, 19, v14
	v_bfi_b32 v12, v12, 0, v8
	v_lshlrev_b64 v[15:16], v0, 1
	v_lshrrev_b64 v[8:9], v14, v[8:9]
	v_bfi_b32 v13, v13, 0, 0
	v_cmp_eq_u64_e64 s[28:29], v[12:13], v[15:16]
	v_mov_b32_e32 v13, v9
	v_mov_b32_e32 v12, v8
	s_and_saveexec_b64 s[38:39], s[28:29]
; %bb.11575:                            ;   in Loop: Header=BB6_10567 Depth=3
	v_bfe_u32 v0, v8, 20, 1
	v_add_co_u32_e64 v0, s[28:29], v8, v0
	v_add_co_u32_e64 v12, s[28:29], -1, v0
; %bb.11576:                            ;   in Loop: Header=BB6_10567 Depth=3
	s_or_b64 exec, exec, s[38:39]
	v_add_u32_e32 v0, 0xffffff81, v7
	v_mov_b32_e32 v1, 0xffffff82
	v_cndmask_b32_e32 v0, v0, v1, vcc
	v_lshrrev_b32_e32 v1, 23, v8
	v_add3_u32 v14, v14, v0, v1
	v_add_u32_e32 v13, 6, v14
	v_and_b32_e32 v0, 0xfffff, v12
	v_add_u32_e32 v8, v0, v8
	v_mov_b32_e32 v9, v51
	v_cmp_ne_u32_e32 vcc, 0, v13
                                        ; implicit-def: $vgpr7
	s_and_saveexec_b64 s[28:29], vcc
	s_xor_b64 s[28:29], exec, s[28:29]
; %bb.11577:                            ;   in Loop: Header=BB6_10567 Depth=3
	v_cmp_lt_u64_e32 vcc, s[88:89], v[8:9]
	v_add_u32_e32 v0, 7, v14
	v_cndmask_b32_e32 v7, v13, v0, vcc
	v_cndmask_b32_e64 v0, 0, 1, vcc
	v_lshrrev_b64 v[8:9], v0, v[8:9]
; %bb.11578:                            ;   in Loop: Header=BB6_10567 Depth=3
	s_andn2_saveexec_b64 s[28:29], s[28:29]
; %bb.11579:                            ;   in Loop: Header=BB6_10567 Depth=3
	v_bfe_u32 v7, v8, 23, 1
; %bb.11580:                            ;   in Loop: Header=BB6_10567 Depth=3
	s_or_b64 exec, exec, s[28:29]
	v_lshrrev_b64 v[8:9], 20, v[8:9]
	v_cmp_gt_i32_e32 vcc, 16, v7
	v_cndmask_b32_e32 v9, 0, v9, vcc
	v_cndmask_b32_e32 v8, 7, v8, vcc
	v_min_i32_e32 v0, 15, v7
	v_cmp_eq_u64_e64 s[28:29], 0, v[8:9]
	v_lshlrev_b32_e32 v0, 3, v0
	v_cmp_eq_u32_e32 vcc, 0, v7
	v_and_b32_e32 v0, 0xf8, v0
	v_and_or_b32 v0, v8, 7, v0
	s_and_b64 s[28:29], vcc, s[28:29]
	v_cndmask_b32_e64 v0, v0, 0, s[28:29]
	v_or_b32_e32 v0, v0, v2
	buffer_store_dword v0, off, s[0:3], s33 offset:152 ; 4-byte Folded Spill
.LBB6_11581:                            ;   in Loop: Header=BB6_10567 Depth=3
	s_or_b64 exec, exec, s[36:37]
                                        ; implicit-def: $vgpr2
.LBB6_11582:                            ;   in Loop: Header=BB6_10567 Depth=3
	s_andn2_saveexec_b64 s[28:29], s[34:35]
	s_cbranch_execz .LBB6_11584
; %bb.11583:                            ;   in Loop: Header=BB6_10567 Depth=3
	v_or_b32_e32 v0, 0x7e, v2
	buffer_store_dword v0, off, s[0:3], s33 offset:152 ; 4-byte Folded Spill
.LBB6_11584:                            ;   in Loop: Header=BB6_10567 Depth=3
	s_or_b64 exec, exec, s[28:29]
                                        ; implicit-def: $vgpr7
.LBB6_11585:                            ;   in Loop: Header=BB6_10567 Depth=3
	s_andn2_saveexec_b64 s[28:29], s[30:31]
	s_cbranch_execz .LBB6_11587
; %bb.11586:                            ;   in Loop: Header=BB6_10567 Depth=3
	v_or_b32_sdwa v0, v7, s86 dst_sel:DWORD dst_unused:UNUSED_PAD src0_sel:BYTE_3 src1_sel:DWORD
	buffer_store_dword v0, off, s[0:3], s33 offset:152 ; 4-byte Folded Spill
.LBB6_11587:                            ;   in Loop: Header=BB6_10567 Depth=3
	s_or_b64 exec, exec, s[28:29]
	v_lshrrev_b32_e32 v8, 16, v11
	v_cmp_ne_u16_sdwa vcc, v8, v51 src0_sel:BYTE_0 src1_sel:DWORD
	v_mov_b32_e32 v2, 0
	s_and_saveexec_b64 s[28:29], vcc
	s_cbranch_execz .LBB6_11593
; %bb.11588:                            ;   in Loop: Header=BB6_10567 Depth=3
	v_cmp_ne_u16_sdwa vcc, v8, s96 src0_sel:BYTE_0 src1_sel:DWORD
	v_bfrev_b32_e32 v2, 1
	s_and_saveexec_b64 s[30:31], vcc
	s_cbranch_execz .LBB6_11592
; %bb.11589:                            ;   in Loop: Header=BB6_10567 Depth=3
	v_bfe_u32 v7, v11, 16, 7
	v_cmp_ne_u32_e32 vcc, s86, v7
	v_mov_b32_e32 v2, 0x7f800001
	s_and_saveexec_b64 s[34:35], vcc
	s_cbranch_execz .LBB6_11591
; %bb.11590:                            ;   in Loop: Header=BB6_10567 Depth=3
	v_and_b32_e32 v0, 7, v8
	v_ffbh_u32_e32 v2, v0
	v_min_u32_e32 v2, 32, v2
	v_lshrrev_b32_e32 v1, 3, v7
	v_cmp_gt_u32_e32 vcc, 8, v7
	v_subrev_u32_e32 v7, 28, v2
	v_lshlrev_b64 v[12:13], v7, v[8:9]
	v_sub_u32_e32 v2, 29, v2
	v_and_b32_e32 v7, 7, v12
	v_cndmask_b32_e32 v1, v1, v2, vcc
	v_cndmask_b32_e32 v0, v0, v7, vcc
	v_lshlrev_b32_e32 v2, 24, v8
	v_bfrev_b32_e32 v7, 60
	v_lshlrev_b32_e32 v0, 20, v0
	v_and_b32_e32 v2, 0x80000000, v2
	v_lshl_add_u32 v1, v1, 23, v7
	v_or3_b32 v2, v2, v1, v0
.LBB6_11591:                            ;   in Loop: Header=BB6_10567 Depth=3
	s_or_b64 exec, exec, s[34:35]
.LBB6_11592:                            ;   in Loop: Header=BB6_10567 Depth=3
	s_or_b64 exec, exec, s[30:31]
.LBB6_11593:                            ;   in Loop: Header=BB6_10567 Depth=3
	s_or_b64 exec, exec, s[28:29]
	v_mul_f32_e32 v7, v5, v2
	v_and_b32_e32 v8, 0x7f800000, v7
	v_mov_b32_e32 v9, v51
	v_cmp_ne_u64_e32 vcc, s[76:77], v[8:9]
                                        ; implicit-def: $vgpr0
                                        ; kill: killed $vgpr0
	s_and_saveexec_b64 s[28:29], vcc
	s_xor_b64 s[30:31], exec, s[28:29]
	s_cbranch_execz .LBB6_11607
; %bb.11594:                            ;   in Loop: Header=BB6_10567 Depth=3
	v_and_b32_e32 v8, 0x7fffffff, v7
	v_mov_b32_e32 v9, v51
	v_cmp_gt_u64_e32 vcc, s[78:79], v[8:9]
	v_and_b32_sdwa v2, v7, s96 dst_sel:DWORD dst_unused:UNUSED_PAD src0_sel:BYTE_3 src1_sel:DWORD
                                        ; implicit-def: $vgpr0
                                        ; kill: killed $vgpr0
	s_and_saveexec_b64 s[28:29], vcc
	s_xor_b64 s[34:35], exec, s[28:29]
	s_cbranch_execz .LBB6_11604
; %bb.11595:                            ;   in Loop: Header=BB6_10567 Depth=3
	v_mov_b32_e32 v0, 0
	v_cmp_ne_u32_e32 vcc, 0, v7
	buffer_store_dword v0, off, s[0:3], s33 offset:176 ; 4-byte Folded Spill
	s_and_saveexec_b64 s[36:37], vcc
	s_cbranch_execz .LBB6_11603
; %bb.11596:                            ;   in Loop: Header=BB6_10567 Depth=3
	v_and_b32_e32 v0, 0x7fffff, v7
	v_bfe_u32 v7, v7, 23, 8
	v_cmp_gt_u32_e64 s[28:29], s97, v7
	v_sub_u32_e32 v1, 0x79, v7
	v_cmp_eq_u32_e32 vcc, 0, v7
	v_cndmask_b32_e64 v1, 0, v1, s[28:29]
	v_mov_b32_e32 v9, 0x78
	v_or_b32_e32 v8, 0x800000, v0
	v_cndmask_b32_e32 v14, v1, v9, vcc
	v_cndmask_b32_e32 v8, v8, v0, vcc
	v_add_u32_e32 v0, 20, v14
	v_lshlrev_b64 v[12:13], v0, -1
	v_mov_b32_e32 v9, v51
	v_add_u32_e32 v0, 19, v14
	v_bfi_b32 v12, v12, 0, v8
	v_lshlrev_b64 v[15:16], v0, 1
	v_lshrrev_b64 v[8:9], v14, v[8:9]
	v_bfi_b32 v13, v13, 0, 0
	v_cmp_eq_u64_e64 s[28:29], v[12:13], v[15:16]
	v_mov_b32_e32 v13, v9
	v_mov_b32_e32 v12, v8
	s_and_saveexec_b64 s[38:39], s[28:29]
; %bb.11597:                            ;   in Loop: Header=BB6_10567 Depth=3
	v_bfe_u32 v0, v8, 20, 1
	v_add_co_u32_e64 v0, s[28:29], v8, v0
	v_add_co_u32_e64 v12, s[28:29], -1, v0
; %bb.11598:                            ;   in Loop: Header=BB6_10567 Depth=3
	s_or_b64 exec, exec, s[38:39]
	v_add_u32_e32 v0, 0xffffff81, v7
	v_mov_b32_e32 v1, 0xffffff82
	v_cndmask_b32_e32 v0, v0, v1, vcc
	v_lshrrev_b32_e32 v1, 23, v8
	v_add3_u32 v14, v14, v0, v1
	v_add_u32_e32 v13, 6, v14
	v_and_b32_e32 v0, 0xfffff, v12
	v_add_u32_e32 v8, v0, v8
	v_mov_b32_e32 v9, v51
	v_cmp_ne_u32_e32 vcc, 0, v13
                                        ; implicit-def: $vgpr7
	s_and_saveexec_b64 s[28:29], vcc
	s_xor_b64 s[28:29], exec, s[28:29]
; %bb.11599:                            ;   in Loop: Header=BB6_10567 Depth=3
	v_cmp_lt_u64_e32 vcc, s[88:89], v[8:9]
	v_add_u32_e32 v0, 7, v14
	v_cndmask_b32_e32 v7, v13, v0, vcc
	v_cndmask_b32_e64 v0, 0, 1, vcc
	v_lshrrev_b64 v[8:9], v0, v[8:9]
; %bb.11600:                            ;   in Loop: Header=BB6_10567 Depth=3
	s_andn2_saveexec_b64 s[28:29], s[28:29]
; %bb.11601:                            ;   in Loop: Header=BB6_10567 Depth=3
	v_bfe_u32 v7, v8, 23, 1
; %bb.11602:                            ;   in Loop: Header=BB6_10567 Depth=3
	s_or_b64 exec, exec, s[28:29]
	v_lshrrev_b64 v[8:9], 20, v[8:9]
	v_cmp_gt_i32_e32 vcc, 16, v7
	v_cndmask_b32_e32 v9, 0, v9, vcc
	v_cndmask_b32_e32 v8, 7, v8, vcc
	v_min_i32_e32 v0, 15, v7
	v_cmp_eq_u64_e64 s[28:29], 0, v[8:9]
	v_lshlrev_b32_e32 v0, 3, v0
	v_cmp_eq_u32_e32 vcc, 0, v7
	v_and_b32_e32 v0, 0xf8, v0
	v_and_or_b32 v0, v8, 7, v0
	s_and_b64 s[28:29], vcc, s[28:29]
	v_cndmask_b32_e64 v0, v0, 0, s[28:29]
	v_or_b32_e32 v0, v0, v2
	buffer_store_dword v0, off, s[0:3], s33 offset:176 ; 4-byte Folded Spill
.LBB6_11603:                            ;   in Loop: Header=BB6_10567 Depth=3
	s_or_b64 exec, exec, s[36:37]
                                        ; implicit-def: $vgpr2
.LBB6_11604:                            ;   in Loop: Header=BB6_10567 Depth=3
	s_andn2_saveexec_b64 s[28:29], s[34:35]
	s_cbranch_execz .LBB6_11606
; %bb.11605:                            ;   in Loop: Header=BB6_10567 Depth=3
	v_or_b32_e32 v0, 0x7e, v2
	buffer_store_dword v0, off, s[0:3], s33 offset:176 ; 4-byte Folded Spill
.LBB6_11606:                            ;   in Loop: Header=BB6_10567 Depth=3
	s_or_b64 exec, exec, s[28:29]
                                        ; implicit-def: $vgpr7
.LBB6_11607:                            ;   in Loop: Header=BB6_10567 Depth=3
	s_andn2_saveexec_b64 s[28:29], s[30:31]
	s_cbranch_execz .LBB6_11609
; %bb.11608:                            ;   in Loop: Header=BB6_10567 Depth=3
	v_or_b32_sdwa v0, v7, s86 dst_sel:DWORD dst_unused:UNUSED_PAD src0_sel:BYTE_3 src1_sel:DWORD
	buffer_store_dword v0, off, s[0:3], s33 offset:176 ; 4-byte Folded Spill
.LBB6_11609:                            ;   in Loop: Header=BB6_10567 Depth=3
	s_or_b64 exec, exec, s[28:29]
	v_cmp_lt_u64_e32 vcc, s[56:57], v[10:11]
	v_mov_b32_e32 v2, 0
	s_and_saveexec_b64 s[28:29], vcc
	s_cbranch_execz .LBB6_11615
; %bb.11610:                            ;   in Loop: Header=BB6_10567 Depth=3
	v_lshrrev_b32_e32 v8, 24, v11
	v_cmp_ne_u32_e32 vcc, s96, v8
	v_bfrev_b32_e32 v2, 1
	s_and_saveexec_b64 s[30:31], vcc
	s_cbranch_execz .LBB6_11614
; %bb.11611:                            ;   in Loop: Header=BB6_10567 Depth=3
	v_bfe_u32 v7, v11, 24, 7
	v_cmp_ne_u32_e32 vcc, s86, v7
	v_mov_b32_e32 v2, 0x7f800001
	s_and_saveexec_b64 s[34:35], vcc
	s_cbranch_execz .LBB6_11613
; %bb.11612:                            ;   in Loop: Header=BB6_10567 Depth=3
	v_and_b32_e32 v0, 7, v8
	v_ffbh_u32_e32 v2, v0
	v_min_u32_e32 v2, 32, v2
	v_lshrrev_b32_e32 v1, 3, v7
	v_cmp_gt_u32_e32 vcc, 8, v7
	v_subrev_u32_e32 v7, 28, v2
	v_lshlrev_b64 v[9:10], v7, v[8:9]
	v_sub_u32_e32 v2, 29, v2
	v_and_b32_e32 v7, 7, v9
	v_cndmask_b32_e32 v1, v1, v2, vcc
	v_cndmask_b32_e32 v0, v0, v7, vcc
	v_lshlrev_b32_e32 v2, 24, v8
	v_bfrev_b32_e32 v7, 60
	v_lshlrev_b32_e32 v0, 20, v0
	v_and_b32_e32 v2, 0x80000000, v2
	v_lshl_add_u32 v1, v1, 23, v7
	v_or3_b32 v2, v2, v1, v0
.LBB6_11613:                            ;   in Loop: Header=BB6_10567 Depth=3
	s_or_b64 exec, exec, s[34:35]
.LBB6_11614:                            ;   in Loop: Header=BB6_10567 Depth=3
	s_or_b64 exec, exec, s[30:31]
.LBB6_11615:                            ;   in Loop: Header=BB6_10567 Depth=3
	s_or_b64 exec, exec, s[28:29]
	v_mul_f32_e32 v7, v5, v2
	v_and_b32_e32 v8, 0x7f800000, v7
	v_mov_b32_e32 v9, v51
	v_cmp_ne_u64_e32 vcc, s[76:77], v[8:9]
                                        ; implicit-def: $vgpr0
                                        ; kill: killed $vgpr0
	s_and_saveexec_b64 s[28:29], vcc
	s_xor_b64 s[30:31], exec, s[28:29]
	s_cbranch_execz .LBB6_11629
; %bb.11616:                            ;   in Loop: Header=BB6_10567 Depth=3
	v_and_b32_e32 v8, 0x7fffffff, v7
	v_mov_b32_e32 v9, v51
	v_cmp_gt_u64_e32 vcc, s[78:79], v[8:9]
	v_and_b32_sdwa v2, v7, s96 dst_sel:DWORD dst_unused:UNUSED_PAD src0_sel:BYTE_3 src1_sel:DWORD
                                        ; implicit-def: $vgpr0
                                        ; kill: killed $vgpr0
	s_and_saveexec_b64 s[28:29], vcc
	s_xor_b64 s[34:35], exec, s[28:29]
	s_cbranch_execz .LBB6_11626
; %bb.11617:                            ;   in Loop: Header=BB6_10567 Depth=3
	v_mov_b32_e32 v0, 0
	v_cmp_ne_u32_e32 vcc, 0, v7
	buffer_store_dword v0, off, s[0:3], s33 offset:196 ; 4-byte Folded Spill
	s_and_saveexec_b64 s[36:37], vcc
	s_cbranch_execz .LBB6_11625
; %bb.11618:                            ;   in Loop: Header=BB6_10567 Depth=3
	v_and_b32_e32 v0, 0x7fffff, v7
	v_bfe_u32 v7, v7, 23, 8
	v_cmp_gt_u32_e64 s[28:29], s97, v7
	v_sub_u32_e32 v1, 0x79, v7
	v_cmp_eq_u32_e32 vcc, 0, v7
	v_cndmask_b32_e64 v1, 0, v1, s[28:29]
	v_mov_b32_e32 v9, 0x78
	v_or_b32_e32 v8, 0x800000, v0
	v_cndmask_b32_e32 v11, v1, v9, vcc
	v_cndmask_b32_e32 v8, v8, v0, vcc
	v_add_u32_e32 v0, 20, v11
	v_lshlrev_b64 v[12:13], v0, -1
	v_mov_b32_e32 v9, v51
	v_add_u32_e32 v0, 19, v11
	v_bfi_b32 v12, v12, 0, v8
	v_lshlrev_b64 v[14:15], v0, 1
	v_lshrrev_b64 v[8:9], v11, v[8:9]
	v_bfi_b32 v13, v13, 0, 0
	v_cmp_eq_u64_e64 s[28:29], v[12:13], v[14:15]
	v_mov_b32_e32 v10, v9
	v_mov_b32_e32 v9, v8
	s_and_saveexec_b64 s[38:39], s[28:29]
; %bb.11619:                            ;   in Loop: Header=BB6_10567 Depth=3
	v_bfe_u32 v0, v8, 20, 1
	v_add_co_u32_e64 v0, s[28:29], v8, v0
	v_add_co_u32_e64 v9, s[28:29], -1, v0
; %bb.11620:                            ;   in Loop: Header=BB6_10567 Depth=3
	s_or_b64 exec, exec, s[38:39]
	v_add_u32_e32 v0, 0xffffff81, v7
	v_mov_b32_e32 v1, 0xffffff82
	v_cndmask_b32_e32 v0, v0, v1, vcc
	v_lshrrev_b32_e32 v1, 23, v8
	v_add3_u32 v11, v11, v0, v1
	v_add_u32_e32 v10, 6, v11
	v_and_b32_e32 v0, 0xfffff, v9
	v_add_u32_e32 v8, v0, v8
	v_mov_b32_e32 v9, v51
	v_cmp_ne_u32_e32 vcc, 0, v10
                                        ; implicit-def: $vgpr7
	s_and_saveexec_b64 s[28:29], vcc
	s_xor_b64 s[28:29], exec, s[28:29]
; %bb.11621:                            ;   in Loop: Header=BB6_10567 Depth=3
	v_cmp_lt_u64_e32 vcc, s[88:89], v[8:9]
	v_add_u32_e32 v0, 7, v11
	v_cndmask_b32_e32 v7, v10, v0, vcc
	v_cndmask_b32_e64 v0, 0, 1, vcc
	v_lshrrev_b64 v[8:9], v0, v[8:9]
; %bb.11622:                            ;   in Loop: Header=BB6_10567 Depth=3
	s_andn2_saveexec_b64 s[28:29], s[28:29]
; %bb.11623:                            ;   in Loop: Header=BB6_10567 Depth=3
	v_bfe_u32 v7, v8, 23, 1
; %bb.11624:                            ;   in Loop: Header=BB6_10567 Depth=3
	s_or_b64 exec, exec, s[28:29]
	v_lshrrev_b64 v[8:9], 20, v[8:9]
	v_cmp_gt_i32_e32 vcc, 16, v7
	v_cndmask_b32_e32 v9, 0, v9, vcc
	v_cndmask_b32_e32 v8, 7, v8, vcc
	v_min_i32_e32 v0, 15, v7
	v_cmp_eq_u64_e64 s[28:29], 0, v[8:9]
	v_lshlrev_b32_e32 v0, 3, v0
	v_cmp_eq_u32_e32 vcc, 0, v7
	v_and_b32_e32 v0, 0xf8, v0
	v_and_or_b32 v0, v8, 7, v0
	s_and_b64 s[28:29], vcc, s[28:29]
	v_cndmask_b32_e64 v0, v0, 0, s[28:29]
	v_or_b32_e32 v0, v0, v2
	buffer_store_dword v0, off, s[0:3], s33 offset:196 ; 4-byte Folded Spill
.LBB6_11625:                            ;   in Loop: Header=BB6_10567 Depth=3
	s_or_b64 exec, exec, s[36:37]
                                        ; implicit-def: $vgpr2
.LBB6_11626:                            ;   in Loop: Header=BB6_10567 Depth=3
	s_andn2_saveexec_b64 s[28:29], s[34:35]
	s_cbranch_execz .LBB6_11628
; %bb.11627:                            ;   in Loop: Header=BB6_10567 Depth=3
	v_or_b32_e32 v0, 0x7e, v2
	buffer_store_dword v0, off, s[0:3], s33 offset:196 ; 4-byte Folded Spill
.LBB6_11628:                            ;   in Loop: Header=BB6_10567 Depth=3
	s_or_b64 exec, exec, s[28:29]
                                        ; implicit-def: $vgpr7
.LBB6_11629:                            ;   in Loop: Header=BB6_10567 Depth=3
	s_andn2_saveexec_b64 s[28:29], s[30:31]
	s_cbranch_execz .LBB6_11631
; %bb.11630:                            ;   in Loop: Header=BB6_10567 Depth=3
	v_or_b32_sdwa v0, v7, s86 dst_sel:DWORD dst_unused:UNUSED_PAD src0_sel:BYTE_3 src1_sel:DWORD
	buffer_store_dword v0, off, s[0:3], s33 offset:196 ; 4-byte Folded Spill
.LBB6_11631:                            ;   in Loop: Header=BB6_10567 Depth=3
	s_or_b64 exec, exec, s[28:29]
	global_load_dwordx4 v[8:11], v[60:61], off offset:3072 glc slc
	v_mov_b32_e32 v2, 0
	s_waitcnt vmcnt(0)
	v_cmp_ne_u16_sdwa vcc, v8, v51 src0_sel:BYTE_0 src1_sel:DWORD
	s_and_saveexec_b64 s[28:29], vcc
	s_cbranch_execz .LBB6_11637
; %bb.11632:                            ;   in Loop: Header=BB6_10567 Depth=3
	v_cmp_ne_u16_sdwa vcc, v8, s96 src0_sel:BYTE_0 src1_sel:DWORD
	v_bfrev_b32_e32 v2, 1
	s_and_saveexec_b64 s[30:31], vcc
	s_cbranch_execz .LBB6_11636
; %bb.11633:                            ;   in Loop: Header=BB6_10567 Depth=3
	v_and_b32_e32 v7, 0x7f, v8
	v_cmp_ne_u32_e32 vcc, s86, v7
	v_mov_b32_e32 v2, 0x7f800001
	s_and_saveexec_b64 s[34:35], vcc
	s_cbranch_execz .LBB6_11635
; %bb.11634:                            ;   in Loop: Header=BB6_10567 Depth=3
	v_and_b32_e32 v0, 7, v8
	v_ffbh_u32_e32 v0, v0
	v_min_u32_e32 v0, 32, v0
	v_lshrrev_b32_e32 v1, 3, v7
	v_cmp_gt_u32_e32 vcc, 8, v7
	v_subrev_u32_e32 v2, 28, v0
	v_sub_u32_e32 v0, 29, v0
	v_cndmask_b32_e32 v0, v1, v0, vcc
	v_cndmask_b32_e32 v1, 0, v2, vcc
	v_lshlrev_b64 v[12:13], v1, v[8:9]
	v_lshlrev_b32_e32 v2, 24, v8
	v_lshlrev_b32_e32 v1, 20, v12
	v_bfrev_b32_e32 v7, 60
	v_and_b32_e32 v1, 0x700000, v1
	v_and_b32_e32 v2, 0x80000000, v2
	v_lshl_add_u32 v0, v0, 23, v7
	v_or3_b32 v2, v2, v0, v1
.LBB6_11635:                            ;   in Loop: Header=BB6_10567 Depth=3
	s_or_b64 exec, exec, s[34:35]
.LBB6_11636:                            ;   in Loop: Header=BB6_10567 Depth=3
	s_or_b64 exec, exec, s[30:31]
.LBB6_11637:                            ;   in Loop: Header=BB6_10567 Depth=3
	s_or_b64 exec, exec, s[28:29]
	v_mul_f32_e32 v7, v5, v2
	v_and_b32_e32 v12, 0x7f800000, v7
	v_mov_b32_e32 v13, v51
	v_cmp_ne_u64_e32 vcc, s[76:77], v[12:13]
                                        ; implicit-def: $vgpr54
	s_and_saveexec_b64 s[28:29], vcc
	s_xor_b64 s[30:31], exec, s[28:29]
	s_cbranch_execz .LBB6_11651
; %bb.11638:                            ;   in Loop: Header=BB6_10567 Depth=3
	v_and_b32_e32 v12, 0x7fffffff, v7
	v_mov_b32_e32 v13, v51
	v_cmp_gt_u64_e32 vcc, s[78:79], v[12:13]
	v_and_b32_sdwa v2, v7, s96 dst_sel:DWORD dst_unused:UNUSED_PAD src0_sel:BYTE_3 src1_sel:DWORD
                                        ; implicit-def: $vgpr54
	s_and_saveexec_b64 s[28:29], vcc
	s_xor_b64 s[34:35], exec, s[28:29]
	s_cbranch_execz .LBB6_11648
; %bb.11639:                            ;   in Loop: Header=BB6_10567 Depth=3
	v_mov_b32_e32 v54, 0
	v_cmp_ne_u32_e32 vcc, 0, v7
	s_and_saveexec_b64 s[36:37], vcc
	s_cbranch_execz .LBB6_11647
; %bb.11640:                            ;   in Loop: Header=BB6_10567 Depth=3
	v_and_b32_e32 v0, 0x7fffff, v7
	v_bfe_u32 v7, v7, 23, 8
	v_cmp_gt_u32_e64 s[28:29], s97, v7
	v_sub_u32_e32 v1, 0x79, v7
	v_cmp_eq_u32_e32 vcc, 0, v7
	v_cndmask_b32_e64 v1, 0, v1, s[28:29]
	v_mov_b32_e32 v13, 0x78
	v_or_b32_e32 v12, 0x800000, v0
	v_cndmask_b32_e32 v15, v1, v13, vcc
	v_cndmask_b32_e32 v12, v12, v0, vcc
	v_add_u32_e32 v0, 20, v15
	v_lshlrev_b64 v[16:17], v0, -1
	v_mov_b32_e32 v13, v51
	v_add_u32_e32 v0, 19, v15
	v_bfi_b32 v16, v16, 0, v12
	v_lshlrev_b64 v[18:19], v0, 1
	v_lshrrev_b64 v[12:13], v15, v[12:13]
	v_bfi_b32 v17, v17, 0, 0
	v_cmp_eq_u64_e64 s[28:29], v[16:17], v[18:19]
	v_mov_b32_e32 v14, v13
	v_mov_b32_e32 v13, v12
	s_and_saveexec_b64 s[38:39], s[28:29]
; %bb.11641:                            ;   in Loop: Header=BB6_10567 Depth=3
	v_bfe_u32 v0, v12, 20, 1
	v_add_co_u32_e64 v0, s[28:29], v12, v0
	v_add_co_u32_e64 v13, s[28:29], -1, v0
; %bb.11642:                            ;   in Loop: Header=BB6_10567 Depth=3
	s_or_b64 exec, exec, s[38:39]
	v_add_u32_e32 v0, 0xffffff81, v7
	v_mov_b32_e32 v1, 0xffffff82
	v_cndmask_b32_e32 v0, v0, v1, vcc
	v_lshrrev_b32_e32 v1, 23, v12
	v_add3_u32 v15, v15, v0, v1
	v_add_u32_e32 v14, 6, v15
	v_and_b32_e32 v0, 0xfffff, v13
	v_add_u32_e32 v12, v0, v12
	v_mov_b32_e32 v13, v51
	v_cmp_ne_u32_e32 vcc, 0, v14
                                        ; implicit-def: $vgpr7
	s_and_saveexec_b64 s[28:29], vcc
	s_xor_b64 s[28:29], exec, s[28:29]
; %bb.11643:                            ;   in Loop: Header=BB6_10567 Depth=3
	v_cmp_lt_u64_e32 vcc, s[88:89], v[12:13]
	v_add_u32_e32 v0, 7, v15
	v_cndmask_b32_e32 v7, v14, v0, vcc
	v_cndmask_b32_e64 v0, 0, 1, vcc
	v_lshrrev_b64 v[12:13], v0, v[12:13]
; %bb.11644:                            ;   in Loop: Header=BB6_10567 Depth=3
	s_andn2_saveexec_b64 s[28:29], s[28:29]
; %bb.11645:                            ;   in Loop: Header=BB6_10567 Depth=3
	v_bfe_u32 v7, v12, 23, 1
; %bb.11646:                            ;   in Loop: Header=BB6_10567 Depth=3
	s_or_b64 exec, exec, s[28:29]
	v_lshrrev_b64 v[12:13], 20, v[12:13]
	v_cmp_gt_i32_e32 vcc, 16, v7
	v_cndmask_b32_e32 v13, 0, v13, vcc
	v_cndmask_b32_e32 v12, 7, v12, vcc
	v_min_i32_e32 v0, 15, v7
	v_cmp_eq_u64_e64 s[28:29], 0, v[12:13]
	v_lshlrev_b32_e32 v0, 3, v0
	v_cmp_eq_u32_e32 vcc, 0, v7
	v_and_b32_e32 v0, 0xf8, v0
	v_and_or_b32 v0, v12, 7, v0
	s_and_b64 s[28:29], vcc, s[28:29]
	v_cndmask_b32_e64 v0, v0, 0, s[28:29]
	v_or_b32_e32 v54, v0, v2
.LBB6_11647:                            ;   in Loop: Header=BB6_10567 Depth=3
	s_or_b64 exec, exec, s[36:37]
                                        ; implicit-def: $vgpr2
.LBB6_11648:                            ;   in Loop: Header=BB6_10567 Depth=3
	s_andn2_saveexec_b64 s[28:29], s[34:35]
; %bb.11649:                            ;   in Loop: Header=BB6_10567 Depth=3
	v_or_b32_e32 v54, 0x7e, v2
; %bb.11650:                            ;   in Loop: Header=BB6_10567 Depth=3
	s_or_b64 exec, exec, s[28:29]
                                        ; implicit-def: $vgpr7
.LBB6_11651:                            ;   in Loop: Header=BB6_10567 Depth=3
	s_andn2_saveexec_b64 s[28:29], s[30:31]
; %bb.11652:                            ;   in Loop: Header=BB6_10567 Depth=3
	v_or_b32_sdwa v54, v7, s86 dst_sel:DWORD dst_unused:UNUSED_PAD src0_sel:BYTE_3 src1_sel:DWORD
; %bb.11653:                            ;   in Loop: Header=BB6_10567 Depth=3
	s_or_b64 exec, exec, s[28:29]
	v_lshrrev_b16_e32 v12, 8, v8
	v_cmp_ne_u16_e32 vcc, 0, v12
	v_mov_b32_e32 v2, 0
	s_and_saveexec_b64 s[28:29], vcc
	s_cbranch_execz .LBB6_11659
; %bb.11654:                            ;   in Loop: Header=BB6_10567 Depth=3
	v_cmp_ne_u16_e32 vcc, s96, v12
	v_bfrev_b32_e32 v2, 1
	s_and_saveexec_b64 s[30:31], vcc
	s_cbranch_execz .LBB6_11658
; %bb.11655:                            ;   in Loop: Header=BB6_10567 Depth=3
	v_and_b32_e32 v7, 0x7f, v12
	v_cmp_ne_u32_e32 vcc, s86, v7
	v_mov_b32_e32 v2, 0x7f800001
	s_and_saveexec_b64 s[34:35], vcc
	s_cbranch_execz .LBB6_11657
; %bb.11656:                            ;   in Loop: Header=BB6_10567 Depth=3
	v_and_b32_e32 v0, 7, v12
	v_ffbh_u32_e32 v2, v0
	v_min_u32_e32 v2, 32, v2
	v_lshrrev_b32_e32 v1, 3, v7
	v_cmp_gt_u32_e32 vcc, 8, v7
	v_subrev_u32_e32 v7, 28, v2
	v_lshlrev_b64 v[12:13], v7, v[12:13]
	v_sub_u32_e32 v2, 29, v2
	v_and_b32_e32 v7, 7, v12
	v_cndmask_b32_e32 v1, v1, v2, vcc
	v_cndmask_b32_e32 v0, v0, v7, vcc
	v_lshlrev_b32_e32 v2, 16, v8
	v_bfrev_b32_e32 v7, 60
	v_lshlrev_b32_e32 v0, 20, v0
	v_and_b32_e32 v2, 0x80000000, v2
	v_lshl_add_u32 v1, v1, 23, v7
	v_or3_b32 v2, v2, v1, v0
.LBB6_11657:                            ;   in Loop: Header=BB6_10567 Depth=3
	s_or_b64 exec, exec, s[34:35]
.LBB6_11658:                            ;   in Loop: Header=BB6_10567 Depth=3
	s_or_b64 exec, exec, s[30:31]
.LBB6_11659:                            ;   in Loop: Header=BB6_10567 Depth=3
	s_or_b64 exec, exec, s[28:29]
	v_mul_f32_e32 v7, v5, v2
	v_and_b32_e32 v12, 0x7f800000, v7
	v_mov_b32_e32 v13, v51
	v_cmp_ne_u64_e32 vcc, s[76:77], v[12:13]
                                        ; implicit-def: $vgpr0
                                        ; kill: killed $vgpr0
	s_and_saveexec_b64 s[28:29], vcc
	s_xor_b64 s[30:31], exec, s[28:29]
	s_cbranch_execz .LBB6_11673
; %bb.11660:                            ;   in Loop: Header=BB6_10567 Depth=3
	v_and_b32_e32 v12, 0x7fffffff, v7
	v_mov_b32_e32 v13, v51
	v_cmp_gt_u64_e32 vcc, s[78:79], v[12:13]
	v_and_b32_sdwa v2, v7, s96 dst_sel:DWORD dst_unused:UNUSED_PAD src0_sel:BYTE_3 src1_sel:DWORD
                                        ; implicit-def: $vgpr0
                                        ; kill: killed $vgpr0
	s_and_saveexec_b64 s[28:29], vcc
	s_xor_b64 s[34:35], exec, s[28:29]
	s_cbranch_execz .LBB6_11670
; %bb.11661:                            ;   in Loop: Header=BB6_10567 Depth=3
	v_mov_b32_e32 v0, 0
	v_cmp_ne_u32_e32 vcc, 0, v7
	buffer_store_dword v0, off, s[0:3], s33 offset:136 ; 4-byte Folded Spill
	s_and_saveexec_b64 s[36:37], vcc
	s_cbranch_execz .LBB6_11669
; %bb.11662:                            ;   in Loop: Header=BB6_10567 Depth=3
	v_and_b32_e32 v0, 0x7fffff, v7
	v_bfe_u32 v7, v7, 23, 8
	v_cmp_gt_u32_e64 s[28:29], s97, v7
	v_sub_u32_e32 v1, 0x79, v7
	v_cmp_eq_u32_e32 vcc, 0, v7
	v_cndmask_b32_e64 v1, 0, v1, s[28:29]
	v_mov_b32_e32 v13, 0x78
	v_or_b32_e32 v12, 0x800000, v0
	v_cndmask_b32_e32 v15, v1, v13, vcc
	v_cndmask_b32_e32 v12, v12, v0, vcc
	v_add_u32_e32 v0, 20, v15
	v_lshlrev_b64 v[16:17], v0, -1
	v_mov_b32_e32 v13, v51
	v_add_u32_e32 v0, 19, v15
	v_bfi_b32 v16, v16, 0, v12
	v_lshlrev_b64 v[18:19], v0, 1
	v_lshrrev_b64 v[12:13], v15, v[12:13]
	v_bfi_b32 v17, v17, 0, 0
	v_cmp_eq_u64_e64 s[28:29], v[16:17], v[18:19]
	v_mov_b32_e32 v14, v13
	v_mov_b32_e32 v13, v12
	s_and_saveexec_b64 s[38:39], s[28:29]
; %bb.11663:                            ;   in Loop: Header=BB6_10567 Depth=3
	v_bfe_u32 v0, v12, 20, 1
	v_add_co_u32_e64 v0, s[28:29], v12, v0
	v_add_co_u32_e64 v13, s[28:29], -1, v0
; %bb.11664:                            ;   in Loop: Header=BB6_10567 Depth=3
	s_or_b64 exec, exec, s[38:39]
	v_add_u32_e32 v0, 0xffffff81, v7
	v_mov_b32_e32 v1, 0xffffff82
	v_cndmask_b32_e32 v0, v0, v1, vcc
	v_lshrrev_b32_e32 v1, 23, v12
	v_add3_u32 v15, v15, v0, v1
	v_add_u32_e32 v14, 6, v15
	v_and_b32_e32 v0, 0xfffff, v13
	v_add_u32_e32 v12, v0, v12
	v_mov_b32_e32 v13, v51
	v_cmp_ne_u32_e32 vcc, 0, v14
                                        ; implicit-def: $vgpr7
	s_and_saveexec_b64 s[28:29], vcc
	s_xor_b64 s[28:29], exec, s[28:29]
; %bb.11665:                            ;   in Loop: Header=BB6_10567 Depth=3
	v_cmp_lt_u64_e32 vcc, s[88:89], v[12:13]
	v_add_u32_e32 v0, 7, v15
	v_cndmask_b32_e32 v7, v14, v0, vcc
	v_cndmask_b32_e64 v0, 0, 1, vcc
	v_lshrrev_b64 v[12:13], v0, v[12:13]
; %bb.11666:                            ;   in Loop: Header=BB6_10567 Depth=3
	s_andn2_saveexec_b64 s[28:29], s[28:29]
; %bb.11667:                            ;   in Loop: Header=BB6_10567 Depth=3
	v_bfe_u32 v7, v12, 23, 1
; %bb.11668:                            ;   in Loop: Header=BB6_10567 Depth=3
	s_or_b64 exec, exec, s[28:29]
	v_lshrrev_b64 v[12:13], 20, v[12:13]
	v_cmp_gt_i32_e32 vcc, 16, v7
	v_cndmask_b32_e32 v13, 0, v13, vcc
	v_cndmask_b32_e32 v12, 7, v12, vcc
	v_min_i32_e32 v0, 15, v7
	v_cmp_eq_u64_e64 s[28:29], 0, v[12:13]
	v_lshlrev_b32_e32 v0, 3, v0
	v_cmp_eq_u32_e32 vcc, 0, v7
	v_and_b32_e32 v0, 0xf8, v0
	v_and_or_b32 v0, v12, 7, v0
	s_and_b64 s[28:29], vcc, s[28:29]
	v_cndmask_b32_e64 v0, v0, 0, s[28:29]
	v_or_b32_e32 v0, v0, v2
	buffer_store_dword v0, off, s[0:3], s33 offset:136 ; 4-byte Folded Spill
.LBB6_11669:                            ;   in Loop: Header=BB6_10567 Depth=3
	s_or_b64 exec, exec, s[36:37]
                                        ; implicit-def: $vgpr2
.LBB6_11670:                            ;   in Loop: Header=BB6_10567 Depth=3
	s_andn2_saveexec_b64 s[28:29], s[34:35]
	s_cbranch_execz .LBB6_11672
; %bb.11671:                            ;   in Loop: Header=BB6_10567 Depth=3
	v_or_b32_e32 v0, 0x7e, v2
	buffer_store_dword v0, off, s[0:3], s33 offset:136 ; 4-byte Folded Spill
.LBB6_11672:                            ;   in Loop: Header=BB6_10567 Depth=3
	s_or_b64 exec, exec, s[28:29]
                                        ; implicit-def: $vgpr7
.LBB6_11673:                            ;   in Loop: Header=BB6_10567 Depth=3
	s_andn2_saveexec_b64 s[28:29], s[30:31]
	s_cbranch_execz .LBB6_11675
; %bb.11674:                            ;   in Loop: Header=BB6_10567 Depth=3
	v_or_b32_sdwa v0, v7, s86 dst_sel:DWORD dst_unused:UNUSED_PAD src0_sel:BYTE_3 src1_sel:DWORD
	buffer_store_dword v0, off, s[0:3], s33 offset:136 ; 4-byte Folded Spill
.LBB6_11675:                            ;   in Loop: Header=BB6_10567 Depth=3
	s_or_b64 exec, exec, s[28:29]
	v_lshrrev_b32_e32 v12, 16, v8
	v_cmp_ne_u16_sdwa vcc, v12, v51 src0_sel:BYTE_0 src1_sel:DWORD
	v_mov_b32_e32 v2, 0
	s_and_saveexec_b64 s[28:29], vcc
	s_cbranch_execz .LBB6_11681
; %bb.11676:                            ;   in Loop: Header=BB6_10567 Depth=3
	v_cmp_ne_u16_sdwa vcc, v12, s96 src0_sel:BYTE_0 src1_sel:DWORD
	v_bfrev_b32_e32 v2, 1
	s_and_saveexec_b64 s[30:31], vcc
	s_cbranch_execz .LBB6_11680
; %bb.11677:                            ;   in Loop: Header=BB6_10567 Depth=3
	v_bfe_u32 v7, v8, 16, 7
	v_cmp_ne_u32_e32 vcc, s86, v7
	v_mov_b32_e32 v2, 0x7f800001
	s_and_saveexec_b64 s[34:35], vcc
	s_cbranch_execz .LBB6_11679
; %bb.11678:                            ;   in Loop: Header=BB6_10567 Depth=3
	v_and_b32_e32 v0, 7, v12
	v_ffbh_u32_e32 v2, v0
	v_min_u32_e32 v2, 32, v2
	v_lshrrev_b32_e32 v1, 3, v7
	v_cmp_gt_u32_e32 vcc, 8, v7
	v_subrev_u32_e32 v7, 28, v2
	v_lshlrev_b64 v[13:14], v7, v[12:13]
	v_sub_u32_e32 v2, 29, v2
	v_and_b32_e32 v7, 7, v13
	v_cndmask_b32_e32 v1, v1, v2, vcc
	v_cndmask_b32_e32 v0, v0, v7, vcc
	v_lshlrev_b32_e32 v2, 24, v12
	v_bfrev_b32_e32 v7, 60
	v_lshlrev_b32_e32 v0, 20, v0
	v_and_b32_e32 v2, 0x80000000, v2
	v_lshl_add_u32 v1, v1, 23, v7
	v_or3_b32 v2, v2, v1, v0
.LBB6_11679:                            ;   in Loop: Header=BB6_10567 Depth=3
	s_or_b64 exec, exec, s[34:35]
.LBB6_11680:                            ;   in Loop: Header=BB6_10567 Depth=3
	s_or_b64 exec, exec, s[30:31]
.LBB6_11681:                            ;   in Loop: Header=BB6_10567 Depth=3
	s_or_b64 exec, exec, s[28:29]
	v_mul_f32_e32 v7, v5, v2
	v_and_b32_e32 v12, 0x7f800000, v7
	v_mov_b32_e32 v13, v51
	v_cmp_ne_u64_e32 vcc, s[76:77], v[12:13]
                                        ; implicit-def: $vgpr0
                                        ; kill: killed $vgpr0
	s_and_saveexec_b64 s[28:29], vcc
	s_xor_b64 s[30:31], exec, s[28:29]
	s_cbranch_execz .LBB6_11695
; %bb.11682:                            ;   in Loop: Header=BB6_10567 Depth=3
	v_and_b32_e32 v12, 0x7fffffff, v7
	v_mov_b32_e32 v13, v51
	v_cmp_gt_u64_e32 vcc, s[78:79], v[12:13]
	v_and_b32_sdwa v2, v7, s96 dst_sel:DWORD dst_unused:UNUSED_PAD src0_sel:BYTE_3 src1_sel:DWORD
                                        ; implicit-def: $vgpr0
                                        ; kill: killed $vgpr0
	s_and_saveexec_b64 s[28:29], vcc
	s_xor_b64 s[34:35], exec, s[28:29]
	s_cbranch_execz .LBB6_11692
; %bb.11683:                            ;   in Loop: Header=BB6_10567 Depth=3
	v_mov_b32_e32 v0, 0
	v_cmp_ne_u32_e32 vcc, 0, v7
	buffer_store_dword v0, off, s[0:3], s33 offset:156 ; 4-byte Folded Spill
	s_and_saveexec_b64 s[36:37], vcc
	s_cbranch_execz .LBB6_11691
; %bb.11684:                            ;   in Loop: Header=BB6_10567 Depth=3
	v_and_b32_e32 v0, 0x7fffff, v7
	v_bfe_u32 v7, v7, 23, 8
	v_cmp_gt_u32_e64 s[28:29], s97, v7
	v_sub_u32_e32 v1, 0x79, v7
	v_cmp_eq_u32_e32 vcc, 0, v7
	v_cndmask_b32_e64 v1, 0, v1, s[28:29]
	v_mov_b32_e32 v13, 0x78
	v_or_b32_e32 v12, 0x800000, v0
	v_cndmask_b32_e32 v15, v1, v13, vcc
	v_cndmask_b32_e32 v12, v12, v0, vcc
	v_add_u32_e32 v0, 20, v15
	v_lshlrev_b64 v[16:17], v0, -1
	v_mov_b32_e32 v13, v51
	v_add_u32_e32 v0, 19, v15
	v_bfi_b32 v16, v16, 0, v12
	v_lshlrev_b64 v[18:19], v0, 1
	v_lshrrev_b64 v[12:13], v15, v[12:13]
	v_bfi_b32 v17, v17, 0, 0
	v_cmp_eq_u64_e64 s[28:29], v[16:17], v[18:19]
	v_mov_b32_e32 v14, v13
	v_mov_b32_e32 v13, v12
	s_and_saveexec_b64 s[38:39], s[28:29]
; %bb.11685:                            ;   in Loop: Header=BB6_10567 Depth=3
	v_bfe_u32 v0, v12, 20, 1
	v_add_co_u32_e64 v0, s[28:29], v12, v0
	v_add_co_u32_e64 v13, s[28:29], -1, v0
; %bb.11686:                            ;   in Loop: Header=BB6_10567 Depth=3
	s_or_b64 exec, exec, s[38:39]
	v_add_u32_e32 v0, 0xffffff81, v7
	v_mov_b32_e32 v1, 0xffffff82
	v_cndmask_b32_e32 v0, v0, v1, vcc
	v_lshrrev_b32_e32 v1, 23, v12
	v_add3_u32 v15, v15, v0, v1
	v_add_u32_e32 v14, 6, v15
	v_and_b32_e32 v0, 0xfffff, v13
	v_add_u32_e32 v12, v0, v12
	v_mov_b32_e32 v13, v51
	v_cmp_ne_u32_e32 vcc, 0, v14
                                        ; implicit-def: $vgpr7
	s_and_saveexec_b64 s[28:29], vcc
	s_xor_b64 s[28:29], exec, s[28:29]
; %bb.11687:                            ;   in Loop: Header=BB6_10567 Depth=3
	v_cmp_lt_u64_e32 vcc, s[88:89], v[12:13]
	v_add_u32_e32 v0, 7, v15
	v_cndmask_b32_e32 v7, v14, v0, vcc
	v_cndmask_b32_e64 v0, 0, 1, vcc
	v_lshrrev_b64 v[12:13], v0, v[12:13]
; %bb.11688:                            ;   in Loop: Header=BB6_10567 Depth=3
	s_andn2_saveexec_b64 s[28:29], s[28:29]
; %bb.11689:                            ;   in Loop: Header=BB6_10567 Depth=3
	v_bfe_u32 v7, v12, 23, 1
; %bb.11690:                            ;   in Loop: Header=BB6_10567 Depth=3
	s_or_b64 exec, exec, s[28:29]
	v_lshrrev_b64 v[12:13], 20, v[12:13]
	v_cmp_gt_i32_e32 vcc, 16, v7
	v_cndmask_b32_e32 v13, 0, v13, vcc
	v_cndmask_b32_e32 v12, 7, v12, vcc
	v_min_i32_e32 v0, 15, v7
	v_cmp_eq_u64_e64 s[28:29], 0, v[12:13]
	v_lshlrev_b32_e32 v0, 3, v0
	v_cmp_eq_u32_e32 vcc, 0, v7
	v_and_b32_e32 v0, 0xf8, v0
	v_and_or_b32 v0, v12, 7, v0
	s_and_b64 s[28:29], vcc, s[28:29]
	v_cndmask_b32_e64 v0, v0, 0, s[28:29]
	v_or_b32_e32 v0, v0, v2
	buffer_store_dword v0, off, s[0:3], s33 offset:156 ; 4-byte Folded Spill
.LBB6_11691:                            ;   in Loop: Header=BB6_10567 Depth=3
	s_or_b64 exec, exec, s[36:37]
                                        ; implicit-def: $vgpr2
.LBB6_11692:                            ;   in Loop: Header=BB6_10567 Depth=3
	s_andn2_saveexec_b64 s[28:29], s[34:35]
	s_cbranch_execz .LBB6_11694
; %bb.11693:                            ;   in Loop: Header=BB6_10567 Depth=3
	v_or_b32_e32 v0, 0x7e, v2
	buffer_store_dword v0, off, s[0:3], s33 offset:156 ; 4-byte Folded Spill
.LBB6_11694:                            ;   in Loop: Header=BB6_10567 Depth=3
	s_or_b64 exec, exec, s[28:29]
                                        ; implicit-def: $vgpr7
.LBB6_11695:                            ;   in Loop: Header=BB6_10567 Depth=3
	s_andn2_saveexec_b64 s[28:29], s[30:31]
	s_cbranch_execz .LBB6_11697
; %bb.11696:                            ;   in Loop: Header=BB6_10567 Depth=3
	v_or_b32_sdwa v0, v7, s86 dst_sel:DWORD dst_unused:UNUSED_PAD src0_sel:BYTE_3 src1_sel:DWORD
	buffer_store_dword v0, off, s[0:3], s33 offset:156 ; 4-byte Folded Spill
.LBB6_11697:                            ;   in Loop: Header=BB6_10567 Depth=3
	s_or_b64 exec, exec, s[28:29]
	v_cmp_lt_u32_e32 vcc, s57, v8
	v_mov_b32_e32 v2, 0
	s_and_saveexec_b64 s[28:29], vcc
	s_cbranch_execz .LBB6_11703
; %bb.11698:                            ;   in Loop: Header=BB6_10567 Depth=3
	v_lshrrev_b32_e32 v12, 24, v8
	v_cmp_ne_u32_e32 vcc, s96, v12
	v_bfrev_b32_e32 v2, 1
	s_and_saveexec_b64 s[30:31], vcc
	s_cbranch_execz .LBB6_11702
; %bb.11699:                            ;   in Loop: Header=BB6_10567 Depth=3
	v_bfe_u32 v7, v8, 24, 7
	v_cmp_ne_u32_e32 vcc, s86, v7
	v_mov_b32_e32 v2, 0x7f800001
	s_and_saveexec_b64 s[34:35], vcc
	s_cbranch_execz .LBB6_11701
; %bb.11700:                            ;   in Loop: Header=BB6_10567 Depth=3
	v_and_b32_e32 v0, 7, v12
	v_ffbh_u32_e32 v2, v0
	v_min_u32_e32 v2, 32, v2
	v_lshrrev_b32_e32 v1, 3, v7
	v_cmp_gt_u32_e32 vcc, 8, v7
	v_subrev_u32_e32 v7, 28, v2
	v_lshlrev_b64 v[13:14], v7, v[12:13]
	v_sub_u32_e32 v2, 29, v2
	v_and_b32_e32 v7, 7, v13
	v_cndmask_b32_e32 v1, v1, v2, vcc
	v_cndmask_b32_e32 v0, v0, v7, vcc
	v_lshlrev_b32_e32 v2, 24, v12
	v_bfrev_b32_e32 v7, 60
	v_lshlrev_b32_e32 v0, 20, v0
	v_and_b32_e32 v2, 0x80000000, v2
	v_lshl_add_u32 v1, v1, 23, v7
	v_or3_b32 v2, v2, v1, v0
.LBB6_11701:                            ;   in Loop: Header=BB6_10567 Depth=3
	s_or_b64 exec, exec, s[34:35]
.LBB6_11702:                            ;   in Loop: Header=BB6_10567 Depth=3
	s_or_b64 exec, exec, s[30:31]
.LBB6_11703:                            ;   in Loop: Header=BB6_10567 Depth=3
	s_or_b64 exec, exec, s[28:29]
	v_mul_f32_e32 v7, v5, v2
	v_and_b32_e32 v12, 0x7f800000, v7
	v_mov_b32_e32 v13, v51
	v_cmp_ne_u64_e32 vcc, s[76:77], v[12:13]
                                        ; implicit-def: $vgpr0
                                        ; kill: killed $vgpr0
	s_and_saveexec_b64 s[28:29], vcc
	s_xor_b64 s[30:31], exec, s[28:29]
	s_cbranch_execz .LBB6_11717
; %bb.11704:                            ;   in Loop: Header=BB6_10567 Depth=3
	v_and_b32_e32 v12, 0x7fffffff, v7
	v_mov_b32_e32 v13, v51
	v_cmp_gt_u64_e32 vcc, s[78:79], v[12:13]
	v_and_b32_sdwa v2, v7, s96 dst_sel:DWORD dst_unused:UNUSED_PAD src0_sel:BYTE_3 src1_sel:DWORD
                                        ; implicit-def: $vgpr0
                                        ; kill: killed $vgpr0
	s_and_saveexec_b64 s[28:29], vcc
	s_xor_b64 s[34:35], exec, s[28:29]
	s_cbranch_execz .LBB6_11714
; %bb.11705:                            ;   in Loop: Header=BB6_10567 Depth=3
	v_mov_b32_e32 v0, 0
	v_cmp_ne_u32_e32 vcc, 0, v7
	buffer_store_dword v0, off, s[0:3], s33 offset:180 ; 4-byte Folded Spill
	s_and_saveexec_b64 s[36:37], vcc
	s_cbranch_execz .LBB6_11713
; %bb.11706:                            ;   in Loop: Header=BB6_10567 Depth=3
	v_and_b32_e32 v0, 0x7fffff, v7
	v_bfe_u32 v7, v7, 23, 8
	v_cmp_gt_u32_e64 s[28:29], s97, v7
	v_sub_u32_e32 v1, 0x79, v7
	v_cmp_eq_u32_e32 vcc, 0, v7
	v_cndmask_b32_e64 v1, 0, v1, s[28:29]
	v_mov_b32_e32 v13, 0x78
	v_or_b32_e32 v12, 0x800000, v0
	v_cndmask_b32_e32 v15, v1, v13, vcc
	v_cndmask_b32_e32 v12, v12, v0, vcc
	v_add_u32_e32 v0, 20, v15
	v_lshlrev_b64 v[16:17], v0, -1
	v_mov_b32_e32 v13, v51
	v_add_u32_e32 v0, 19, v15
	v_bfi_b32 v16, v16, 0, v12
	v_lshlrev_b64 v[18:19], v0, 1
	v_lshrrev_b64 v[12:13], v15, v[12:13]
	v_bfi_b32 v17, v17, 0, 0
	v_cmp_eq_u64_e64 s[28:29], v[16:17], v[18:19]
	v_mov_b32_e32 v14, v13
	v_mov_b32_e32 v13, v12
	s_and_saveexec_b64 s[38:39], s[28:29]
; %bb.11707:                            ;   in Loop: Header=BB6_10567 Depth=3
	v_bfe_u32 v0, v12, 20, 1
	v_add_co_u32_e64 v0, s[28:29], v12, v0
	v_add_co_u32_e64 v13, s[28:29], -1, v0
; %bb.11708:                            ;   in Loop: Header=BB6_10567 Depth=3
	s_or_b64 exec, exec, s[38:39]
	v_add_u32_e32 v0, 0xffffff81, v7
	v_mov_b32_e32 v1, 0xffffff82
	v_cndmask_b32_e32 v0, v0, v1, vcc
	v_lshrrev_b32_e32 v1, 23, v12
	v_add3_u32 v15, v15, v0, v1
	v_add_u32_e32 v14, 6, v15
	v_and_b32_e32 v0, 0xfffff, v13
	v_add_u32_e32 v12, v0, v12
	v_mov_b32_e32 v13, v51
	v_cmp_ne_u32_e32 vcc, 0, v14
                                        ; implicit-def: $vgpr7
	s_and_saveexec_b64 s[28:29], vcc
	s_xor_b64 s[28:29], exec, s[28:29]
; %bb.11709:                            ;   in Loop: Header=BB6_10567 Depth=3
	v_cmp_lt_u64_e32 vcc, s[88:89], v[12:13]
	v_add_u32_e32 v0, 7, v15
	v_cndmask_b32_e32 v7, v14, v0, vcc
	v_cndmask_b32_e64 v0, 0, 1, vcc
	v_lshrrev_b64 v[12:13], v0, v[12:13]
; %bb.11710:                            ;   in Loop: Header=BB6_10567 Depth=3
	s_andn2_saveexec_b64 s[28:29], s[28:29]
; %bb.11711:                            ;   in Loop: Header=BB6_10567 Depth=3
	v_bfe_u32 v7, v12, 23, 1
; %bb.11712:                            ;   in Loop: Header=BB6_10567 Depth=3
	s_or_b64 exec, exec, s[28:29]
	v_lshrrev_b64 v[12:13], 20, v[12:13]
	v_cmp_gt_i32_e32 vcc, 16, v7
	v_cndmask_b32_e32 v13, 0, v13, vcc
	v_cndmask_b32_e32 v12, 7, v12, vcc
	v_min_i32_e32 v0, 15, v7
	v_cmp_eq_u64_e64 s[28:29], 0, v[12:13]
	v_lshlrev_b32_e32 v0, 3, v0
	v_cmp_eq_u32_e32 vcc, 0, v7
	v_and_b32_e32 v0, 0xf8, v0
	v_and_or_b32 v0, v12, 7, v0
	s_and_b64 s[28:29], vcc, s[28:29]
	v_cndmask_b32_e64 v0, v0, 0, s[28:29]
	v_or_b32_e32 v0, v0, v2
	buffer_store_dword v0, off, s[0:3], s33 offset:180 ; 4-byte Folded Spill
.LBB6_11713:                            ;   in Loop: Header=BB6_10567 Depth=3
	s_or_b64 exec, exec, s[36:37]
                                        ; implicit-def: $vgpr2
.LBB6_11714:                            ;   in Loop: Header=BB6_10567 Depth=3
	s_andn2_saveexec_b64 s[28:29], s[34:35]
	s_cbranch_execz .LBB6_11716
; %bb.11715:                            ;   in Loop: Header=BB6_10567 Depth=3
	v_or_b32_e32 v0, 0x7e, v2
	buffer_store_dword v0, off, s[0:3], s33 offset:180 ; 4-byte Folded Spill
.LBB6_11716:                            ;   in Loop: Header=BB6_10567 Depth=3
	s_or_b64 exec, exec, s[28:29]
                                        ; implicit-def: $vgpr7
.LBB6_11717:                            ;   in Loop: Header=BB6_10567 Depth=3
	s_andn2_saveexec_b64 s[28:29], s[30:31]
	s_cbranch_execz .LBB6_11719
; %bb.11718:                            ;   in Loop: Header=BB6_10567 Depth=3
	v_or_b32_sdwa v0, v7, s86 dst_sel:DWORD dst_unused:UNUSED_PAD src0_sel:BYTE_3 src1_sel:DWORD
	buffer_store_dword v0, off, s[0:3], s33 offset:180 ; 4-byte Folded Spill
.LBB6_11719:                            ;   in Loop: Header=BB6_10567 Depth=3
	s_or_b64 exec, exec, s[28:29]
	v_mov_b32_e32 v12, v9
	v_mov_b32_e32 v13, v51
	v_cmp_ne_u16_sdwa vcc, v9, v51 src0_sel:BYTE_0 src1_sel:DWORD
	v_mov_b32_e32 v2, 0
	s_and_saveexec_b64 s[28:29], vcc
	s_cbranch_execz .LBB6_11725
; %bb.11720:                            ;   in Loop: Header=BB6_10567 Depth=3
	v_cmp_ne_u16_sdwa vcc, v9, s96 src0_sel:BYTE_0 src1_sel:DWORD
	v_bfrev_b32_e32 v2, 1
	s_and_saveexec_b64 s[30:31], vcc
	s_cbranch_execz .LBB6_11724
; %bb.11721:                            ;   in Loop: Header=BB6_10567 Depth=3
	v_and_b32_e32 v7, 0x7f, v9
	v_cmp_ne_u32_e32 vcc, s86, v7
	v_mov_b32_e32 v2, 0x7f800001
	s_and_saveexec_b64 s[34:35], vcc
	s_cbranch_execz .LBB6_11723
; %bb.11722:                            ;   in Loop: Header=BB6_10567 Depth=3
	v_and_b32_e32 v0, 7, v9
	v_ffbh_u32_e32 v0, v0
	v_min_u32_e32 v0, 32, v0
	v_lshrrev_b32_e32 v1, 3, v7
	v_cmp_gt_u32_e32 vcc, 8, v7
	v_subrev_u32_e32 v2, 28, v0
	v_sub_u32_e32 v0, 29, v0
	v_cndmask_b32_e32 v0, v1, v0, vcc
	v_cndmask_b32_e32 v1, 0, v2, vcc
	v_lshlrev_b64 v[13:14], v1, v[12:13]
	v_lshlrev_b32_e32 v2, 24, v12
	v_lshlrev_b32_e32 v1, 20, v13
	v_bfrev_b32_e32 v7, 60
	v_and_b32_e32 v1, 0x700000, v1
	v_and_b32_e32 v2, 0x80000000, v2
	v_lshl_add_u32 v0, v0, 23, v7
	v_or3_b32 v2, v2, v0, v1
.LBB6_11723:                            ;   in Loop: Header=BB6_10567 Depth=3
	s_or_b64 exec, exec, s[34:35]
.LBB6_11724:                            ;   in Loop: Header=BB6_10567 Depth=3
	s_or_b64 exec, exec, s[30:31]
.LBB6_11725:                            ;   in Loop: Header=BB6_10567 Depth=3
	s_or_b64 exec, exec, s[28:29]
	v_mul_f32_e32 v13, v5, v2
	v_and_b32_e32 v14, 0x7f800000, v13
	v_mov_b32_e32 v15, v51
	v_cmp_ne_u64_e32 vcc, s[76:77], v[14:15]
                                        ; implicit-def: $vgpr2
	s_and_saveexec_b64 s[28:29], vcc
	s_xor_b64 s[30:31], exec, s[28:29]
	s_cbranch_execz .LBB6_11739
; %bb.11726:                            ;   in Loop: Header=BB6_10567 Depth=3
	v_and_b32_e32 v14, 0x7fffffff, v13
	v_mov_b32_e32 v15, v51
	v_cmp_gt_u64_e32 vcc, s[78:79], v[14:15]
	v_and_b32_sdwa v7, v13, s96 dst_sel:DWORD dst_unused:UNUSED_PAD src0_sel:BYTE_3 src1_sel:DWORD
                                        ; implicit-def: $vgpr2
	s_and_saveexec_b64 s[28:29], vcc
	s_xor_b64 s[34:35], exec, s[28:29]
	s_cbranch_execz .LBB6_11736
; %bb.11727:                            ;   in Loop: Header=BB6_10567 Depth=3
	v_mov_b32_e32 v2, 0
	v_cmp_ne_u32_e32 vcc, 0, v13
	s_and_saveexec_b64 s[36:37], vcc
	s_cbranch_execz .LBB6_11735
; %bb.11728:                            ;   in Loop: Header=BB6_10567 Depth=3
	v_bfe_u32 v2, v13, 23, 8
	v_cmp_gt_u32_e64 s[28:29], s97, v2
	v_sub_u32_e32 v1, 0x79, v2
	v_and_b32_e32 v0, 0x7fffff, v13
	v_cmp_eq_u32_e32 vcc, 0, v2
	v_cndmask_b32_e64 v1, 0, v1, s[28:29]
	v_mov_b32_e32 v14, 0x78
	v_or_b32_e32 v13, 0x800000, v0
	v_cndmask_b32_e32 v16, v1, v14, vcc
	v_cndmask_b32_e32 v13, v13, v0, vcc
	v_add_u32_e32 v0, 20, v16
	v_lshlrev_b64 v[17:18], v0, -1
	v_mov_b32_e32 v14, v51
	v_add_u32_e32 v0, 19, v16
	v_bfi_b32 v17, v17, 0, v13
	v_lshlrev_b64 v[19:20], v0, 1
	v_lshrrev_b64 v[13:14], v16, v[13:14]
	v_bfi_b32 v18, v18, 0, 0
	v_cmp_eq_u64_e64 s[28:29], v[17:18], v[19:20]
	v_mov_b32_e32 v15, v14
	v_mov_b32_e32 v14, v13
	s_and_saveexec_b64 s[38:39], s[28:29]
; %bb.11729:                            ;   in Loop: Header=BB6_10567 Depth=3
	v_bfe_u32 v0, v13, 20, 1
	v_add_co_u32_e64 v0, s[28:29], v13, v0
	v_add_co_u32_e64 v14, s[28:29], -1, v0
; %bb.11730:                            ;   in Loop: Header=BB6_10567 Depth=3
	s_or_b64 exec, exec, s[38:39]
	v_add_u32_e32 v0, 0xffffff81, v2
	v_mov_b32_e32 v1, 0xffffff82
	v_cndmask_b32_e32 v0, v0, v1, vcc
	v_lshrrev_b32_e32 v1, 23, v13
	v_add3_u32 v16, v16, v0, v1
	v_add_u32_e32 v15, 6, v16
	v_and_b32_e32 v0, 0xfffff, v14
	v_add_u32_e32 v13, v0, v13
	v_mov_b32_e32 v14, v51
	v_cmp_ne_u32_e32 vcc, 0, v15
                                        ; implicit-def: $vgpr2
	s_and_saveexec_b64 s[28:29], vcc
	s_xor_b64 s[28:29], exec, s[28:29]
; %bb.11731:                            ;   in Loop: Header=BB6_10567 Depth=3
	v_cmp_lt_u64_e32 vcc, s[88:89], v[13:14]
	v_add_u32_e32 v0, 7, v16
	v_cndmask_b32_e32 v2, v15, v0, vcc
	v_cndmask_b32_e64 v0, 0, 1, vcc
	v_lshrrev_b64 v[13:14], v0, v[13:14]
; %bb.11732:                            ;   in Loop: Header=BB6_10567 Depth=3
	s_andn2_saveexec_b64 s[28:29], s[28:29]
; %bb.11733:                            ;   in Loop: Header=BB6_10567 Depth=3
	v_bfe_u32 v2, v13, 23, 1
; %bb.11734:                            ;   in Loop: Header=BB6_10567 Depth=3
	s_or_b64 exec, exec, s[28:29]
	v_lshrrev_b64 v[13:14], 20, v[13:14]
	v_cmp_gt_i32_e32 vcc, 16, v2
	v_cndmask_b32_e32 v14, 0, v14, vcc
	v_cndmask_b32_e32 v13, 7, v13, vcc
	v_min_i32_e32 v0, 15, v2
	v_cmp_eq_u64_e64 s[28:29], 0, v[13:14]
	v_lshlrev_b32_e32 v0, 3, v0
	v_cmp_eq_u32_e32 vcc, 0, v2
	v_and_b32_e32 v0, 0xf8, v0
	v_and_or_b32 v0, v13, 7, v0
	s_and_b64 s[28:29], vcc, s[28:29]
	v_cndmask_b32_e64 v0, v0, 0, s[28:29]
	v_or_b32_e32 v2, v0, v7
.LBB6_11735:                            ;   in Loop: Header=BB6_10567 Depth=3
	s_or_b64 exec, exec, s[36:37]
                                        ; implicit-def: $vgpr7
.LBB6_11736:                            ;   in Loop: Header=BB6_10567 Depth=3
	s_andn2_saveexec_b64 s[28:29], s[34:35]
; %bb.11737:                            ;   in Loop: Header=BB6_10567 Depth=3
	v_or_b32_e32 v2, 0x7e, v7
; %bb.11738:                            ;   in Loop: Header=BB6_10567 Depth=3
	s_or_b64 exec, exec, s[28:29]
                                        ; implicit-def: $vgpr13
.LBB6_11739:                            ;   in Loop: Header=BB6_10567 Depth=3
	s_andn2_saveexec_b64 s[28:29], s[30:31]
; %bb.11740:                            ;   in Loop: Header=BB6_10567 Depth=3
	v_or_b32_sdwa v2, v13, s86 dst_sel:DWORD dst_unused:UNUSED_PAD src0_sel:BYTE_3 src1_sel:DWORD
; %bb.11741:                            ;   in Loop: Header=BB6_10567 Depth=3
	s_or_b64 exec, exec, s[28:29]
	v_lshrrev_b16_e32 v13, 8, v12
	v_cmp_ne_u16_e32 vcc, 0, v13
	v_mov_b32_e32 v7, 0
	s_and_saveexec_b64 s[28:29], vcc
	s_cbranch_execz .LBB6_11747
; %bb.11742:                            ;   in Loop: Header=BB6_10567 Depth=3
	v_cmp_ne_u16_e32 vcc, s96, v13
	v_bfrev_b32_e32 v7, 1
	s_and_saveexec_b64 s[30:31], vcc
	s_cbranch_execz .LBB6_11746
; %bb.11743:                            ;   in Loop: Header=BB6_10567 Depth=3
	v_and_b32_e32 v14, 0x7f, v13
	v_cmp_ne_u32_e32 vcc, s86, v14
	v_mov_b32_e32 v7, 0x7f800001
	s_and_saveexec_b64 s[34:35], vcc
	s_cbranch_execz .LBB6_11745
; %bb.11744:                            ;   in Loop: Header=BB6_10567 Depth=3
	v_and_b32_e32 v0, 7, v13
	v_ffbh_u32_e32 v7, v0
	v_min_u32_e32 v7, 32, v7
	v_lshrrev_b32_e32 v1, 3, v14
	v_cmp_gt_u32_e32 vcc, 8, v14
	v_subrev_u32_e32 v14, 28, v7
	v_lshlrev_b64 v[13:14], v14, v[13:14]
	v_sub_u32_e32 v7, 29, v7
	v_and_b32_e32 v13, 7, v13
	v_cndmask_b32_e32 v1, v1, v7, vcc
	v_cndmask_b32_e32 v0, v0, v13, vcc
	v_lshlrev_b32_e32 v7, 16, v12
	v_bfrev_b32_e32 v12, 60
	v_lshlrev_b32_e32 v0, 20, v0
	v_and_b32_e32 v7, 0x80000000, v7
	v_lshl_add_u32 v1, v1, 23, v12
	v_or3_b32 v7, v7, v1, v0
.LBB6_11745:                            ;   in Loop: Header=BB6_10567 Depth=3
	s_or_b64 exec, exec, s[34:35]
.LBB6_11746:                            ;   in Loop: Header=BB6_10567 Depth=3
	s_or_b64 exec, exec, s[30:31]
.LBB6_11747:                            ;   in Loop: Header=BB6_10567 Depth=3
	s_or_b64 exec, exec, s[28:29]
	v_mul_f32_e32 v12, v5, v7
	v_and_b32_e32 v13, 0x7f800000, v12
	v_mov_b32_e32 v14, v51
	v_cmp_ne_u64_e32 vcc, s[76:77], v[13:14]
                                        ; implicit-def: $vgpr0
                                        ; kill: killed $vgpr0
	s_and_saveexec_b64 s[28:29], vcc
	s_xor_b64 s[30:31], exec, s[28:29]
	s_cbranch_execz .LBB6_11761
; %bb.11748:                            ;   in Loop: Header=BB6_10567 Depth=3
	v_and_b32_e32 v13, 0x7fffffff, v12
	v_mov_b32_e32 v14, v51
	v_cmp_gt_u64_e32 vcc, s[78:79], v[13:14]
	v_and_b32_sdwa v7, v12, s96 dst_sel:DWORD dst_unused:UNUSED_PAD src0_sel:BYTE_3 src1_sel:DWORD
                                        ; implicit-def: $vgpr0
                                        ; kill: killed $vgpr0
	s_and_saveexec_b64 s[28:29], vcc
	s_xor_b64 s[34:35], exec, s[28:29]
	s_cbranch_execz .LBB6_11758
; %bb.11749:                            ;   in Loop: Header=BB6_10567 Depth=3
	v_mov_b32_e32 v0, 0
	v_cmp_ne_u32_e32 vcc, 0, v12
	buffer_store_dword v0, off, s[0:3], s33 offset:120 ; 4-byte Folded Spill
	s_and_saveexec_b64 s[36:37], vcc
	s_cbranch_execz .LBB6_11757
; %bb.11750:                            ;   in Loop: Header=BB6_10567 Depth=3
	v_bfe_u32 v15, v12, 23, 8
	v_cmp_gt_u32_e64 s[28:29], s97, v15
	v_sub_u32_e32 v1, 0x79, v15
	v_and_b32_e32 v0, 0x7fffff, v12
	v_cmp_eq_u32_e32 vcc, 0, v15
	v_cndmask_b32_e64 v1, 0, v1, s[28:29]
	v_mov_b32_e32 v13, 0x78
	v_or_b32_e32 v12, 0x800000, v0
	v_cndmask_b32_e32 v16, v1, v13, vcc
	v_cndmask_b32_e32 v12, v12, v0, vcc
	v_add_u32_e32 v0, 20, v16
	v_lshlrev_b64 v[17:18], v0, -1
	v_mov_b32_e32 v13, v51
	v_add_u32_e32 v0, 19, v16
	v_bfi_b32 v17, v17, 0, v12
	v_lshlrev_b64 v[19:20], v0, 1
	v_lshrrev_b64 v[12:13], v16, v[12:13]
	v_bfi_b32 v18, v18, 0, 0
	v_cmp_eq_u64_e64 s[28:29], v[17:18], v[19:20]
	v_mov_b32_e32 v14, v13
	v_mov_b32_e32 v13, v12
	s_and_saveexec_b64 s[38:39], s[28:29]
; %bb.11751:                            ;   in Loop: Header=BB6_10567 Depth=3
	v_bfe_u32 v0, v12, 20, 1
	v_add_co_u32_e64 v0, s[28:29], v12, v0
	v_add_co_u32_e64 v13, s[28:29], -1, v0
; %bb.11752:                            ;   in Loop: Header=BB6_10567 Depth=3
	s_or_b64 exec, exec, s[38:39]
	v_add_u32_e32 v0, 0xffffff81, v15
	v_mov_b32_e32 v1, 0xffffff82
	v_cndmask_b32_e32 v0, v0, v1, vcc
	v_lshrrev_b32_e32 v1, 23, v12
	v_add3_u32 v16, v16, v0, v1
	v_add_u32_e32 v15, 6, v16
	v_and_b32_e32 v0, 0xfffff, v13
	v_add_u32_e32 v12, v0, v12
	v_mov_b32_e32 v13, v51
	v_cmp_ne_u32_e32 vcc, 0, v15
                                        ; implicit-def: $vgpr14
	s_and_saveexec_b64 s[28:29], vcc
	s_xor_b64 s[28:29], exec, s[28:29]
; %bb.11753:                            ;   in Loop: Header=BB6_10567 Depth=3
	v_cmp_lt_u64_e32 vcc, s[88:89], v[12:13]
	v_add_u32_e32 v0, 7, v16
	v_cndmask_b32_e32 v14, v15, v0, vcc
	v_cndmask_b32_e64 v0, 0, 1, vcc
	v_lshrrev_b64 v[12:13], v0, v[12:13]
; %bb.11754:                            ;   in Loop: Header=BB6_10567 Depth=3
	s_andn2_saveexec_b64 s[28:29], s[28:29]
; %bb.11755:                            ;   in Loop: Header=BB6_10567 Depth=3
	v_bfe_u32 v14, v12, 23, 1
; %bb.11756:                            ;   in Loop: Header=BB6_10567 Depth=3
	s_or_b64 exec, exec, s[28:29]
	v_lshrrev_b64 v[12:13], 20, v[12:13]
	v_cmp_gt_i32_e32 vcc, 16, v14
	v_cndmask_b32_e32 v13, 0, v13, vcc
	v_cndmask_b32_e32 v12, 7, v12, vcc
	v_min_i32_e32 v0, 15, v14
	v_cmp_eq_u64_e64 s[28:29], 0, v[12:13]
	v_lshlrev_b32_e32 v0, 3, v0
	v_cmp_eq_u32_e32 vcc, 0, v14
	v_and_b32_e32 v0, 0xf8, v0
	v_and_or_b32 v0, v12, 7, v0
	s_and_b64 s[28:29], vcc, s[28:29]
	v_cndmask_b32_e64 v0, v0, 0, s[28:29]
	v_or_b32_e32 v0, v0, v7
	buffer_store_dword v0, off, s[0:3], s33 offset:120 ; 4-byte Folded Spill
.LBB6_11757:                            ;   in Loop: Header=BB6_10567 Depth=3
	s_or_b64 exec, exec, s[36:37]
                                        ; implicit-def: $vgpr7
.LBB6_11758:                            ;   in Loop: Header=BB6_10567 Depth=3
	s_andn2_saveexec_b64 s[28:29], s[34:35]
	s_cbranch_execz .LBB6_11760
; %bb.11759:                            ;   in Loop: Header=BB6_10567 Depth=3
	v_or_b32_e32 v0, 0x7e, v7
	buffer_store_dword v0, off, s[0:3], s33 offset:120 ; 4-byte Folded Spill
.LBB6_11760:                            ;   in Loop: Header=BB6_10567 Depth=3
	s_or_b64 exec, exec, s[28:29]
                                        ; implicit-def: $vgpr12
.LBB6_11761:                            ;   in Loop: Header=BB6_10567 Depth=3
	s_andn2_saveexec_b64 s[28:29], s[30:31]
	s_cbranch_execz .LBB6_11763
; %bb.11762:                            ;   in Loop: Header=BB6_10567 Depth=3
	v_or_b32_sdwa v0, v12, s86 dst_sel:DWORD dst_unused:UNUSED_PAD src0_sel:BYTE_3 src1_sel:DWORD
	buffer_store_dword v0, off, s[0:3], s33 offset:120 ; 4-byte Folded Spill
.LBB6_11763:                            ;   in Loop: Header=BB6_10567 Depth=3
	s_or_b64 exec, exec, s[28:29]
	v_lshrrev_b32_e32 v12, 16, v9
	v_cmp_ne_u16_sdwa vcc, v12, v51 src0_sel:BYTE_0 src1_sel:DWORD
	v_mov_b32_e32 v7, 0
	s_and_saveexec_b64 s[28:29], vcc
	s_cbranch_execz .LBB6_11769
; %bb.11764:                            ;   in Loop: Header=BB6_10567 Depth=3
	v_cmp_ne_u16_sdwa vcc, v12, s96 src0_sel:BYTE_0 src1_sel:DWORD
	v_bfrev_b32_e32 v7, 1
	s_and_saveexec_b64 s[30:31], vcc
	s_cbranch_execz .LBB6_11768
; %bb.11765:                            ;   in Loop: Header=BB6_10567 Depth=3
	v_bfe_u32 v13, v9, 16, 7
	v_cmp_ne_u32_e32 vcc, s86, v13
	v_mov_b32_e32 v7, 0x7f800001
	s_and_saveexec_b64 s[34:35], vcc
	s_cbranch_execz .LBB6_11767
; %bb.11766:                            ;   in Loop: Header=BB6_10567 Depth=3
	v_and_b32_e32 v0, 7, v12
	v_ffbh_u32_e32 v7, v0
	v_min_u32_e32 v7, 32, v7
	v_lshrrev_b32_e32 v1, 3, v13
	v_cmp_gt_u32_e32 vcc, 8, v13
	v_subrev_u32_e32 v13, 28, v7
	v_lshlrev_b64 v[13:14], v13, v[12:13]
	v_sub_u32_e32 v7, 29, v7
	v_and_b32_e32 v13, 7, v13
	v_cndmask_b32_e32 v1, v1, v7, vcc
	v_cndmask_b32_e32 v0, v0, v13, vcc
	v_lshlrev_b32_e32 v7, 24, v12
	v_bfrev_b32_e32 v12, 60
	v_lshlrev_b32_e32 v0, 20, v0
	v_and_b32_e32 v7, 0x80000000, v7
	v_lshl_add_u32 v1, v1, 23, v12
	v_or3_b32 v7, v7, v1, v0
.LBB6_11767:                            ;   in Loop: Header=BB6_10567 Depth=3
	s_or_b64 exec, exec, s[34:35]
.LBB6_11768:                            ;   in Loop: Header=BB6_10567 Depth=3
	s_or_b64 exec, exec, s[30:31]
.LBB6_11769:                            ;   in Loop: Header=BB6_10567 Depth=3
	s_or_b64 exec, exec, s[28:29]
	v_mul_f32_e32 v12, v5, v7
	v_and_b32_e32 v13, 0x7f800000, v12
	v_mov_b32_e32 v14, v51
	v_cmp_ne_u64_e32 vcc, s[76:77], v[13:14]
                                        ; implicit-def: $vgpr0
                                        ; kill: killed $vgpr0
	s_and_saveexec_b64 s[28:29], vcc
	s_xor_b64 s[30:31], exec, s[28:29]
	s_cbranch_execz .LBB6_11783
; %bb.11770:                            ;   in Loop: Header=BB6_10567 Depth=3
	v_and_b32_e32 v13, 0x7fffffff, v12
	v_mov_b32_e32 v14, v51
	v_cmp_gt_u64_e32 vcc, s[78:79], v[13:14]
	v_and_b32_sdwa v7, v12, s96 dst_sel:DWORD dst_unused:UNUSED_PAD src0_sel:BYTE_3 src1_sel:DWORD
                                        ; implicit-def: $vgpr0
                                        ; kill: killed $vgpr0
	s_and_saveexec_b64 s[28:29], vcc
	s_xor_b64 s[34:35], exec, s[28:29]
	s_cbranch_execz .LBB6_11780
; %bb.11771:                            ;   in Loop: Header=BB6_10567 Depth=3
	v_mov_b32_e32 v0, 0
	v_cmp_ne_u32_e32 vcc, 0, v12
	buffer_store_dword v0, off, s[0:3], s33 offset:140 ; 4-byte Folded Spill
	s_and_saveexec_b64 s[36:37], vcc
	s_cbranch_execz .LBB6_11779
; %bb.11772:                            ;   in Loop: Header=BB6_10567 Depth=3
	v_bfe_u32 v15, v12, 23, 8
	v_cmp_gt_u32_e64 s[28:29], s97, v15
	v_sub_u32_e32 v1, 0x79, v15
	v_and_b32_e32 v0, 0x7fffff, v12
	v_cmp_eq_u32_e32 vcc, 0, v15
	v_cndmask_b32_e64 v1, 0, v1, s[28:29]
	v_mov_b32_e32 v13, 0x78
	v_or_b32_e32 v12, 0x800000, v0
	v_cndmask_b32_e32 v16, v1, v13, vcc
	v_cndmask_b32_e32 v12, v12, v0, vcc
	v_add_u32_e32 v0, 20, v16
	v_lshlrev_b64 v[17:18], v0, -1
	v_mov_b32_e32 v13, v51
	v_add_u32_e32 v0, 19, v16
	v_bfi_b32 v17, v17, 0, v12
	v_lshlrev_b64 v[19:20], v0, 1
	v_lshrrev_b64 v[12:13], v16, v[12:13]
	v_bfi_b32 v18, v18, 0, 0
	v_cmp_eq_u64_e64 s[28:29], v[17:18], v[19:20]
	v_mov_b32_e32 v14, v13
	v_mov_b32_e32 v13, v12
	s_and_saveexec_b64 s[38:39], s[28:29]
; %bb.11773:                            ;   in Loop: Header=BB6_10567 Depth=3
	v_bfe_u32 v0, v12, 20, 1
	v_add_co_u32_e64 v0, s[28:29], v12, v0
	v_add_co_u32_e64 v13, s[28:29], -1, v0
; %bb.11774:                            ;   in Loop: Header=BB6_10567 Depth=3
	s_or_b64 exec, exec, s[38:39]
	v_add_u32_e32 v0, 0xffffff81, v15
	v_mov_b32_e32 v1, 0xffffff82
	v_cndmask_b32_e32 v0, v0, v1, vcc
	v_lshrrev_b32_e32 v1, 23, v12
	v_add3_u32 v16, v16, v0, v1
	v_add_u32_e32 v15, 6, v16
	v_and_b32_e32 v0, 0xfffff, v13
	v_add_u32_e32 v12, v0, v12
	v_mov_b32_e32 v13, v51
	v_cmp_ne_u32_e32 vcc, 0, v15
                                        ; implicit-def: $vgpr14
	s_and_saveexec_b64 s[28:29], vcc
	s_xor_b64 s[28:29], exec, s[28:29]
; %bb.11775:                            ;   in Loop: Header=BB6_10567 Depth=3
	v_cmp_lt_u64_e32 vcc, s[88:89], v[12:13]
	v_add_u32_e32 v0, 7, v16
	v_cndmask_b32_e32 v14, v15, v0, vcc
	v_cndmask_b32_e64 v0, 0, 1, vcc
	v_lshrrev_b64 v[12:13], v0, v[12:13]
; %bb.11776:                            ;   in Loop: Header=BB6_10567 Depth=3
	s_andn2_saveexec_b64 s[28:29], s[28:29]
; %bb.11777:                            ;   in Loop: Header=BB6_10567 Depth=3
	v_bfe_u32 v14, v12, 23, 1
; %bb.11778:                            ;   in Loop: Header=BB6_10567 Depth=3
	s_or_b64 exec, exec, s[28:29]
	v_lshrrev_b64 v[12:13], 20, v[12:13]
	v_cmp_gt_i32_e32 vcc, 16, v14
	v_cndmask_b32_e32 v13, 0, v13, vcc
	v_cndmask_b32_e32 v12, 7, v12, vcc
	v_min_i32_e32 v0, 15, v14
	v_cmp_eq_u64_e64 s[28:29], 0, v[12:13]
	v_lshlrev_b32_e32 v0, 3, v0
	v_cmp_eq_u32_e32 vcc, 0, v14
	v_and_b32_e32 v0, 0xf8, v0
	v_and_or_b32 v0, v12, 7, v0
	s_and_b64 s[28:29], vcc, s[28:29]
	v_cndmask_b32_e64 v0, v0, 0, s[28:29]
	v_or_b32_e32 v0, v0, v7
	buffer_store_dword v0, off, s[0:3], s33 offset:140 ; 4-byte Folded Spill
.LBB6_11779:                            ;   in Loop: Header=BB6_10567 Depth=3
	s_or_b64 exec, exec, s[36:37]
                                        ; implicit-def: $vgpr7
.LBB6_11780:                            ;   in Loop: Header=BB6_10567 Depth=3
	s_andn2_saveexec_b64 s[28:29], s[34:35]
	s_cbranch_execz .LBB6_11782
; %bb.11781:                            ;   in Loop: Header=BB6_10567 Depth=3
	v_or_b32_e32 v0, 0x7e, v7
	buffer_store_dword v0, off, s[0:3], s33 offset:140 ; 4-byte Folded Spill
.LBB6_11782:                            ;   in Loop: Header=BB6_10567 Depth=3
	s_or_b64 exec, exec, s[28:29]
                                        ; implicit-def: $vgpr12
.LBB6_11783:                            ;   in Loop: Header=BB6_10567 Depth=3
	s_andn2_saveexec_b64 s[28:29], s[30:31]
	s_cbranch_execz .LBB6_11785
; %bb.11784:                            ;   in Loop: Header=BB6_10567 Depth=3
	v_or_b32_sdwa v0, v12, s86 dst_sel:DWORD dst_unused:UNUSED_PAD src0_sel:BYTE_3 src1_sel:DWORD
	buffer_store_dword v0, off, s[0:3], s33 offset:140 ; 4-byte Folded Spill
.LBB6_11785:                            ;   in Loop: Header=BB6_10567 Depth=3
	s_or_b64 exec, exec, s[28:29]
	v_cmp_lt_u64_e32 vcc, s[56:57], v[8:9]
	v_mov_b32_e32 v7, 0
	s_and_saveexec_b64 s[28:29], vcc
	s_cbranch_execz .LBB6_11791
; %bb.11786:                            ;   in Loop: Header=BB6_10567 Depth=3
	v_lshrrev_b32_e32 v8, 24, v9
	v_cmp_ne_u32_e32 vcc, s96, v8
	v_bfrev_b32_e32 v7, 1
	s_and_saveexec_b64 s[30:31], vcc
	s_cbranch_execz .LBB6_11790
; %bb.11787:                            ;   in Loop: Header=BB6_10567 Depth=3
	v_bfe_u32 v9, v9, 24, 7
	v_cmp_ne_u32_e32 vcc, s86, v9
	v_mov_b32_e32 v7, 0x7f800001
	s_and_saveexec_b64 s[34:35], vcc
	s_cbranch_execz .LBB6_11789
; %bb.11788:                            ;   in Loop: Header=BB6_10567 Depth=3
	v_and_b32_e32 v0, 7, v8
	v_ffbh_u32_e32 v7, v0
	v_min_u32_e32 v7, 32, v7
	v_lshrrev_b32_e32 v1, 3, v9
	v_cmp_gt_u32_e32 vcc, 8, v9
	v_subrev_u32_e32 v9, 28, v7
	v_lshlrev_b64 v[12:13], v9, v[8:9]
	v_sub_u32_e32 v7, 29, v7
	v_and_b32_e32 v9, 7, v12
	v_cndmask_b32_e32 v1, v1, v7, vcc
	v_cndmask_b32_e32 v0, v0, v9, vcc
	v_lshlrev_b32_e32 v7, 24, v8
	v_bfrev_b32_e32 v8, 60
	v_lshlrev_b32_e32 v0, 20, v0
	v_and_b32_e32 v7, 0x80000000, v7
	v_lshl_add_u32 v1, v1, 23, v8
	v_or3_b32 v7, v7, v1, v0
.LBB6_11789:                            ;   in Loop: Header=BB6_10567 Depth=3
	s_or_b64 exec, exec, s[34:35]
.LBB6_11790:                            ;   in Loop: Header=BB6_10567 Depth=3
	s_or_b64 exec, exec, s[30:31]
.LBB6_11791:                            ;   in Loop: Header=BB6_10567 Depth=3
	s_or_b64 exec, exec, s[28:29]
	v_mul_f32_e32 v8, v5, v7
	v_and_b32_e32 v12, 0x7f800000, v8
	v_mov_b32_e32 v13, v51
	v_cmp_ne_u64_e32 vcc, s[76:77], v[12:13]
                                        ; implicit-def: $vgpr0
                                        ; kill: killed $vgpr0
	s_and_saveexec_b64 s[28:29], vcc
	s_xor_b64 s[30:31], exec, s[28:29]
	s_cbranch_execz .LBB6_11805
; %bb.11792:                            ;   in Loop: Header=BB6_10567 Depth=3
	v_and_b32_e32 v12, 0x7fffffff, v8
	v_mov_b32_e32 v13, v51
	v_cmp_gt_u64_e32 vcc, s[78:79], v[12:13]
	v_and_b32_sdwa v7, v8, s96 dst_sel:DWORD dst_unused:UNUSED_PAD src0_sel:BYTE_3 src1_sel:DWORD
                                        ; implicit-def: $vgpr0
                                        ; kill: killed $vgpr0
	s_and_saveexec_b64 s[28:29], vcc
	s_xor_b64 s[34:35], exec, s[28:29]
	s_cbranch_execz .LBB6_11802
; %bb.11793:                            ;   in Loop: Header=BB6_10567 Depth=3
	v_mov_b32_e32 v0, 0
	v_cmp_ne_u32_e32 vcc, 0, v8
	buffer_store_dword v0, off, s[0:3], s33 offset:160 ; 4-byte Folded Spill
	s_and_saveexec_b64 s[36:37], vcc
	s_cbranch_execz .LBB6_11801
; %bb.11794:                            ;   in Loop: Header=BB6_10567 Depth=3
	v_bfe_u32 v14, v8, 23, 8
	v_cmp_gt_u32_e64 s[28:29], s97, v14
	v_sub_u32_e32 v1, 0x79, v14
	v_and_b32_e32 v0, 0x7fffff, v8
	v_cmp_eq_u32_e32 vcc, 0, v14
	v_cndmask_b32_e64 v1, 0, v1, s[28:29]
	v_mov_b32_e32 v9, 0x78
	v_or_b32_e32 v8, 0x800000, v0
	v_cndmask_b32_e32 v15, v1, v9, vcc
	v_cndmask_b32_e32 v8, v8, v0, vcc
	v_add_u32_e32 v0, 20, v15
	v_lshlrev_b64 v[12:13], v0, -1
	v_mov_b32_e32 v9, v51
	v_add_u32_e32 v0, 19, v15
	v_bfi_b32 v12, v12, 0, v8
	v_lshlrev_b64 v[16:17], v0, 1
	v_lshrrev_b64 v[8:9], v15, v[8:9]
	v_bfi_b32 v13, v13, 0, 0
	v_cmp_eq_u64_e64 s[28:29], v[12:13], v[16:17]
	v_mov_b32_e32 v13, v9
	v_mov_b32_e32 v12, v8
	s_and_saveexec_b64 s[38:39], s[28:29]
; %bb.11795:                            ;   in Loop: Header=BB6_10567 Depth=3
	v_bfe_u32 v0, v8, 20, 1
	v_add_co_u32_e64 v0, s[28:29], v8, v0
	v_add_co_u32_e64 v12, s[28:29], -1, v0
; %bb.11796:                            ;   in Loop: Header=BB6_10567 Depth=3
	s_or_b64 exec, exec, s[38:39]
	v_add_u32_e32 v0, 0xffffff81, v14
	v_mov_b32_e32 v1, 0xffffff82
	v_cndmask_b32_e32 v0, v0, v1, vcc
	v_lshrrev_b32_e32 v1, 23, v8
	v_add3_u32 v14, v15, v0, v1
	v_add_u32_e32 v13, 6, v14
	v_and_b32_e32 v0, 0xfffff, v12
	v_add_u32_e32 v8, v0, v8
	v_mov_b32_e32 v9, v51
	v_cmp_ne_u32_e32 vcc, 0, v13
                                        ; implicit-def: $vgpr12
	s_and_saveexec_b64 s[28:29], vcc
	s_xor_b64 s[28:29], exec, s[28:29]
; %bb.11797:                            ;   in Loop: Header=BB6_10567 Depth=3
	v_cmp_lt_u64_e32 vcc, s[88:89], v[8:9]
	v_add_u32_e32 v0, 7, v14
	v_cndmask_b32_e32 v12, v13, v0, vcc
	v_cndmask_b32_e64 v0, 0, 1, vcc
	v_lshrrev_b64 v[8:9], v0, v[8:9]
; %bb.11798:                            ;   in Loop: Header=BB6_10567 Depth=3
	s_andn2_saveexec_b64 s[28:29], s[28:29]
; %bb.11799:                            ;   in Loop: Header=BB6_10567 Depth=3
	v_bfe_u32 v12, v8, 23, 1
; %bb.11800:                            ;   in Loop: Header=BB6_10567 Depth=3
	s_or_b64 exec, exec, s[28:29]
	v_lshrrev_b64 v[8:9], 20, v[8:9]
	v_cmp_gt_i32_e32 vcc, 16, v12
	v_cndmask_b32_e32 v9, 0, v9, vcc
	v_cndmask_b32_e32 v8, 7, v8, vcc
	v_min_i32_e32 v0, 15, v12
	v_cmp_eq_u64_e64 s[28:29], 0, v[8:9]
	v_lshlrev_b32_e32 v0, 3, v0
	v_cmp_eq_u32_e32 vcc, 0, v12
	v_and_b32_e32 v0, 0xf8, v0
	v_and_or_b32 v0, v8, 7, v0
	s_and_b64 s[28:29], vcc, s[28:29]
	v_cndmask_b32_e64 v0, v0, 0, s[28:29]
	v_or_b32_e32 v0, v0, v7
	buffer_store_dword v0, off, s[0:3], s33 offset:160 ; 4-byte Folded Spill
.LBB6_11801:                            ;   in Loop: Header=BB6_10567 Depth=3
	s_or_b64 exec, exec, s[36:37]
                                        ; implicit-def: $vgpr7
.LBB6_11802:                            ;   in Loop: Header=BB6_10567 Depth=3
	s_andn2_saveexec_b64 s[28:29], s[34:35]
	s_cbranch_execz .LBB6_11804
; %bb.11803:                            ;   in Loop: Header=BB6_10567 Depth=3
	v_or_b32_e32 v0, 0x7e, v7
	buffer_store_dword v0, off, s[0:3], s33 offset:160 ; 4-byte Folded Spill
.LBB6_11804:                            ;   in Loop: Header=BB6_10567 Depth=3
	s_or_b64 exec, exec, s[28:29]
                                        ; implicit-def: $vgpr8
.LBB6_11805:                            ;   in Loop: Header=BB6_10567 Depth=3
	s_andn2_saveexec_b64 s[28:29], s[30:31]
	s_cbranch_execz .LBB6_11807
; %bb.11806:                            ;   in Loop: Header=BB6_10567 Depth=3
	v_or_b32_sdwa v0, v8, s86 dst_sel:DWORD dst_unused:UNUSED_PAD src0_sel:BYTE_3 src1_sel:DWORD
	buffer_store_dword v0, off, s[0:3], s33 offset:160 ; 4-byte Folded Spill
.LBB6_11807:                            ;   in Loop: Header=BB6_10567 Depth=3
	s_or_b64 exec, exec, s[28:29]
	v_cmp_ne_u16_sdwa vcc, v10, v51 src0_sel:BYTE_0 src1_sel:DWORD
	v_mov_b32_e32 v7, 0
	s_and_saveexec_b64 s[28:29], vcc
	s_cbranch_execz .LBB6_11813
; %bb.11808:                            ;   in Loop: Header=BB6_10567 Depth=3
	v_cmp_ne_u16_sdwa vcc, v10, s96 src0_sel:BYTE_0 src1_sel:DWORD
	v_bfrev_b32_e32 v7, 1
	s_and_saveexec_b64 s[30:31], vcc
	s_cbranch_execz .LBB6_11812
; %bb.11809:                            ;   in Loop: Header=BB6_10567 Depth=3
	v_and_b32_e32 v8, 0x7f, v10
	v_cmp_ne_u32_e32 vcc, s86, v8
	v_mov_b32_e32 v7, 0x7f800001
	s_and_saveexec_b64 s[34:35], vcc
	s_cbranch_execz .LBB6_11811
; %bb.11810:                            ;   in Loop: Header=BB6_10567 Depth=3
	v_and_b32_e32 v0, 7, v10
	v_ffbh_u32_e32 v0, v0
	v_min_u32_e32 v0, 32, v0
	v_lshrrev_b32_e32 v1, 3, v8
	v_cmp_gt_u32_e32 vcc, 8, v8
	v_subrev_u32_e32 v7, 28, v0
	v_sub_u32_e32 v0, 29, v0
	v_cndmask_b32_e32 v0, v1, v0, vcc
	v_cndmask_b32_e32 v1, 0, v7, vcc
	v_lshlrev_b64 v[7:8], v1, v[10:11]
	v_bfrev_b32_e32 v8, 60
	v_lshlrev_b32_e32 v1, 20, v7
	v_lshlrev_b32_e32 v7, 24, v10
	v_and_b32_e32 v1, 0x700000, v1
	v_and_b32_e32 v7, 0x80000000, v7
	v_lshl_add_u32 v0, v0, 23, v8
	v_or3_b32 v7, v7, v0, v1
.LBB6_11811:                            ;   in Loop: Header=BB6_10567 Depth=3
	s_or_b64 exec, exec, s[34:35]
.LBB6_11812:                            ;   in Loop: Header=BB6_10567 Depth=3
	s_or_b64 exec, exec, s[30:31]
.LBB6_11813:                            ;   in Loop: Header=BB6_10567 Depth=3
	s_or_b64 exec, exec, s[28:29]
	v_mul_f32_e32 v8, v5, v7
	v_and_b32_e32 v12, 0x7f800000, v8
	v_mov_b32_e32 v13, v51
	v_cmp_ne_u64_e32 vcc, s[76:77], v[12:13]
                                        ; implicit-def: $vgpr42
	s_and_saveexec_b64 s[28:29], vcc
	s_xor_b64 s[30:31], exec, s[28:29]
	s_cbranch_execz .LBB6_11827
; %bb.11814:                            ;   in Loop: Header=BB6_10567 Depth=3
	v_and_b32_e32 v12, 0x7fffffff, v8
	v_mov_b32_e32 v13, v51
	v_cmp_gt_u64_e32 vcc, s[78:79], v[12:13]
	v_and_b32_sdwa v7, v8, s96 dst_sel:DWORD dst_unused:UNUSED_PAD src0_sel:BYTE_3 src1_sel:DWORD
                                        ; implicit-def: $vgpr42
	s_and_saveexec_b64 s[28:29], vcc
	s_xor_b64 s[34:35], exec, s[28:29]
	s_cbranch_execz .LBB6_11824
; %bb.11815:                            ;   in Loop: Header=BB6_10567 Depth=3
	v_mov_b32_e32 v42, 0
	v_cmp_ne_u32_e32 vcc, 0, v8
	s_and_saveexec_b64 s[36:37], vcc
	s_cbranch_execz .LBB6_11823
; %bb.11816:                            ;   in Loop: Header=BB6_10567 Depth=3
	v_bfe_u32 v14, v8, 23, 8
	v_cmp_gt_u32_e64 s[28:29], s97, v14
	v_sub_u32_e32 v1, 0x79, v14
	v_and_b32_e32 v0, 0x7fffff, v8
	v_cmp_eq_u32_e32 vcc, 0, v14
	v_cndmask_b32_e64 v1, 0, v1, s[28:29]
	v_mov_b32_e32 v9, 0x78
	v_or_b32_e32 v8, 0x800000, v0
	v_cndmask_b32_e32 v15, v1, v9, vcc
	v_cndmask_b32_e32 v8, v8, v0, vcc
	v_add_u32_e32 v0, 20, v15
	v_lshlrev_b64 v[12:13], v0, -1
	v_mov_b32_e32 v9, v51
	v_add_u32_e32 v0, 19, v15
	v_bfi_b32 v12, v12, 0, v8
	v_lshlrev_b64 v[16:17], v0, 1
	v_lshrrev_b64 v[8:9], v15, v[8:9]
	v_bfi_b32 v13, v13, 0, 0
	v_cmp_eq_u64_e64 s[28:29], v[12:13], v[16:17]
	v_mov_b32_e32 v13, v9
	v_mov_b32_e32 v12, v8
	s_and_saveexec_b64 s[38:39], s[28:29]
; %bb.11817:                            ;   in Loop: Header=BB6_10567 Depth=3
	v_bfe_u32 v0, v8, 20, 1
	v_add_co_u32_e64 v0, s[28:29], v8, v0
	v_add_co_u32_e64 v12, s[28:29], -1, v0
; %bb.11818:                            ;   in Loop: Header=BB6_10567 Depth=3
	s_or_b64 exec, exec, s[38:39]
	v_add_u32_e32 v0, 0xffffff81, v14
	v_mov_b32_e32 v1, 0xffffff82
	v_cndmask_b32_e32 v0, v0, v1, vcc
	v_lshrrev_b32_e32 v1, 23, v8
	v_add3_u32 v14, v15, v0, v1
	v_add_u32_e32 v13, 6, v14
	v_and_b32_e32 v0, 0xfffff, v12
	v_add_u32_e32 v8, v0, v8
	v_mov_b32_e32 v9, v51
	v_cmp_ne_u32_e32 vcc, 0, v13
                                        ; implicit-def: $vgpr12
	s_and_saveexec_b64 s[28:29], vcc
	s_xor_b64 s[28:29], exec, s[28:29]
; %bb.11819:                            ;   in Loop: Header=BB6_10567 Depth=3
	v_cmp_lt_u64_e32 vcc, s[88:89], v[8:9]
	v_add_u32_e32 v0, 7, v14
	v_cndmask_b32_e32 v12, v13, v0, vcc
	v_cndmask_b32_e64 v0, 0, 1, vcc
	v_lshrrev_b64 v[8:9], v0, v[8:9]
; %bb.11820:                            ;   in Loop: Header=BB6_10567 Depth=3
	s_andn2_saveexec_b64 s[28:29], s[28:29]
; %bb.11821:                            ;   in Loop: Header=BB6_10567 Depth=3
	v_bfe_u32 v12, v8, 23, 1
; %bb.11822:                            ;   in Loop: Header=BB6_10567 Depth=3
	s_or_b64 exec, exec, s[28:29]
	v_lshrrev_b64 v[8:9], 20, v[8:9]
	v_cmp_gt_i32_e32 vcc, 16, v12
	v_cndmask_b32_e32 v9, 0, v9, vcc
	v_cndmask_b32_e32 v8, 7, v8, vcc
	v_min_i32_e32 v0, 15, v12
	v_cmp_eq_u64_e64 s[28:29], 0, v[8:9]
	v_lshlrev_b32_e32 v0, 3, v0
	v_cmp_eq_u32_e32 vcc, 0, v12
	v_and_b32_e32 v0, 0xf8, v0
	v_and_or_b32 v0, v8, 7, v0
	s_and_b64 s[28:29], vcc, s[28:29]
	v_cndmask_b32_e64 v0, v0, 0, s[28:29]
	v_or_b32_e32 v42, v0, v7
.LBB6_11823:                            ;   in Loop: Header=BB6_10567 Depth=3
	s_or_b64 exec, exec, s[36:37]
                                        ; implicit-def: $vgpr7
.LBB6_11824:                            ;   in Loop: Header=BB6_10567 Depth=3
	s_andn2_saveexec_b64 s[28:29], s[34:35]
; %bb.11825:                            ;   in Loop: Header=BB6_10567 Depth=3
	v_or_b32_e32 v42, 0x7e, v7
; %bb.11826:                            ;   in Loop: Header=BB6_10567 Depth=3
	s_or_b64 exec, exec, s[28:29]
                                        ; implicit-def: $vgpr8
.LBB6_11827:                            ;   in Loop: Header=BB6_10567 Depth=3
	s_andn2_saveexec_b64 s[28:29], s[30:31]
; %bb.11828:                            ;   in Loop: Header=BB6_10567 Depth=3
	v_or_b32_sdwa v42, v8, s86 dst_sel:DWORD dst_unused:UNUSED_PAD src0_sel:BYTE_3 src1_sel:DWORD
; %bb.11829:                            ;   in Loop: Header=BB6_10567 Depth=3
	s_or_b64 exec, exec, s[28:29]
	v_lshrrev_b16_e32 v8, 8, v10
	v_cmp_ne_u16_e32 vcc, 0, v8
	v_mov_b32_e32 v7, 0
	s_and_saveexec_b64 s[28:29], vcc
	s_cbranch_execz .LBB6_11835
; %bb.11830:                            ;   in Loop: Header=BB6_10567 Depth=3
	v_cmp_ne_u16_e32 vcc, s96, v8
	v_bfrev_b32_e32 v7, 1
	s_and_saveexec_b64 s[30:31], vcc
	s_cbranch_execz .LBB6_11834
; %bb.11831:                            ;   in Loop: Header=BB6_10567 Depth=3
	v_and_b32_e32 v9, 0x7f, v8
	v_cmp_ne_u32_e32 vcc, s86, v9
	v_mov_b32_e32 v7, 0x7f800001
	s_and_saveexec_b64 s[34:35], vcc
	s_cbranch_execz .LBB6_11833
; %bb.11832:                            ;   in Loop: Header=BB6_10567 Depth=3
	v_and_b32_e32 v0, 7, v8
	v_ffbh_u32_e32 v7, v0
	v_lshrrev_b32_e32 v1, 3, v9
	v_cmp_gt_u32_e32 vcc, 8, v9
	v_min_u32_e32 v9, 32, v7
	v_subrev_u32_e32 v7, 28, v9
	v_lshlrev_b64 v[7:8], v7, v[8:9]
	v_sub_u32_e32 v8, 29, v9
	v_and_b32_e32 v7, 7, v7
	v_cndmask_b32_e32 v1, v1, v8, vcc
	v_cndmask_b32_e32 v0, v0, v7, vcc
	v_lshlrev_b32_e32 v7, 16, v10
	v_bfrev_b32_e32 v8, 60
	v_lshlrev_b32_e32 v0, 20, v0
	v_and_b32_e32 v7, 0x80000000, v7
	v_lshl_add_u32 v1, v1, 23, v8
	v_or3_b32 v7, v7, v1, v0
.LBB6_11833:                            ;   in Loop: Header=BB6_10567 Depth=3
	s_or_b64 exec, exec, s[34:35]
.LBB6_11834:                            ;   in Loop: Header=BB6_10567 Depth=3
	s_or_b64 exec, exec, s[30:31]
.LBB6_11835:                            ;   in Loop: Header=BB6_10567 Depth=3
	s_or_b64 exec, exec, s[28:29]
	v_mul_f32_e32 v8, v5, v7
	v_and_b32_e32 v12, 0x7f800000, v8
	v_mov_b32_e32 v13, v51
	v_cmp_ne_u64_e32 vcc, s[76:77], v[12:13]
                                        ; implicit-def: $vgpr0
                                        ; kill: killed $vgpr0
	s_and_saveexec_b64 s[28:29], vcc
	s_xor_b64 s[30:31], exec, s[28:29]
	s_cbranch_execz .LBB6_11849
; %bb.11836:                            ;   in Loop: Header=BB6_10567 Depth=3
	v_and_b32_e32 v12, 0x7fffffff, v8
	v_mov_b32_e32 v13, v51
	v_cmp_gt_u64_e32 vcc, s[78:79], v[12:13]
	v_and_b32_sdwa v7, v8, s96 dst_sel:DWORD dst_unused:UNUSED_PAD src0_sel:BYTE_3 src1_sel:DWORD
                                        ; implicit-def: $vgpr0
                                        ; kill: killed $vgpr0
	s_and_saveexec_b64 s[28:29], vcc
	s_xor_b64 s[34:35], exec, s[28:29]
	s_cbranch_execz .LBB6_11846
; %bb.11837:                            ;   in Loop: Header=BB6_10567 Depth=3
	v_mov_b32_e32 v0, 0
	v_cmp_ne_u32_e32 vcc, 0, v8
	buffer_store_dword v0, off, s[0:3], s33 offset:112 ; 4-byte Folded Spill
	s_and_saveexec_b64 s[36:37], vcc
	s_cbranch_execz .LBB6_11845
; %bb.11838:                            ;   in Loop: Header=BB6_10567 Depth=3
	v_bfe_u32 v14, v8, 23, 8
	v_cmp_gt_u32_e64 s[28:29], s97, v14
	v_sub_u32_e32 v1, 0x79, v14
	v_and_b32_e32 v0, 0x7fffff, v8
	v_cmp_eq_u32_e32 vcc, 0, v14
	v_cndmask_b32_e64 v1, 0, v1, s[28:29]
	v_mov_b32_e32 v9, 0x78
	v_or_b32_e32 v8, 0x800000, v0
	v_cndmask_b32_e32 v15, v1, v9, vcc
	v_cndmask_b32_e32 v8, v8, v0, vcc
	v_add_u32_e32 v0, 20, v15
	v_lshlrev_b64 v[12:13], v0, -1
	v_mov_b32_e32 v9, v51
	v_add_u32_e32 v0, 19, v15
	v_bfi_b32 v12, v12, 0, v8
	v_lshlrev_b64 v[16:17], v0, 1
	v_lshrrev_b64 v[8:9], v15, v[8:9]
	v_bfi_b32 v13, v13, 0, 0
	v_cmp_eq_u64_e64 s[28:29], v[12:13], v[16:17]
	v_mov_b32_e32 v13, v9
	v_mov_b32_e32 v12, v8
	s_and_saveexec_b64 s[38:39], s[28:29]
; %bb.11839:                            ;   in Loop: Header=BB6_10567 Depth=3
	v_bfe_u32 v0, v8, 20, 1
	v_add_co_u32_e64 v0, s[28:29], v8, v0
	v_add_co_u32_e64 v12, s[28:29], -1, v0
; %bb.11840:                            ;   in Loop: Header=BB6_10567 Depth=3
	s_or_b64 exec, exec, s[38:39]
	v_add_u32_e32 v0, 0xffffff81, v14
	v_mov_b32_e32 v1, 0xffffff82
	v_cndmask_b32_e32 v0, v0, v1, vcc
	v_lshrrev_b32_e32 v1, 23, v8
	v_add3_u32 v14, v15, v0, v1
	v_add_u32_e32 v13, 6, v14
	v_and_b32_e32 v0, 0xfffff, v12
	v_add_u32_e32 v8, v0, v8
	v_mov_b32_e32 v9, v51
	v_cmp_ne_u32_e32 vcc, 0, v13
                                        ; implicit-def: $vgpr12
	s_and_saveexec_b64 s[28:29], vcc
	s_xor_b64 s[28:29], exec, s[28:29]
; %bb.11841:                            ;   in Loop: Header=BB6_10567 Depth=3
	v_cmp_lt_u64_e32 vcc, s[88:89], v[8:9]
	v_add_u32_e32 v0, 7, v14
	v_cndmask_b32_e32 v12, v13, v0, vcc
	v_cndmask_b32_e64 v0, 0, 1, vcc
	v_lshrrev_b64 v[8:9], v0, v[8:9]
; %bb.11842:                            ;   in Loop: Header=BB6_10567 Depth=3
	s_andn2_saveexec_b64 s[28:29], s[28:29]
; %bb.11843:                            ;   in Loop: Header=BB6_10567 Depth=3
	v_bfe_u32 v12, v8, 23, 1
; %bb.11844:                            ;   in Loop: Header=BB6_10567 Depth=3
	s_or_b64 exec, exec, s[28:29]
	v_lshrrev_b64 v[8:9], 20, v[8:9]
	v_cmp_gt_i32_e32 vcc, 16, v12
	v_cndmask_b32_e32 v9, 0, v9, vcc
	v_cndmask_b32_e32 v8, 7, v8, vcc
	v_min_i32_e32 v0, 15, v12
	v_cmp_eq_u64_e64 s[28:29], 0, v[8:9]
	v_lshlrev_b32_e32 v0, 3, v0
	v_cmp_eq_u32_e32 vcc, 0, v12
	v_and_b32_e32 v0, 0xf8, v0
	v_and_or_b32 v0, v8, 7, v0
	s_and_b64 s[28:29], vcc, s[28:29]
	v_cndmask_b32_e64 v0, v0, 0, s[28:29]
	v_or_b32_e32 v0, v0, v7
	buffer_store_dword v0, off, s[0:3], s33 offset:112 ; 4-byte Folded Spill
.LBB6_11845:                            ;   in Loop: Header=BB6_10567 Depth=3
	s_or_b64 exec, exec, s[36:37]
                                        ; implicit-def: $vgpr7
.LBB6_11846:                            ;   in Loop: Header=BB6_10567 Depth=3
	s_andn2_saveexec_b64 s[28:29], s[34:35]
	s_cbranch_execz .LBB6_11848
; %bb.11847:                            ;   in Loop: Header=BB6_10567 Depth=3
	v_or_b32_e32 v0, 0x7e, v7
	buffer_store_dword v0, off, s[0:3], s33 offset:112 ; 4-byte Folded Spill
.LBB6_11848:                            ;   in Loop: Header=BB6_10567 Depth=3
	s_or_b64 exec, exec, s[28:29]
                                        ; implicit-def: $vgpr8
.LBB6_11849:                            ;   in Loop: Header=BB6_10567 Depth=3
	s_andn2_saveexec_b64 s[28:29], s[30:31]
	s_cbranch_execz .LBB6_11851
; %bb.11850:                            ;   in Loop: Header=BB6_10567 Depth=3
	v_or_b32_sdwa v0, v8, s86 dst_sel:DWORD dst_unused:UNUSED_PAD src0_sel:BYTE_3 src1_sel:DWORD
	buffer_store_dword v0, off, s[0:3], s33 offset:112 ; 4-byte Folded Spill
.LBB6_11851:                            ;   in Loop: Header=BB6_10567 Depth=3
	s_or_b64 exec, exec, s[28:29]
	v_lshrrev_b32_e32 v8, 16, v10
	v_cmp_ne_u16_sdwa vcc, v8, v51 src0_sel:BYTE_0 src1_sel:DWORD
	v_mov_b32_e32 v7, 0
	s_and_saveexec_b64 s[28:29], vcc
	s_cbranch_execz .LBB6_11857
; %bb.11852:                            ;   in Loop: Header=BB6_10567 Depth=3
	v_cmp_ne_u16_sdwa vcc, v8, s96 src0_sel:BYTE_0 src1_sel:DWORD
	v_bfrev_b32_e32 v7, 1
	s_and_saveexec_b64 s[30:31], vcc
	s_cbranch_execz .LBB6_11856
; %bb.11853:                            ;   in Loop: Header=BB6_10567 Depth=3
	v_bfe_u32 v9, v10, 16, 7
	v_cmp_ne_u32_e32 vcc, s86, v9
	v_mov_b32_e32 v7, 0x7f800001
	s_and_saveexec_b64 s[34:35], vcc
	s_cbranch_execz .LBB6_11855
; %bb.11854:                            ;   in Loop: Header=BB6_10567 Depth=3
	v_and_b32_e32 v0, 7, v8
	v_ffbh_u32_e32 v7, v0
	v_min_u32_e32 v7, 32, v7
	v_lshrrev_b32_e32 v1, 3, v9
	v_cmp_gt_u32_e32 vcc, 8, v9
	v_subrev_u32_e32 v9, 28, v7
	v_lshlrev_b64 v[12:13], v9, v[8:9]
	v_sub_u32_e32 v7, 29, v7
	v_and_b32_e32 v9, 7, v12
	v_cndmask_b32_e32 v1, v1, v7, vcc
	v_cndmask_b32_e32 v0, v0, v9, vcc
	v_lshlrev_b32_e32 v7, 24, v8
	v_bfrev_b32_e32 v8, 60
	v_lshlrev_b32_e32 v0, 20, v0
	v_and_b32_e32 v7, 0x80000000, v7
	v_lshl_add_u32 v1, v1, 23, v8
	v_or3_b32 v7, v7, v1, v0
.LBB6_11855:                            ;   in Loop: Header=BB6_10567 Depth=3
	s_or_b64 exec, exec, s[34:35]
.LBB6_11856:                            ;   in Loop: Header=BB6_10567 Depth=3
	s_or_b64 exec, exec, s[30:31]
.LBB6_11857:                            ;   in Loop: Header=BB6_10567 Depth=3
	s_or_b64 exec, exec, s[28:29]
	v_mul_f32_e32 v8, v5, v7
	v_and_b32_e32 v12, 0x7f800000, v8
	v_mov_b32_e32 v13, v51
	v_cmp_ne_u64_e32 vcc, s[76:77], v[12:13]
                                        ; implicit-def: $vgpr0
                                        ; kill: killed $vgpr0
	s_and_saveexec_b64 s[28:29], vcc
	s_xor_b64 s[30:31], exec, s[28:29]
	s_cbranch_execz .LBB6_11871
; %bb.11858:                            ;   in Loop: Header=BB6_10567 Depth=3
	v_and_b32_e32 v12, 0x7fffffff, v8
	v_mov_b32_e32 v13, v51
	v_cmp_gt_u64_e32 vcc, s[78:79], v[12:13]
	v_and_b32_sdwa v7, v8, s96 dst_sel:DWORD dst_unused:UNUSED_PAD src0_sel:BYTE_3 src1_sel:DWORD
                                        ; implicit-def: $vgpr0
                                        ; kill: killed $vgpr0
	s_and_saveexec_b64 s[28:29], vcc
	s_xor_b64 s[34:35], exec, s[28:29]
	s_cbranch_execz .LBB6_11868
; %bb.11859:                            ;   in Loop: Header=BB6_10567 Depth=3
	v_mov_b32_e32 v0, 0
	v_cmp_ne_u32_e32 vcc, 0, v8
	buffer_store_dword v0, off, s[0:3], s33 offset:128 ; 4-byte Folded Spill
	s_and_saveexec_b64 s[36:37], vcc
	s_cbranch_execz .LBB6_11867
; %bb.11860:                            ;   in Loop: Header=BB6_10567 Depth=3
	v_bfe_u32 v14, v8, 23, 8
	v_cmp_gt_u32_e64 s[28:29], s97, v14
	v_sub_u32_e32 v1, 0x79, v14
	v_and_b32_e32 v0, 0x7fffff, v8
	v_cmp_eq_u32_e32 vcc, 0, v14
	v_cndmask_b32_e64 v1, 0, v1, s[28:29]
	v_mov_b32_e32 v9, 0x78
	v_or_b32_e32 v8, 0x800000, v0
	v_cndmask_b32_e32 v15, v1, v9, vcc
	v_cndmask_b32_e32 v8, v8, v0, vcc
	v_add_u32_e32 v0, 20, v15
	v_lshlrev_b64 v[12:13], v0, -1
	v_mov_b32_e32 v9, v51
	v_add_u32_e32 v0, 19, v15
	v_bfi_b32 v12, v12, 0, v8
	v_lshlrev_b64 v[16:17], v0, 1
	v_lshrrev_b64 v[8:9], v15, v[8:9]
	v_bfi_b32 v13, v13, 0, 0
	v_cmp_eq_u64_e64 s[28:29], v[12:13], v[16:17]
	v_mov_b32_e32 v13, v9
	v_mov_b32_e32 v12, v8
	s_and_saveexec_b64 s[38:39], s[28:29]
; %bb.11861:                            ;   in Loop: Header=BB6_10567 Depth=3
	v_bfe_u32 v0, v8, 20, 1
	v_add_co_u32_e64 v0, s[28:29], v8, v0
	v_add_co_u32_e64 v12, s[28:29], -1, v0
; %bb.11862:                            ;   in Loop: Header=BB6_10567 Depth=3
	s_or_b64 exec, exec, s[38:39]
	v_add_u32_e32 v0, 0xffffff81, v14
	v_mov_b32_e32 v1, 0xffffff82
	v_cndmask_b32_e32 v0, v0, v1, vcc
	v_lshrrev_b32_e32 v1, 23, v8
	v_add3_u32 v14, v15, v0, v1
	v_add_u32_e32 v13, 6, v14
	v_and_b32_e32 v0, 0xfffff, v12
	v_add_u32_e32 v8, v0, v8
	v_mov_b32_e32 v9, v51
	v_cmp_ne_u32_e32 vcc, 0, v13
                                        ; implicit-def: $vgpr12
	s_and_saveexec_b64 s[28:29], vcc
	s_xor_b64 s[28:29], exec, s[28:29]
; %bb.11863:                            ;   in Loop: Header=BB6_10567 Depth=3
	v_cmp_lt_u64_e32 vcc, s[88:89], v[8:9]
	v_add_u32_e32 v0, 7, v14
	v_cndmask_b32_e32 v12, v13, v0, vcc
	v_cndmask_b32_e64 v0, 0, 1, vcc
	v_lshrrev_b64 v[8:9], v0, v[8:9]
; %bb.11864:                            ;   in Loop: Header=BB6_10567 Depth=3
	s_andn2_saveexec_b64 s[28:29], s[28:29]
; %bb.11865:                            ;   in Loop: Header=BB6_10567 Depth=3
	v_bfe_u32 v12, v8, 23, 1
; %bb.11866:                            ;   in Loop: Header=BB6_10567 Depth=3
	s_or_b64 exec, exec, s[28:29]
	v_lshrrev_b64 v[8:9], 20, v[8:9]
	v_cmp_gt_i32_e32 vcc, 16, v12
	v_cndmask_b32_e32 v9, 0, v9, vcc
	v_cndmask_b32_e32 v8, 7, v8, vcc
	v_min_i32_e32 v0, 15, v12
	v_cmp_eq_u64_e64 s[28:29], 0, v[8:9]
	v_lshlrev_b32_e32 v0, 3, v0
	v_cmp_eq_u32_e32 vcc, 0, v12
	v_and_b32_e32 v0, 0xf8, v0
	v_and_or_b32 v0, v8, 7, v0
	s_and_b64 s[28:29], vcc, s[28:29]
	v_cndmask_b32_e64 v0, v0, 0, s[28:29]
	v_or_b32_e32 v0, v0, v7
	buffer_store_dword v0, off, s[0:3], s33 offset:128 ; 4-byte Folded Spill
.LBB6_11867:                            ;   in Loop: Header=BB6_10567 Depth=3
	s_or_b64 exec, exec, s[36:37]
                                        ; implicit-def: $vgpr7
.LBB6_11868:                            ;   in Loop: Header=BB6_10567 Depth=3
	s_andn2_saveexec_b64 s[28:29], s[34:35]
	s_cbranch_execz .LBB6_11870
; %bb.11869:                            ;   in Loop: Header=BB6_10567 Depth=3
	v_or_b32_e32 v0, 0x7e, v7
	buffer_store_dword v0, off, s[0:3], s33 offset:128 ; 4-byte Folded Spill
.LBB6_11870:                            ;   in Loop: Header=BB6_10567 Depth=3
	s_or_b64 exec, exec, s[28:29]
                                        ; implicit-def: $vgpr8
.LBB6_11871:                            ;   in Loop: Header=BB6_10567 Depth=3
	s_andn2_saveexec_b64 s[28:29], s[30:31]
	s_cbranch_execz .LBB6_11873
; %bb.11872:                            ;   in Loop: Header=BB6_10567 Depth=3
	v_or_b32_sdwa v0, v8, s86 dst_sel:DWORD dst_unused:UNUSED_PAD src0_sel:BYTE_3 src1_sel:DWORD
	buffer_store_dword v0, off, s[0:3], s33 offset:128 ; 4-byte Folded Spill
.LBB6_11873:                            ;   in Loop: Header=BB6_10567 Depth=3
	s_or_b64 exec, exec, s[28:29]
	v_cmp_lt_u32_e32 vcc, s57, v10
	v_mov_b32_e32 v7, 0
	s_and_saveexec_b64 s[28:29], vcc
	s_cbranch_execz .LBB6_11879
; %bb.11874:                            ;   in Loop: Header=BB6_10567 Depth=3
	v_lshrrev_b32_e32 v8, 24, v10
	v_cmp_ne_u32_e32 vcc, s96, v8
	v_bfrev_b32_e32 v7, 1
	s_and_saveexec_b64 s[30:31], vcc
	s_cbranch_execz .LBB6_11878
; %bb.11875:                            ;   in Loop: Header=BB6_10567 Depth=3
	v_bfe_u32 v9, v10, 24, 7
	v_cmp_ne_u32_e32 vcc, s86, v9
	v_mov_b32_e32 v7, 0x7f800001
	s_and_saveexec_b64 s[34:35], vcc
	s_cbranch_execz .LBB6_11877
; %bb.11876:                            ;   in Loop: Header=BB6_10567 Depth=3
	v_and_b32_e32 v0, 7, v8
	v_ffbh_u32_e32 v7, v0
	v_min_u32_e32 v7, 32, v7
	v_lshrrev_b32_e32 v1, 3, v9
	v_cmp_gt_u32_e32 vcc, 8, v9
	v_subrev_u32_e32 v9, 28, v7
	v_lshlrev_b64 v[12:13], v9, v[8:9]
	v_sub_u32_e32 v7, 29, v7
	v_and_b32_e32 v9, 7, v12
	v_cndmask_b32_e32 v1, v1, v7, vcc
	v_cndmask_b32_e32 v0, v0, v9, vcc
	v_lshlrev_b32_e32 v7, 24, v8
	v_bfrev_b32_e32 v8, 60
	v_lshlrev_b32_e32 v0, 20, v0
	v_and_b32_e32 v7, 0x80000000, v7
	v_lshl_add_u32 v1, v1, 23, v8
	v_or3_b32 v7, v7, v1, v0
.LBB6_11877:                            ;   in Loop: Header=BB6_10567 Depth=3
	s_or_b64 exec, exec, s[34:35]
.LBB6_11878:                            ;   in Loop: Header=BB6_10567 Depth=3
	s_or_b64 exec, exec, s[30:31]
.LBB6_11879:                            ;   in Loop: Header=BB6_10567 Depth=3
	s_or_b64 exec, exec, s[28:29]
	v_mul_f32_e32 v8, v5, v7
	v_and_b32_e32 v12, 0x7f800000, v8
	v_mov_b32_e32 v13, v51
	v_cmp_ne_u64_e32 vcc, s[76:77], v[12:13]
                                        ; implicit-def: $vgpr0
                                        ; kill: killed $vgpr0
	s_and_saveexec_b64 s[28:29], vcc
	s_xor_b64 s[30:31], exec, s[28:29]
	s_cbranch_execz .LBB6_11893
; %bb.11880:                            ;   in Loop: Header=BB6_10567 Depth=3
	v_and_b32_e32 v12, 0x7fffffff, v8
	v_mov_b32_e32 v13, v51
	v_cmp_gt_u64_e32 vcc, s[78:79], v[12:13]
	v_and_b32_sdwa v7, v8, s96 dst_sel:DWORD dst_unused:UNUSED_PAD src0_sel:BYTE_3 src1_sel:DWORD
                                        ; implicit-def: $vgpr0
                                        ; kill: killed $vgpr0
	s_and_saveexec_b64 s[28:29], vcc
	s_xor_b64 s[34:35], exec, s[28:29]
	s_cbranch_execz .LBB6_11890
; %bb.11881:                            ;   in Loop: Header=BB6_10567 Depth=3
	v_mov_b32_e32 v0, 0
	v_cmp_ne_u32_e32 vcc, 0, v8
	buffer_store_dword v0, off, s[0:3], s33 offset:144 ; 4-byte Folded Spill
	s_and_saveexec_b64 s[36:37], vcc
	s_cbranch_execz .LBB6_11889
; %bb.11882:                            ;   in Loop: Header=BB6_10567 Depth=3
	v_bfe_u32 v14, v8, 23, 8
	v_cmp_gt_u32_e64 s[28:29], s97, v14
	v_sub_u32_e32 v1, 0x79, v14
	v_and_b32_e32 v0, 0x7fffff, v8
	v_cmp_eq_u32_e32 vcc, 0, v14
	v_cndmask_b32_e64 v1, 0, v1, s[28:29]
	v_mov_b32_e32 v9, 0x78
	v_or_b32_e32 v8, 0x800000, v0
	v_cndmask_b32_e32 v15, v1, v9, vcc
	v_cndmask_b32_e32 v8, v8, v0, vcc
	v_add_u32_e32 v0, 20, v15
	v_lshlrev_b64 v[12:13], v0, -1
	v_mov_b32_e32 v9, v51
	v_add_u32_e32 v0, 19, v15
	v_bfi_b32 v12, v12, 0, v8
	v_lshlrev_b64 v[16:17], v0, 1
	v_lshrrev_b64 v[8:9], v15, v[8:9]
	v_bfi_b32 v13, v13, 0, 0
	v_cmp_eq_u64_e64 s[28:29], v[12:13], v[16:17]
	v_mov_b32_e32 v13, v9
	v_mov_b32_e32 v12, v8
	s_and_saveexec_b64 s[38:39], s[28:29]
; %bb.11883:                            ;   in Loop: Header=BB6_10567 Depth=3
	v_bfe_u32 v0, v8, 20, 1
	v_add_co_u32_e64 v0, s[28:29], v8, v0
	v_add_co_u32_e64 v12, s[28:29], -1, v0
; %bb.11884:                            ;   in Loop: Header=BB6_10567 Depth=3
	s_or_b64 exec, exec, s[38:39]
	v_add_u32_e32 v0, 0xffffff81, v14
	v_mov_b32_e32 v1, 0xffffff82
	v_cndmask_b32_e32 v0, v0, v1, vcc
	v_lshrrev_b32_e32 v1, 23, v8
	v_add3_u32 v14, v15, v0, v1
	v_add_u32_e32 v13, 6, v14
	v_and_b32_e32 v0, 0xfffff, v12
	v_add_u32_e32 v8, v0, v8
	v_mov_b32_e32 v9, v51
	v_cmp_ne_u32_e32 vcc, 0, v13
                                        ; implicit-def: $vgpr12
	s_and_saveexec_b64 s[28:29], vcc
	s_xor_b64 s[28:29], exec, s[28:29]
; %bb.11885:                            ;   in Loop: Header=BB6_10567 Depth=3
	v_cmp_lt_u64_e32 vcc, s[88:89], v[8:9]
	v_add_u32_e32 v0, 7, v14
	v_cndmask_b32_e32 v12, v13, v0, vcc
	v_cndmask_b32_e64 v0, 0, 1, vcc
	v_lshrrev_b64 v[8:9], v0, v[8:9]
; %bb.11886:                            ;   in Loop: Header=BB6_10567 Depth=3
	s_andn2_saveexec_b64 s[28:29], s[28:29]
; %bb.11887:                            ;   in Loop: Header=BB6_10567 Depth=3
	v_bfe_u32 v12, v8, 23, 1
; %bb.11888:                            ;   in Loop: Header=BB6_10567 Depth=3
	s_or_b64 exec, exec, s[28:29]
	v_lshrrev_b64 v[8:9], 20, v[8:9]
	v_cmp_gt_i32_e32 vcc, 16, v12
	v_cndmask_b32_e32 v9, 0, v9, vcc
	v_cndmask_b32_e32 v8, 7, v8, vcc
	v_min_i32_e32 v0, 15, v12
	v_cmp_eq_u64_e64 s[28:29], 0, v[8:9]
	v_lshlrev_b32_e32 v0, 3, v0
	v_cmp_eq_u32_e32 vcc, 0, v12
	v_and_b32_e32 v0, 0xf8, v0
	v_and_or_b32 v0, v8, 7, v0
	s_and_b64 s[28:29], vcc, s[28:29]
	v_cndmask_b32_e64 v0, v0, 0, s[28:29]
	v_or_b32_e32 v0, v0, v7
	buffer_store_dword v0, off, s[0:3], s33 offset:144 ; 4-byte Folded Spill
.LBB6_11889:                            ;   in Loop: Header=BB6_10567 Depth=3
	s_or_b64 exec, exec, s[36:37]
                                        ; implicit-def: $vgpr7
.LBB6_11890:                            ;   in Loop: Header=BB6_10567 Depth=3
	s_andn2_saveexec_b64 s[28:29], s[34:35]
	s_cbranch_execz .LBB6_11892
; %bb.11891:                            ;   in Loop: Header=BB6_10567 Depth=3
	v_or_b32_e32 v0, 0x7e, v7
	buffer_store_dword v0, off, s[0:3], s33 offset:144 ; 4-byte Folded Spill
.LBB6_11892:                            ;   in Loop: Header=BB6_10567 Depth=3
	s_or_b64 exec, exec, s[28:29]
                                        ; implicit-def: $vgpr8
.LBB6_11893:                            ;   in Loop: Header=BB6_10567 Depth=3
	s_andn2_saveexec_b64 s[28:29], s[30:31]
	s_cbranch_execz .LBB6_11895
; %bb.11894:                            ;   in Loop: Header=BB6_10567 Depth=3
	v_or_b32_sdwa v0, v8, s86 dst_sel:DWORD dst_unused:UNUSED_PAD src0_sel:BYTE_3 src1_sel:DWORD
	buffer_store_dword v0, off, s[0:3], s33 offset:144 ; 4-byte Folded Spill
.LBB6_11895:                            ;   in Loop: Header=BB6_10567 Depth=3
	s_or_b64 exec, exec, s[28:29]
	v_mov_b32_e32 v8, v11
	v_mov_b32_e32 v9, v51
	v_cmp_ne_u16_sdwa vcc, v11, v51 src0_sel:BYTE_0 src1_sel:DWORD
	v_mov_b32_e32 v7, 0
	s_and_saveexec_b64 s[28:29], vcc
	s_cbranch_execz .LBB6_11901
; %bb.11896:                            ;   in Loop: Header=BB6_10567 Depth=3
	v_cmp_ne_u16_sdwa vcc, v11, s96 src0_sel:BYTE_0 src1_sel:DWORD
	v_bfrev_b32_e32 v7, 1
	s_and_saveexec_b64 s[30:31], vcc
	s_cbranch_execz .LBB6_11900
; %bb.11897:                            ;   in Loop: Header=BB6_10567 Depth=3
	v_and_b32_e32 v12, 0x7f, v11
	v_cmp_ne_u32_e32 vcc, s86, v12
	v_mov_b32_e32 v7, 0x7f800001
	s_and_saveexec_b64 s[34:35], vcc
	s_cbranch_execz .LBB6_11899
; %bb.11898:                            ;   in Loop: Header=BB6_10567 Depth=3
	v_and_b32_e32 v0, 7, v11
	v_ffbh_u32_e32 v0, v0
	v_min_u32_e32 v0, 32, v0
	v_lshrrev_b32_e32 v1, 3, v12
	v_cmp_gt_u32_e32 vcc, 8, v12
	v_subrev_u32_e32 v7, 28, v0
	v_sub_u32_e32 v0, 29, v0
	v_cndmask_b32_e32 v0, v1, v0, vcc
	v_cndmask_b32_e32 v1, 0, v7, vcc
	v_lshlrev_b64 v[12:13], v1, v[8:9]
	v_lshlrev_b32_e32 v7, 24, v8
	v_lshlrev_b32_e32 v1, 20, v12
	v_bfrev_b32_e32 v9, 60
	v_and_b32_e32 v1, 0x700000, v1
	v_and_b32_e32 v7, 0x80000000, v7
	v_lshl_add_u32 v0, v0, 23, v9
	v_or3_b32 v7, v7, v0, v1
.LBB6_11899:                            ;   in Loop: Header=BB6_10567 Depth=3
	s_or_b64 exec, exec, s[34:35]
.LBB6_11900:                            ;   in Loop: Header=BB6_10567 Depth=3
	s_or_b64 exec, exec, s[30:31]
.LBB6_11901:                            ;   in Loop: Header=BB6_10567 Depth=3
	s_or_b64 exec, exec, s[28:29]
	v_mul_f32_e32 v12, v5, v7
	v_and_b32_e32 v13, 0x7f800000, v12
	v_mov_b32_e32 v14, v51
	v_cmp_ne_u64_e32 vcc, s[76:77], v[13:14]
                                        ; implicit-def: $vgpr7
	s_and_saveexec_b64 s[28:29], vcc
	s_xor_b64 s[30:31], exec, s[28:29]
	s_cbranch_execz .LBB6_11915
; %bb.11902:                            ;   in Loop: Header=BB6_10567 Depth=3
	v_and_b32_e32 v13, 0x7fffffff, v12
	v_mov_b32_e32 v14, v51
	v_cmp_gt_u64_e32 vcc, s[78:79], v[13:14]
	v_and_b32_sdwa v9, v12, s96 dst_sel:DWORD dst_unused:UNUSED_PAD src0_sel:BYTE_3 src1_sel:DWORD
                                        ; implicit-def: $vgpr7
	s_and_saveexec_b64 s[28:29], vcc
	s_xor_b64 s[34:35], exec, s[28:29]
	s_cbranch_execz .LBB6_11912
; %bb.11903:                            ;   in Loop: Header=BB6_10567 Depth=3
	v_mov_b32_e32 v7, 0
	v_cmp_ne_u32_e32 vcc, 0, v12
	s_and_saveexec_b64 s[36:37], vcc
	s_cbranch_execz .LBB6_11911
; %bb.11904:                            ;   in Loop: Header=BB6_10567 Depth=3
	v_bfe_u32 v7, v12, 23, 8
	v_cmp_gt_u32_e64 s[28:29], s97, v7
	v_sub_u32_e32 v1, 0x79, v7
	v_and_b32_e32 v0, 0x7fffff, v12
	v_cmp_eq_u32_e32 vcc, 0, v7
	v_cndmask_b32_e64 v1, 0, v1, s[28:29]
	v_mov_b32_e32 v13, 0x78
	v_or_b32_e32 v12, 0x800000, v0
	v_cndmask_b32_e32 v15, v1, v13, vcc
	v_cndmask_b32_e32 v12, v12, v0, vcc
	v_add_u32_e32 v0, 20, v15
	v_lshlrev_b64 v[16:17], v0, -1
	v_mov_b32_e32 v13, v51
	v_add_u32_e32 v0, 19, v15
	v_bfi_b32 v16, v16, 0, v12
	v_lshlrev_b64 v[18:19], v0, 1
	v_lshrrev_b64 v[12:13], v15, v[12:13]
	v_bfi_b32 v17, v17, 0, 0
	v_cmp_eq_u64_e64 s[28:29], v[16:17], v[18:19]
	v_mov_b32_e32 v14, v13
	v_mov_b32_e32 v13, v12
	s_and_saveexec_b64 s[38:39], s[28:29]
; %bb.11905:                            ;   in Loop: Header=BB6_10567 Depth=3
	v_bfe_u32 v0, v12, 20, 1
	v_add_co_u32_e64 v0, s[28:29], v12, v0
	v_add_co_u32_e64 v13, s[28:29], -1, v0
; %bb.11906:                            ;   in Loop: Header=BB6_10567 Depth=3
	s_or_b64 exec, exec, s[38:39]
	v_add_u32_e32 v0, 0xffffff81, v7
	v_mov_b32_e32 v1, 0xffffff82
	v_cndmask_b32_e32 v0, v0, v1, vcc
	v_lshrrev_b32_e32 v1, 23, v12
	v_add3_u32 v15, v15, v0, v1
	v_add_u32_e32 v14, 6, v15
	v_and_b32_e32 v0, 0xfffff, v13
	v_add_u32_e32 v12, v0, v12
	v_mov_b32_e32 v13, v51
	v_cmp_ne_u32_e32 vcc, 0, v14
                                        ; implicit-def: $vgpr7
	s_and_saveexec_b64 s[28:29], vcc
	s_xor_b64 s[28:29], exec, s[28:29]
; %bb.11907:                            ;   in Loop: Header=BB6_10567 Depth=3
	v_cmp_lt_u64_e32 vcc, s[88:89], v[12:13]
	v_add_u32_e32 v0, 7, v15
	v_cndmask_b32_e32 v7, v14, v0, vcc
	v_cndmask_b32_e64 v0, 0, 1, vcc
	v_lshrrev_b64 v[12:13], v0, v[12:13]
; %bb.11908:                            ;   in Loop: Header=BB6_10567 Depth=3
	s_andn2_saveexec_b64 s[28:29], s[28:29]
; %bb.11909:                            ;   in Loop: Header=BB6_10567 Depth=3
	v_bfe_u32 v7, v12, 23, 1
; %bb.11910:                            ;   in Loop: Header=BB6_10567 Depth=3
	s_or_b64 exec, exec, s[28:29]
	v_lshrrev_b64 v[12:13], 20, v[12:13]
	v_cmp_gt_i32_e32 vcc, 16, v7
	v_cndmask_b32_e32 v13, 0, v13, vcc
	v_cndmask_b32_e32 v12, 7, v12, vcc
	v_min_i32_e32 v0, 15, v7
	v_cmp_eq_u64_e64 s[28:29], 0, v[12:13]
	v_lshlrev_b32_e32 v0, 3, v0
	v_cmp_eq_u32_e32 vcc, 0, v7
	v_and_b32_e32 v0, 0xf8, v0
	v_and_or_b32 v0, v12, 7, v0
	s_and_b64 s[28:29], vcc, s[28:29]
	v_cndmask_b32_e64 v0, v0, 0, s[28:29]
	v_or_b32_e32 v7, v0, v9
.LBB6_11911:                            ;   in Loop: Header=BB6_10567 Depth=3
	s_or_b64 exec, exec, s[36:37]
                                        ; implicit-def: $vgpr9
.LBB6_11912:                            ;   in Loop: Header=BB6_10567 Depth=3
	s_andn2_saveexec_b64 s[28:29], s[34:35]
; %bb.11913:                            ;   in Loop: Header=BB6_10567 Depth=3
	v_or_b32_e32 v7, 0x7e, v9
; %bb.11914:                            ;   in Loop: Header=BB6_10567 Depth=3
	s_or_b64 exec, exec, s[28:29]
                                        ; implicit-def: $vgpr12
.LBB6_11915:                            ;   in Loop: Header=BB6_10567 Depth=3
	s_andn2_saveexec_b64 s[28:29], s[30:31]
; %bb.11916:                            ;   in Loop: Header=BB6_10567 Depth=3
	v_or_b32_sdwa v7, v12, s86 dst_sel:DWORD dst_unused:UNUSED_PAD src0_sel:BYTE_3 src1_sel:DWORD
; %bb.11917:                            ;   in Loop: Header=BB6_10567 Depth=3
	s_or_b64 exec, exec, s[28:29]
	v_lshrrev_b16_e32 v9, 8, v8
	v_cmp_ne_u16_e32 vcc, 0, v9
	v_mov_b32_e32 v12, 0
	s_and_saveexec_b64 s[28:29], vcc
	s_cbranch_execz .LBB6_11923
; %bb.11918:                            ;   in Loop: Header=BB6_10567 Depth=3
	v_cmp_ne_u16_e32 vcc, s96, v9
	v_bfrev_b32_e32 v12, 1
	s_and_saveexec_b64 s[30:31], vcc
	s_cbranch_execz .LBB6_11922
; %bb.11919:                            ;   in Loop: Header=BB6_10567 Depth=3
	v_and_b32_e32 v13, 0x7f, v9
	v_cmp_ne_u32_e32 vcc, s86, v13
	v_mov_b32_e32 v12, 0x7f800001
	s_and_saveexec_b64 s[34:35], vcc
	s_cbranch_execz .LBB6_11921
; %bb.11920:                            ;   in Loop: Header=BB6_10567 Depth=3
	v_and_b32_e32 v0, 7, v9
	v_ffbh_u32_e32 v12, v0
	v_min_u32_e32 v14, 32, v12
	v_subrev_u32_e32 v12, 28, v14
	v_lshrrev_b32_e32 v1, 3, v13
	v_cmp_gt_u32_e32 vcc, 8, v13
	v_lshlrev_b64 v[12:13], v12, v[9:10]
	v_sub_u32_e32 v9, 29, v14
	v_and_b32_e32 v12, 7, v12
	v_cndmask_b32_e32 v1, v1, v9, vcc
	v_cndmask_b32_e32 v0, v0, v12, vcc
	v_lshlrev_b32_e32 v8, 16, v8
	v_bfrev_b32_e32 v9, 60
	v_lshlrev_b32_e32 v0, 20, v0
	v_and_b32_e32 v8, 0x80000000, v8
	v_lshl_add_u32 v1, v1, 23, v9
	v_or3_b32 v12, v8, v1, v0
.LBB6_11921:                            ;   in Loop: Header=BB6_10567 Depth=3
	s_or_b64 exec, exec, s[34:35]
.LBB6_11922:                            ;   in Loop: Header=BB6_10567 Depth=3
	s_or_b64 exec, exec, s[30:31]
.LBB6_11923:                            ;   in Loop: Header=BB6_10567 Depth=3
	s_or_b64 exec, exec, s[28:29]
	v_mul_f32_e32 v8, v5, v12
	v_and_b32_e32 v12, 0x7f800000, v8
	v_mov_b32_e32 v13, v51
	v_cmp_ne_u64_e32 vcc, s[76:77], v[12:13]
                                        ; implicit-def: $vgpr0
                                        ; kill: killed $vgpr0
	s_and_saveexec_b64 s[28:29], vcc
	s_xor_b64 s[30:31], exec, s[28:29]
	s_cbranch_execz .LBB6_11937
; %bb.11924:                            ;   in Loop: Header=BB6_10567 Depth=3
	v_and_b32_e32 v12, 0x7fffffff, v8
	v_mov_b32_e32 v13, v51
	v_cmp_gt_u64_e32 vcc, s[78:79], v[12:13]
	v_and_b32_sdwa v14, v8, s96 dst_sel:DWORD dst_unused:UNUSED_PAD src0_sel:BYTE_3 src1_sel:DWORD
                                        ; implicit-def: $vgpr0
                                        ; kill: killed $vgpr0
	s_and_saveexec_b64 s[28:29], vcc
	s_xor_b64 s[34:35], exec, s[28:29]
	s_cbranch_execz .LBB6_11934
; %bb.11925:                            ;   in Loop: Header=BB6_10567 Depth=3
	v_mov_b32_e32 v0, 0
	v_cmp_ne_u32_e32 vcc, 0, v8
	buffer_store_dword v0, off, s[0:3], s33 offset:104 ; 4-byte Folded Spill
	s_and_saveexec_b64 s[36:37], vcc
	s_cbranch_execz .LBB6_11933
; %bb.11926:                            ;   in Loop: Header=BB6_10567 Depth=3
	v_bfe_u32 v15, v8, 23, 8
	v_cmp_gt_u32_e64 s[28:29], s97, v15
	v_sub_u32_e32 v1, 0x79, v15
	v_and_b32_e32 v0, 0x7fffff, v8
	v_cmp_eq_u32_e32 vcc, 0, v15
	v_cndmask_b32_e64 v1, 0, v1, s[28:29]
	v_mov_b32_e32 v9, 0x78
	v_or_b32_e32 v8, 0x800000, v0
	v_cndmask_b32_e32 v16, v1, v9, vcc
	v_cndmask_b32_e32 v8, v8, v0, vcc
	v_add_u32_e32 v0, 20, v16
	v_lshlrev_b64 v[12:13], v0, -1
	v_mov_b32_e32 v9, v51
	v_add_u32_e32 v0, 19, v16
	v_bfi_b32 v12, v12, 0, v8
	v_lshlrev_b64 v[17:18], v0, 1
	v_lshrrev_b64 v[8:9], v16, v[8:9]
	v_bfi_b32 v13, v13, 0, 0
	v_cmp_eq_u64_e64 s[28:29], v[12:13], v[17:18]
	v_mov_b32_e32 v13, v9
	v_mov_b32_e32 v12, v8
	s_and_saveexec_b64 s[38:39], s[28:29]
; %bb.11927:                            ;   in Loop: Header=BB6_10567 Depth=3
	v_bfe_u32 v0, v8, 20, 1
	v_add_co_u32_e64 v0, s[28:29], v8, v0
	v_add_co_u32_e64 v12, s[28:29], -1, v0
; %bb.11928:                            ;   in Loop: Header=BB6_10567 Depth=3
	s_or_b64 exec, exec, s[38:39]
	v_add_u32_e32 v0, 0xffffff81, v15
	v_mov_b32_e32 v1, 0xffffff82
	v_cndmask_b32_e32 v0, v0, v1, vcc
	v_lshrrev_b32_e32 v1, 23, v8
	v_add3_u32 v15, v16, v0, v1
	v_add_u32_e32 v13, 6, v15
	v_and_b32_e32 v0, 0xfffff, v12
	v_add_u32_e32 v8, v0, v8
	v_mov_b32_e32 v9, v51
	v_cmp_ne_u32_e32 vcc, 0, v13
                                        ; implicit-def: $vgpr12
	s_and_saveexec_b64 s[28:29], vcc
	s_xor_b64 s[28:29], exec, s[28:29]
; %bb.11929:                            ;   in Loop: Header=BB6_10567 Depth=3
	v_cmp_lt_u64_e32 vcc, s[88:89], v[8:9]
	v_add_u32_e32 v0, 7, v15
	v_cndmask_b32_e32 v12, v13, v0, vcc
	v_cndmask_b32_e64 v0, 0, 1, vcc
	v_lshrrev_b64 v[8:9], v0, v[8:9]
; %bb.11930:                            ;   in Loop: Header=BB6_10567 Depth=3
	s_andn2_saveexec_b64 s[28:29], s[28:29]
; %bb.11931:                            ;   in Loop: Header=BB6_10567 Depth=3
	v_bfe_u32 v12, v8, 23, 1
; %bb.11932:                            ;   in Loop: Header=BB6_10567 Depth=3
	s_or_b64 exec, exec, s[28:29]
	v_lshrrev_b64 v[8:9], 20, v[8:9]
	v_cmp_gt_i32_e32 vcc, 16, v12
	v_cndmask_b32_e32 v9, 0, v9, vcc
	v_cndmask_b32_e32 v8, 7, v8, vcc
	v_min_i32_e32 v0, 15, v12
	v_cmp_eq_u64_e64 s[28:29], 0, v[8:9]
	v_lshlrev_b32_e32 v0, 3, v0
	v_cmp_eq_u32_e32 vcc, 0, v12
	v_and_b32_e32 v0, 0xf8, v0
	v_and_or_b32 v0, v8, 7, v0
	s_and_b64 s[28:29], vcc, s[28:29]
	v_cndmask_b32_e64 v0, v0, 0, s[28:29]
	v_or_b32_e32 v0, v0, v14
	buffer_store_dword v0, off, s[0:3], s33 offset:104 ; 4-byte Folded Spill
.LBB6_11933:                            ;   in Loop: Header=BB6_10567 Depth=3
	s_or_b64 exec, exec, s[36:37]
                                        ; implicit-def: $vgpr14
.LBB6_11934:                            ;   in Loop: Header=BB6_10567 Depth=3
	s_andn2_saveexec_b64 s[28:29], s[34:35]
	s_cbranch_execz .LBB6_11936
; %bb.11935:                            ;   in Loop: Header=BB6_10567 Depth=3
	v_or_b32_e32 v0, 0x7e, v14
	buffer_store_dword v0, off, s[0:3], s33 offset:104 ; 4-byte Folded Spill
.LBB6_11936:                            ;   in Loop: Header=BB6_10567 Depth=3
	s_or_b64 exec, exec, s[28:29]
                                        ; implicit-def: $vgpr8
.LBB6_11937:                            ;   in Loop: Header=BB6_10567 Depth=3
	s_andn2_saveexec_b64 s[28:29], s[30:31]
	s_cbranch_execz .LBB6_11939
; %bb.11938:                            ;   in Loop: Header=BB6_10567 Depth=3
	v_or_b32_sdwa v0, v8, s86 dst_sel:DWORD dst_unused:UNUSED_PAD src0_sel:BYTE_3 src1_sel:DWORD
	buffer_store_dword v0, off, s[0:3], s33 offset:104 ; 4-byte Folded Spill
.LBB6_11939:                            ;   in Loop: Header=BB6_10567 Depth=3
	s_or_b64 exec, exec, s[28:29]
	v_lshrrev_b32_e32 v8, 16, v11
	v_cmp_ne_u16_sdwa vcc, v8, v51 src0_sel:BYTE_0 src1_sel:DWORD
	v_mov_b32_e32 v9, 0
	s_and_saveexec_b64 s[28:29], vcc
	s_cbranch_execz .LBB6_11945
; %bb.11940:                            ;   in Loop: Header=BB6_10567 Depth=3
	v_cmp_ne_u16_sdwa vcc, v8, s96 src0_sel:BYTE_0 src1_sel:DWORD
	v_bfrev_b32_e32 v9, 1
	s_and_saveexec_b64 s[30:31], vcc
	s_cbranch_execz .LBB6_11944
; %bb.11941:                            ;   in Loop: Header=BB6_10567 Depth=3
	v_bfe_u32 v12, v11, 16, 7
	v_cmp_ne_u32_e32 vcc, s86, v12
	v_mov_b32_e32 v9, 0x7f800001
	s_and_saveexec_b64 s[34:35], vcc
	s_cbranch_execz .LBB6_11943
; %bb.11942:                            ;   in Loop: Header=BB6_10567 Depth=3
	v_and_b32_e32 v0, 7, v8
	v_ffbh_u32_e32 v9, v0
	v_min_u32_e32 v9, 32, v9
	v_lshrrev_b32_e32 v1, 3, v12
	v_cmp_gt_u32_e32 vcc, 8, v12
	v_subrev_u32_e32 v12, 28, v9
	v_lshlrev_b64 v[12:13], v12, v[8:9]
	v_sub_u32_e32 v9, 29, v9
	v_and_b32_e32 v12, 7, v12
	v_cndmask_b32_e32 v1, v1, v9, vcc
	v_cndmask_b32_e32 v0, v0, v12, vcc
	v_lshlrev_b32_e32 v8, 24, v8
	v_bfrev_b32_e32 v9, 60
	v_lshlrev_b32_e32 v0, 20, v0
	v_and_b32_e32 v8, 0x80000000, v8
	v_lshl_add_u32 v1, v1, 23, v9
	v_or3_b32 v9, v8, v1, v0
.LBB6_11943:                            ;   in Loop: Header=BB6_10567 Depth=3
	s_or_b64 exec, exec, s[34:35]
.LBB6_11944:                            ;   in Loop: Header=BB6_10567 Depth=3
	s_or_b64 exec, exec, s[30:31]
.LBB6_11945:                            ;   in Loop: Header=BB6_10567 Depth=3
	s_or_b64 exec, exec, s[28:29]
	v_mul_f32_e32 v8, v5, v9
	v_and_b32_e32 v12, 0x7f800000, v8
	v_mov_b32_e32 v13, v51
	v_cmp_ne_u64_e32 vcc, s[76:77], v[12:13]
                                        ; implicit-def: $vgpr0
                                        ; kill: killed $vgpr0
	s_and_saveexec_b64 s[28:29], vcc
	s_xor_b64 s[30:31], exec, s[28:29]
	s_cbranch_execz .LBB6_11959
; %bb.11946:                            ;   in Loop: Header=BB6_10567 Depth=3
	v_and_b32_e32 v12, 0x7fffffff, v8
	v_mov_b32_e32 v13, v51
	v_cmp_gt_u64_e32 vcc, s[78:79], v[12:13]
	v_and_b32_sdwa v14, v8, s96 dst_sel:DWORD dst_unused:UNUSED_PAD src0_sel:BYTE_3 src1_sel:DWORD
                                        ; implicit-def: $vgpr0
                                        ; kill: killed $vgpr0
	s_and_saveexec_b64 s[28:29], vcc
	s_xor_b64 s[34:35], exec, s[28:29]
	s_cbranch_execz .LBB6_11956
; %bb.11947:                            ;   in Loop: Header=BB6_10567 Depth=3
	v_mov_b32_e32 v0, 0
	v_cmp_ne_u32_e32 vcc, 0, v8
	buffer_store_dword v0, off, s[0:3], s33 offset:116 ; 4-byte Folded Spill
	s_and_saveexec_b64 s[36:37], vcc
	s_cbranch_execz .LBB6_11955
; %bb.11948:                            ;   in Loop: Header=BB6_10567 Depth=3
	v_bfe_u32 v15, v8, 23, 8
	v_cmp_gt_u32_e64 s[28:29], s97, v15
	v_sub_u32_e32 v1, 0x79, v15
	v_and_b32_e32 v0, 0x7fffff, v8
	v_cmp_eq_u32_e32 vcc, 0, v15
	v_cndmask_b32_e64 v1, 0, v1, s[28:29]
	v_mov_b32_e32 v9, 0x78
	v_or_b32_e32 v8, 0x800000, v0
	v_cndmask_b32_e32 v16, v1, v9, vcc
	v_cndmask_b32_e32 v8, v8, v0, vcc
	v_add_u32_e32 v0, 20, v16
	v_lshlrev_b64 v[12:13], v0, -1
	v_mov_b32_e32 v9, v51
	v_add_u32_e32 v0, 19, v16
	v_bfi_b32 v12, v12, 0, v8
	v_lshlrev_b64 v[17:18], v0, 1
	v_lshrrev_b64 v[8:9], v16, v[8:9]
	v_bfi_b32 v13, v13, 0, 0
	v_cmp_eq_u64_e64 s[28:29], v[12:13], v[17:18]
	v_mov_b32_e32 v13, v9
	v_mov_b32_e32 v12, v8
	s_and_saveexec_b64 s[38:39], s[28:29]
; %bb.11949:                            ;   in Loop: Header=BB6_10567 Depth=3
	v_bfe_u32 v0, v8, 20, 1
	v_add_co_u32_e64 v0, s[28:29], v8, v0
	v_add_co_u32_e64 v12, s[28:29], -1, v0
; %bb.11950:                            ;   in Loop: Header=BB6_10567 Depth=3
	s_or_b64 exec, exec, s[38:39]
	v_add_u32_e32 v0, 0xffffff81, v15
	v_mov_b32_e32 v1, 0xffffff82
	v_cndmask_b32_e32 v0, v0, v1, vcc
	v_lshrrev_b32_e32 v1, 23, v8
	v_add3_u32 v15, v16, v0, v1
	v_add_u32_e32 v13, 6, v15
	v_and_b32_e32 v0, 0xfffff, v12
	v_add_u32_e32 v8, v0, v8
	v_mov_b32_e32 v9, v51
	v_cmp_ne_u32_e32 vcc, 0, v13
                                        ; implicit-def: $vgpr12
	s_and_saveexec_b64 s[28:29], vcc
	s_xor_b64 s[28:29], exec, s[28:29]
; %bb.11951:                            ;   in Loop: Header=BB6_10567 Depth=3
	v_cmp_lt_u64_e32 vcc, s[88:89], v[8:9]
	v_add_u32_e32 v0, 7, v15
	v_cndmask_b32_e32 v12, v13, v0, vcc
	v_cndmask_b32_e64 v0, 0, 1, vcc
	v_lshrrev_b64 v[8:9], v0, v[8:9]
; %bb.11952:                            ;   in Loop: Header=BB6_10567 Depth=3
	s_andn2_saveexec_b64 s[28:29], s[28:29]
; %bb.11953:                            ;   in Loop: Header=BB6_10567 Depth=3
	v_bfe_u32 v12, v8, 23, 1
; %bb.11954:                            ;   in Loop: Header=BB6_10567 Depth=3
	s_or_b64 exec, exec, s[28:29]
	v_lshrrev_b64 v[8:9], 20, v[8:9]
	v_cmp_gt_i32_e32 vcc, 16, v12
	v_cndmask_b32_e32 v9, 0, v9, vcc
	v_cndmask_b32_e32 v8, 7, v8, vcc
	v_min_i32_e32 v0, 15, v12
	v_cmp_eq_u64_e64 s[28:29], 0, v[8:9]
	v_lshlrev_b32_e32 v0, 3, v0
	v_cmp_eq_u32_e32 vcc, 0, v12
	v_and_b32_e32 v0, 0xf8, v0
	v_and_or_b32 v0, v8, 7, v0
	s_and_b64 s[28:29], vcc, s[28:29]
	v_cndmask_b32_e64 v0, v0, 0, s[28:29]
	v_or_b32_e32 v0, v0, v14
	buffer_store_dword v0, off, s[0:3], s33 offset:116 ; 4-byte Folded Spill
.LBB6_11955:                            ;   in Loop: Header=BB6_10567 Depth=3
	s_or_b64 exec, exec, s[36:37]
                                        ; implicit-def: $vgpr14
.LBB6_11956:                            ;   in Loop: Header=BB6_10567 Depth=3
	s_andn2_saveexec_b64 s[28:29], s[34:35]
	s_cbranch_execz .LBB6_11958
; %bb.11957:                            ;   in Loop: Header=BB6_10567 Depth=3
	v_or_b32_e32 v0, 0x7e, v14
	buffer_store_dword v0, off, s[0:3], s33 offset:116 ; 4-byte Folded Spill
.LBB6_11958:                            ;   in Loop: Header=BB6_10567 Depth=3
	s_or_b64 exec, exec, s[28:29]
                                        ; implicit-def: $vgpr8
.LBB6_11959:                            ;   in Loop: Header=BB6_10567 Depth=3
	s_andn2_saveexec_b64 s[28:29], s[30:31]
	s_cbranch_execz .LBB6_11961
; %bb.11960:                            ;   in Loop: Header=BB6_10567 Depth=3
	v_or_b32_sdwa v0, v8, s86 dst_sel:DWORD dst_unused:UNUSED_PAD src0_sel:BYTE_3 src1_sel:DWORD
	buffer_store_dword v0, off, s[0:3], s33 offset:116 ; 4-byte Folded Spill
.LBB6_11961:                            ;   in Loop: Header=BB6_10567 Depth=3
	s_or_b64 exec, exec, s[28:29]
	v_cmp_lt_u64_e32 vcc, s[56:57], v[10:11]
	v_mov_b32_e32 v9, 0
	s_and_saveexec_b64 s[28:29], vcc
	s_cbranch_execz .LBB6_11967
; %bb.11962:                            ;   in Loop: Header=BB6_10567 Depth=3
	v_lshrrev_b32_e32 v8, 24, v11
	v_cmp_ne_u32_e32 vcc, s96, v8
	v_bfrev_b32_e32 v9, 1
	s_and_saveexec_b64 s[30:31], vcc
	s_cbranch_execz .LBB6_11966
; %bb.11963:                            ;   in Loop: Header=BB6_10567 Depth=3
	v_bfe_u32 v10, v11, 24, 7
	v_cmp_ne_u32_e32 vcc, s86, v10
	v_mov_b32_e32 v9, 0x7f800001
	s_and_saveexec_b64 s[34:35], vcc
	s_cbranch_execz .LBB6_11965
; %bb.11964:                            ;   in Loop: Header=BB6_10567 Depth=3
	v_and_b32_e32 v0, 7, v8
	v_ffbh_u32_e32 v9, v0
	v_min_u32_e32 v11, 32, v9
	v_subrev_u32_e32 v9, 28, v11
	v_lshrrev_b32_e32 v1, 3, v10
	v_cmp_gt_u32_e32 vcc, 8, v10
	v_lshlrev_b64 v[9:10], v9, v[8:9]
	v_sub_u32_e32 v10, 29, v11
	v_and_b32_e32 v9, 7, v9
	v_cndmask_b32_e32 v1, v1, v10, vcc
	v_cndmask_b32_e32 v0, v0, v9, vcc
	v_lshlrev_b32_e32 v8, 24, v8
	v_bfrev_b32_e32 v9, 60
	v_lshlrev_b32_e32 v0, 20, v0
	v_and_b32_e32 v8, 0x80000000, v8
	v_lshl_add_u32 v1, v1, 23, v9
	v_or3_b32 v9, v8, v1, v0
.LBB6_11965:                            ;   in Loop: Header=BB6_10567 Depth=3
	s_or_b64 exec, exec, s[34:35]
.LBB6_11966:                            ;   in Loop: Header=BB6_10567 Depth=3
	s_or_b64 exec, exec, s[30:31]
.LBB6_11967:                            ;   in Loop: Header=BB6_10567 Depth=3
	s_or_b64 exec, exec, s[28:29]
	v_mul_f32_e32 v8, v5, v9
	v_and_b32_e32 v9, 0x7f800000, v8
	v_mov_b32_e32 v10, v51
	v_cmp_ne_u64_e32 vcc, s[76:77], v[9:10]
                                        ; implicit-def: $vgpr0
                                        ; kill: killed $vgpr0
	s_and_saveexec_b64 s[28:29], vcc
	s_xor_b64 s[30:31], exec, s[28:29]
	s_cbranch_execz .LBB6_11981
; %bb.11968:                            ;   in Loop: Header=BB6_10567 Depth=3
	v_and_b32_e32 v9, 0x7fffffff, v8
	v_mov_b32_e32 v10, v51
	v_cmp_gt_u64_e32 vcc, s[78:79], v[9:10]
	v_and_b32_sdwa v5, v8, s96 dst_sel:DWORD dst_unused:UNUSED_PAD src0_sel:BYTE_3 src1_sel:DWORD
                                        ; implicit-def: $vgpr0
                                        ; kill: killed $vgpr0
	s_and_saveexec_b64 s[28:29], vcc
	s_xor_b64 s[34:35], exec, s[28:29]
	s_cbranch_execz .LBB6_11978
; %bb.11969:                            ;   in Loop: Header=BB6_10567 Depth=3
	v_mov_b32_e32 v0, 0
	v_cmp_ne_u32_e32 vcc, 0, v8
	buffer_store_dword v0, off, s[0:3], s33 offset:132 ; 4-byte Folded Spill
	s_and_saveexec_b64 s[36:37], vcc
	s_cbranch_execz .LBB6_11977
; %bb.11970:                            ;   in Loop: Header=BB6_10567 Depth=3
	v_bfe_u32 v11, v8, 23, 8
	v_cmp_gt_u32_e64 s[28:29], s97, v11
	v_sub_u32_e32 v1, 0x79, v11
	v_and_b32_e32 v0, 0x7fffff, v8
	v_cmp_eq_u32_e32 vcc, 0, v11
	v_cndmask_b32_e64 v1, 0, v1, s[28:29]
	v_mov_b32_e32 v9, 0x78
	v_or_b32_e32 v8, 0x800000, v0
	v_cndmask_b32_e32 v12, v1, v9, vcc
	v_cndmask_b32_e32 v8, v8, v0, vcc
	v_add_u32_e32 v0, 20, v12
	v_lshlrev_b64 v[13:14], v0, -1
	v_mov_b32_e32 v9, v51
	v_add_u32_e32 v0, 19, v12
	v_bfi_b32 v13, v13, 0, v8
	v_lshlrev_b64 v[15:16], v0, 1
	v_lshrrev_b64 v[8:9], v12, v[8:9]
	v_bfi_b32 v14, v14, 0, 0
	v_cmp_eq_u64_e64 s[28:29], v[13:14], v[15:16]
	v_mov_b32_e32 v10, v9
	v_mov_b32_e32 v9, v8
	s_and_saveexec_b64 s[38:39], s[28:29]
; %bb.11971:                            ;   in Loop: Header=BB6_10567 Depth=3
	v_bfe_u32 v0, v8, 20, 1
	v_add_co_u32_e64 v0, s[28:29], v8, v0
	v_add_co_u32_e64 v9, s[28:29], -1, v0
; %bb.11972:                            ;   in Loop: Header=BB6_10567 Depth=3
	s_or_b64 exec, exec, s[38:39]
	v_add_u32_e32 v0, 0xffffff81, v11
	v_mov_b32_e32 v1, 0xffffff82
	v_cndmask_b32_e32 v0, v0, v1, vcc
	v_lshrrev_b32_e32 v1, 23, v8
	v_add3_u32 v12, v12, v0, v1
	v_add_u32_e32 v11, 6, v12
	v_and_b32_e32 v0, 0xfffff, v9
	v_add_u32_e32 v8, v0, v8
	v_mov_b32_e32 v9, v51
	v_cmp_ne_u32_e32 vcc, 0, v11
                                        ; implicit-def: $vgpr10
	s_and_saveexec_b64 s[28:29], vcc
	s_xor_b64 s[28:29], exec, s[28:29]
; %bb.11973:                            ;   in Loop: Header=BB6_10567 Depth=3
	v_cmp_lt_u64_e32 vcc, s[88:89], v[8:9]
	v_add_u32_e32 v0, 7, v12
	v_cndmask_b32_e32 v10, v11, v0, vcc
	v_cndmask_b32_e64 v0, 0, 1, vcc
	v_lshrrev_b64 v[8:9], v0, v[8:9]
; %bb.11974:                            ;   in Loop: Header=BB6_10567 Depth=3
	s_andn2_saveexec_b64 s[28:29], s[28:29]
; %bb.11975:                            ;   in Loop: Header=BB6_10567 Depth=3
	v_bfe_u32 v10, v8, 23, 1
; %bb.11976:                            ;   in Loop: Header=BB6_10567 Depth=3
	s_or_b64 exec, exec, s[28:29]
	v_lshrrev_b64 v[8:9], 20, v[8:9]
	v_cmp_gt_i32_e32 vcc, 16, v10
	v_cndmask_b32_e32 v9, 0, v9, vcc
	v_cndmask_b32_e32 v8, 7, v8, vcc
	v_min_i32_e32 v0, 15, v10
	v_cmp_eq_u64_e64 s[28:29], 0, v[8:9]
	v_lshlrev_b32_e32 v0, 3, v0
	v_cmp_eq_u32_e32 vcc, 0, v10
	v_and_b32_e32 v0, 0xf8, v0
	v_and_or_b32 v0, v8, 7, v0
	s_and_b64 s[28:29], vcc, s[28:29]
	v_cndmask_b32_e64 v0, v0, 0, s[28:29]
	v_or_b32_e32 v0, v0, v5
	buffer_store_dword v0, off, s[0:3], s33 offset:132 ; 4-byte Folded Spill
.LBB6_11977:                            ;   in Loop: Header=BB6_10567 Depth=3
	s_or_b64 exec, exec, s[36:37]
                                        ; implicit-def: $vgpr5
.LBB6_11978:                            ;   in Loop: Header=BB6_10567 Depth=3
	s_andn2_saveexec_b64 s[28:29], s[34:35]
	s_cbranch_execz .LBB6_11980
; %bb.11979:                            ;   in Loop: Header=BB6_10567 Depth=3
	v_or_b32_e32 v0, 0x7e, v5
	buffer_store_dword v0, off, s[0:3], s33 offset:132 ; 4-byte Folded Spill
.LBB6_11980:                            ;   in Loop: Header=BB6_10567 Depth=3
	s_or_b64 exec, exec, s[28:29]
                                        ; implicit-def: $vgpr8
.LBB6_11981:                            ;   in Loop: Header=BB6_10567 Depth=3
	s_andn2_saveexec_b64 s[28:29], s[30:31]
	s_cbranch_execz .LBB6_11983
; %bb.11982:                            ;   in Loop: Header=BB6_10567 Depth=3
	v_or_b32_sdwa v0, v8, s86 dst_sel:DWORD dst_unused:UNUSED_PAD src0_sel:BYTE_3 src1_sel:DWORD
	buffer_store_dword v0, off, s[0:3], s33 offset:132 ; 4-byte Folded Spill
.LBB6_11983:                            ;   in Loop: Header=BB6_10567 Depth=3
	s_or_b64 exec, exec, s[28:29]
	global_load_dwordx4 v[20:23], v[26:27], off glc slc
	global_load_dwordx4 v[16:19], v[26:27], off offset:1024 glc slc
	global_load_dwordx4 v[12:15], v[26:27], off offset:2048 glc slc
	global_load_dwordx4 v[8:11], v[26:27], off offset:3072 glc slc
	v_lshl_or_b32 v37, v24, 8, v4
	v_lshlrev_b32_e32 v0, 16, v25
	v_lshlrev_b32_e32 v1, 24, v52
	v_or3_b32 v24, v0, v1, v37
	v_mov_b32_e32 v25, v51
	v_cmp_ne_u32_e32 vcc, 0, v4
	v_mov_b32_e32 v5, 0
	v_mov_b32_e32 v52, 0
	s_and_saveexec_b64 s[28:29], vcc
	s_cbranch_execz .LBB6_11989
; %bb.11984:                            ;   in Loop: Header=BB6_10567 Depth=3
	v_cmp_ne_u32_e32 vcc, s96, v4
	v_bfrev_b32_e32 v52, 1
	s_and_saveexec_b64 s[30:31], vcc
	s_cbranch_execz .LBB6_11988
; %bb.11985:                            ;   in Loop: Header=BB6_10567 Depth=3
	v_and_b32_e32 v38, 0x7f, v4
	v_cmp_ne_u32_e32 vcc, s86, v38
	v_mov_b32_e32 v52, 0x7f800001
	s_and_saveexec_b64 s[34:35], vcc
	s_cbranch_execz .LBB6_11987
; %bb.11986:                            ;   in Loop: Header=BB6_10567 Depth=3
	v_and_b32_e32 v0, 7, v4
	v_ffbh_u32_e32 v0, v0
	v_min_u32_e32 v0, 32, v0
	v_lshrrev_b32_e32 v1, 3, v38
	v_cmp_gt_u32_e32 vcc, 8, v38
	v_subrev_u32_e32 v4, 28, v0
	v_sub_u32_e32 v0, 29, v0
	v_cndmask_b32_e32 v0, v1, v0, vcc
	v_cndmask_b32_e32 v1, 0, v4, vcc
	v_lshlrev_b64 v[38:39], v1, v[24:25]
	v_lshlrev_b32_e32 v4, 24, v24
	v_lshlrev_b32_e32 v1, 20, v38
	v_bfrev_b32_e32 v25, 60
	v_and_b32_e32 v1, 0x700000, v1
	v_and_b32_e32 v4, 0x80000000, v4
	v_lshl_add_u32 v0, v0, 23, v25
	v_or3_b32 v52, v4, v0, v1
.LBB6_11987:                            ;   in Loop: Header=BB6_10567 Depth=3
	s_or_b64 exec, exec, s[34:35]
.LBB6_11988:                            ;   in Loop: Header=BB6_10567 Depth=3
	s_or_b64 exec, exec, s[30:31]
.LBB6_11989:                            ;   in Loop: Header=BB6_10567 Depth=3
	s_or_b64 exec, exec, s[28:29]
	s_waitcnt vmcnt(3)
	v_cmp_ne_u16_sdwa vcc, v20, v51 src0_sel:BYTE_0 src1_sel:DWORD
	s_and_saveexec_b64 s[28:29], vcc
	s_cbranch_execz .LBB6_11995
; %bb.11990:                            ;   in Loop: Header=BB6_10567 Depth=3
	v_cmp_ne_u16_sdwa vcc, v20, s96 src0_sel:BYTE_0 src1_sel:DWORD
	v_bfrev_b32_e32 v5, 1
	s_and_saveexec_b64 s[30:31], vcc
	s_cbranch_execz .LBB6_11994
; %bb.11991:                            ;   in Loop: Header=BB6_10567 Depth=3
	v_and_b32_e32 v4, 0x7f, v20
	v_cmp_ne_u32_e32 vcc, s86, v4
	v_mov_b32_e32 v5, 0x7f800001
	s_and_saveexec_b64 s[34:35], vcc
	s_cbranch_execz .LBB6_11993
; %bb.11992:                            ;   in Loop: Header=BB6_10567 Depth=3
	v_and_b32_e32 v0, 7, v20
	v_ffbh_u32_e32 v0, v0
	v_min_u32_e32 v0, 32, v0
	v_lshrrev_b32_e32 v1, 3, v4
	v_cmp_gt_u32_e32 vcc, 8, v4
	v_subrev_u32_e32 v4, 28, v0
	v_sub_u32_e32 v0, 29, v0
	v_cndmask_b32_e32 v0, v1, v0, vcc
	v_cndmask_b32_e32 v1, 0, v4, vcc
	v_lshlrev_b64 v[4:5], v1, v[20:21]
	v_bfrev_b32_e32 v5, 60
	v_lshlrev_b32_e32 v1, 20, v4
	v_lshlrev_b32_e32 v4, 24, v20
	v_and_b32_e32 v1, 0x700000, v1
	v_and_b32_e32 v4, 0x80000000, v4
	v_lshl_add_u32 v0, v0, 23, v5
	v_or3_b32 v5, v4, v0, v1
.LBB6_11993:                            ;   in Loop: Header=BB6_10567 Depth=3
	s_or_b64 exec, exec, s[34:35]
.LBB6_11994:                            ;   in Loop: Header=BB6_10567 Depth=3
	s_or_b64 exec, exec, s[30:31]
.LBB6_11995:                            ;   in Loop: Header=BB6_10567 Depth=3
	s_or_b64 exec, exec, s[28:29]
	v_add_f32_e32 v4, v52, v5
	v_and_b32_e32 v38, 0x7f800000, v4
	v_mov_b32_e32 v39, v51
	v_cmp_ne_u64_e32 vcc, s[76:77], v[38:39]
                                        ; implicit-def: $vgpr0
                                        ; kill: killed $vgpr0
	s_and_saveexec_b64 s[28:29], vcc
	s_xor_b64 s[30:31], exec, s[28:29]
	s_cbranch_execz .LBB6_12009
; %bb.11996:                            ;   in Loop: Header=BB6_10567 Depth=3
	v_and_b32_e32 v38, 0x7fffffff, v4
	v_mov_b32_e32 v39, v51
	v_cmp_gt_u64_e32 vcc, s[78:79], v[38:39]
	v_and_b32_sdwa v25, v4, s96 dst_sel:DWORD dst_unused:UNUSED_PAD src0_sel:BYTE_3 src1_sel:DWORD
                                        ; implicit-def: $vgpr0
                                        ; kill: killed $vgpr0
	s_and_saveexec_b64 s[28:29], vcc
	s_xor_b64 s[34:35], exec, s[28:29]
	s_cbranch_execz .LBB6_12006
; %bb.11997:                            ;   in Loop: Header=BB6_10567 Depth=3
	v_mov_b32_e32 v0, 0
	v_cmp_ne_u32_e32 vcc, 0, v4
	buffer_store_dword v0, off, s[0:3], s33 offset:96 ; 4-byte Folded Spill
	s_and_saveexec_b64 s[36:37], vcc
	s_cbranch_execz .LBB6_12005
; %bb.11998:                            ;   in Loop: Header=BB6_10567 Depth=3
	v_bfe_u32 v38, v4, 23, 8
	v_cmp_gt_u32_e64 s[28:29], s97, v38
	v_sub_u32_e32 v1, 0x79, v38
	v_and_b32_e32 v0, 0x7fffff, v4
	v_cmp_eq_u32_e32 vcc, 0, v38
	v_cndmask_b32_e64 v1, 0, v1, s[28:29]
	v_mov_b32_e32 v5, 0x78
	v_or_b32_e32 v4, 0x800000, v0
	v_cndmask_b32_e32 v39, v1, v5, vcc
	v_cndmask_b32_e32 v4, v4, v0, vcc
	v_add_u32_e32 v0, 20, v39
	v_lshlrev_b64 v[52:53], v0, -1
	v_add_u32_e32 v0, 19, v39
	v_lshlrev_b64 v[0:1], v0, 1
	v_mov_b32_e32 v5, v51
	v_bfi_b32 v53, v53, 0, 0
	v_bfi_b32 v52, v52, 0, v4
	v_cmp_eq_u64_e64 s[28:29], v[52:53], v[0:1]
	v_lshrrev_b64 v[52:53], v39, v[4:5]
	v_mov_b32_e32 v4, v52
	v_mov_b32_e32 v5, v53
	s_and_saveexec_b64 s[38:39], s[28:29]
; %bb.11999:                            ;   in Loop: Header=BB6_10567 Depth=3
	v_bfe_u32 v0, v52, 20, 1
	v_add_co_u32_e64 v0, s[28:29], v52, v0
	v_add_co_u32_e64 v4, s[28:29], -1, v0
; %bb.12000:                            ;   in Loop: Header=BB6_10567 Depth=3
	s_or_b64 exec, exec, s[38:39]
	v_add_u32_e32 v0, 0xffffff81, v38
	v_mov_b32_e32 v1, 0xffffff82
	v_cndmask_b32_e32 v0, v0, v1, vcc
	v_lshrrev_b32_e32 v1, 23, v52
	v_add3_u32 v38, v39, v0, v1
	v_add_u32_e32 v5, 6, v38
	v_and_b32_e32 v0, 0xfffff, v4
	v_add_u32_e32 v52, v0, v52
	v_mov_b32_e32 v53, v51
	v_cmp_ne_u32_e32 vcc, 0, v5
                                        ; implicit-def: $vgpr4
	s_and_saveexec_b64 s[28:29], vcc
	s_xor_b64 s[28:29], exec, s[28:29]
; %bb.12001:                            ;   in Loop: Header=BB6_10567 Depth=3
	v_cmp_lt_u64_e32 vcc, s[88:89], v[52:53]
	v_add_u32_e32 v0, 7, v38
	v_cndmask_b32_e32 v4, v5, v0, vcc
	v_cndmask_b32_e64 v0, 0, 1, vcc
	v_lshrrev_b64 v[52:53], v0, v[52:53]
; %bb.12002:                            ;   in Loop: Header=BB6_10567 Depth=3
	s_andn2_saveexec_b64 s[28:29], s[28:29]
; %bb.12003:                            ;   in Loop: Header=BB6_10567 Depth=3
	v_bfe_u32 v4, v52, 23, 1
; %bb.12004:                            ;   in Loop: Header=BB6_10567 Depth=3
	s_or_b64 exec, exec, s[28:29]
	v_lshrrev_b64 v[0:1], 20, v[52:53]
	v_cmp_gt_i32_e32 vcc, 16, v4
	v_cndmask_b32_e32 v1, 0, v1, vcc
	v_cndmask_b32_e32 v0, 7, v0, vcc
	v_cmp_eq_u64_e64 s[28:29], 0, v[0:1]
	v_min_i32_e32 v1, 15, v4
	v_lshlrev_b32_e32 v1, 3, v1
	v_cmp_eq_u32_e32 vcc, 0, v4
	v_and_b32_e32 v1, 0xf8, v1
	v_and_or_b32 v0, v0, 7, v1
	s_and_b64 s[28:29], vcc, s[28:29]
	v_cndmask_b32_e64 v0, v0, 0, s[28:29]
	v_or_b32_e32 v0, v0, v25
	buffer_store_dword v0, off, s[0:3], s33 offset:96 ; 4-byte Folded Spill
.LBB6_12005:                            ;   in Loop: Header=BB6_10567 Depth=3
	s_or_b64 exec, exec, s[36:37]
                                        ; implicit-def: $vgpr25
.LBB6_12006:                            ;   in Loop: Header=BB6_10567 Depth=3
	s_andn2_saveexec_b64 s[28:29], s[34:35]
	s_cbranch_execz .LBB6_12008
; %bb.12007:                            ;   in Loop: Header=BB6_10567 Depth=3
	v_or_b32_e32 v0, 0x7e, v25
	buffer_store_dword v0, off, s[0:3], s33 offset:96 ; 4-byte Folded Spill
.LBB6_12008:                            ;   in Loop: Header=BB6_10567 Depth=3
	s_or_b64 exec, exec, s[28:29]
                                        ; implicit-def: $vgpr4
.LBB6_12009:                            ;   in Loop: Header=BB6_10567 Depth=3
	s_andn2_saveexec_b64 s[28:29], s[30:31]
	s_cbranch_execz .LBB6_12011
; %bb.12010:                            ;   in Loop: Header=BB6_10567 Depth=3
	v_or_b32_sdwa v0, v4, s86 dst_sel:DWORD dst_unused:UNUSED_PAD src0_sel:BYTE_3 src1_sel:DWORD
	buffer_store_dword v0, off, s[0:3], s33 offset:96 ; 4-byte Folded Spill
.LBB6_12011:                            ;   in Loop: Header=BB6_10567 Depth=3
	s_or_b64 exec, exec, s[28:29]
	v_lshrrev_b16_e32 v25, 8, v37
	v_cmp_ne_u16_e32 vcc, 0, v25
	v_mov_b32_e32 v4, 0
	v_mov_b32_e32 v5, 0
	s_and_saveexec_b64 s[28:29], vcc
	s_cbranch_execz .LBB6_12017
; %bb.12012:                            ;   in Loop: Header=BB6_10567 Depth=3
	v_cmp_ne_u16_e32 vcc, s96, v25
	v_bfrev_b32_e32 v5, 1
	s_and_saveexec_b64 s[30:31], vcc
	s_cbranch_execz .LBB6_12016
; %bb.12013:                            ;   in Loop: Header=BB6_10567 Depth=3
	v_and_b32_e32 v38, 0x7f, v25
	v_cmp_ne_u32_e32 vcc, s86, v38
	v_mov_b32_e32 v5, 0x7f800001
	s_and_saveexec_b64 s[34:35], vcc
	s_cbranch_execz .LBB6_12015
; %bb.12014:                            ;   in Loop: Header=BB6_10567 Depth=3
	v_and_b32_e32 v5, 7, v25
	v_ffbh_u32_e32 v0, v5
	v_lshrrev_b32_e32 v39, 3, v38
	v_cmp_gt_u32_e32 vcc, 8, v38
	v_min_u32_e32 v38, 32, v0
	v_subrev_u32_e32 v0, 28, v38
	v_lshlrev_b64 v[0:1], v0, v[25:26]
	v_sub_u32_e32 v1, 29, v38
	v_and_b32_e32 v0, 7, v0
	v_cndmask_b32_e32 v1, v39, v1, vcc
	v_cndmask_b32_e32 v0, v5, v0, vcc
	v_lshlrev_b32_e32 v5, 16, v37
	v_bfrev_b32_e32 v25, 60
	v_lshlrev_b32_e32 v0, 20, v0
	v_and_b32_e32 v5, 0x80000000, v5
	v_lshl_add_u32 v1, v1, 23, v25
	v_or3_b32 v5, v5, v1, v0
.LBB6_12015:                            ;   in Loop: Header=BB6_10567 Depth=3
	s_or_b64 exec, exec, s[34:35]
.LBB6_12016:                            ;   in Loop: Header=BB6_10567 Depth=3
	s_or_b64 exec, exec, s[30:31]
.LBB6_12017:                            ;   in Loop: Header=BB6_10567 Depth=3
	s_or_b64 exec, exec, s[28:29]
	v_lshrrev_b16_e32 v25, 8, v20
	v_cmp_ne_u16_e32 vcc, 0, v25
	s_and_saveexec_b64 s[28:29], vcc
	s_cbranch_execz .LBB6_12023
; %bb.12018:                            ;   in Loop: Header=BB6_10567 Depth=3
	v_cmp_ne_u16_e32 vcc, s96, v25
	v_bfrev_b32_e32 v4, 1
	s_and_saveexec_b64 s[30:31], vcc
	s_cbranch_execz .LBB6_12022
; %bb.12019:                            ;   in Loop: Header=BB6_10567 Depth=3
	v_and_b32_e32 v37, 0x7f, v25
	v_cmp_ne_u32_e32 vcc, s86, v37
	v_mov_b32_e32 v4, 0x7f800001
	s_and_saveexec_b64 s[34:35], vcc
	s_cbranch_execz .LBB6_12021
; %bb.12020:                            ;   in Loop: Header=BB6_10567 Depth=3
	v_and_b32_e32 v4, 7, v25
	v_ffbh_u32_e32 v0, v4
	v_lshrrev_b32_e32 v38, 3, v37
	v_cmp_gt_u32_e32 vcc, 8, v37
	v_min_u32_e32 v37, 32, v0
	v_subrev_u32_e32 v0, 28, v37
	v_lshlrev_b64 v[0:1], v0, v[25:26]
	v_sub_u32_e32 v1, 29, v37
	v_and_b32_e32 v0, 7, v0
	v_cndmask_b32_e32 v1, v38, v1, vcc
	v_cndmask_b32_e32 v0, v4, v0, vcc
	v_lshlrev_b32_e32 v4, 16, v20
	v_bfrev_b32_e32 v25, 60
	v_lshlrev_b32_e32 v0, 20, v0
	v_and_b32_e32 v4, 0x80000000, v4
	v_lshl_add_u32 v1, v1, 23, v25
	v_or3_b32 v4, v4, v1, v0
.LBB6_12021:                            ;   in Loop: Header=BB6_10567 Depth=3
	s_or_b64 exec, exec, s[34:35]
.LBB6_12022:                            ;   in Loop: Header=BB6_10567 Depth=3
	s_or_b64 exec, exec, s[30:31]
.LBB6_12023:                            ;   in Loop: Header=BB6_10567 Depth=3
	s_or_b64 exec, exec, s[28:29]
	v_add_f32_e32 v4, v5, v4
	v_and_b32_e32 v0, 0x7f800000, v4
	v_mov_b32_e32 v1, v51
	v_cmp_ne_u64_e32 vcc, s[76:77], v[0:1]
                                        ; implicit-def: $vgpr0
                                        ; kill: killed $vgpr0
	s_and_saveexec_b64 s[28:29], vcc
	s_xor_b64 s[30:31], exec, s[28:29]
	s_cbranch_execz .LBB6_12037
; %bb.12024:                            ;   in Loop: Header=BB6_10567 Depth=3
	v_and_b32_e32 v0, 0x7fffffff, v4
	v_mov_b32_e32 v1, v51
	v_cmp_gt_u64_e32 vcc, s[78:79], v[0:1]
	v_and_b32_sdwa v25, v4, s96 dst_sel:DWORD dst_unused:UNUSED_PAD src0_sel:BYTE_3 src1_sel:DWORD
                                        ; implicit-def: $vgpr0
                                        ; kill: killed $vgpr0
	s_and_saveexec_b64 s[28:29], vcc
	s_xor_b64 s[34:35], exec, s[28:29]
	s_cbranch_execz .LBB6_12034
; %bb.12025:                            ;   in Loop: Header=BB6_10567 Depth=3
	v_mov_b32_e32 v0, 0
	v_cmp_ne_u32_e32 vcc, 0, v4
	buffer_store_dword v0, off, s[0:3], s33 offset:100 ; 4-byte Folded Spill
	s_and_saveexec_b64 s[36:37], vcc
	s_cbranch_execz .LBB6_12033
; %bb.12026:                            ;   in Loop: Header=BB6_10567 Depth=3
	v_bfe_u32 v37, v4, 23, 8
	v_cmp_gt_u32_e64 s[28:29], s97, v37
	v_sub_u32_e32 v1, 0x79, v37
	v_and_b32_e32 v0, 0x7fffff, v4
	v_cmp_eq_u32_e32 vcc, 0, v37
	v_cndmask_b32_e64 v1, 0, v1, s[28:29]
	v_mov_b32_e32 v5, 0x78
	v_or_b32_e32 v4, 0x800000, v0
	v_cndmask_b32_e32 v38, v1, v5, vcc
	v_cndmask_b32_e32 v0, v4, v0, vcc
	v_add_u32_e32 v4, 20, v38
	v_lshlrev_b64 v[4:5], v4, -1
	v_add_u32_e32 v39, 19, v38
	v_lshlrev_b64 v[52:53], v39, 1
	v_mov_b32_e32 v1, v51
	v_bfi_b32 v5, v5, 0, 0
	v_bfi_b32 v4, v4, 0, v0
	v_cmp_eq_u64_e64 s[28:29], v[4:5], v[52:53]
	v_lshrrev_b64 v[52:53], v38, v[0:1]
	v_mov_b32_e32 v4, v52
	v_mov_b32_e32 v5, v53
	s_and_saveexec_b64 s[38:39], s[28:29]
; %bb.12027:                            ;   in Loop: Header=BB6_10567 Depth=3
	v_bfe_u32 v0, v52, 20, 1
	v_add_co_u32_e64 v0, s[28:29], v52, v0
	v_add_co_u32_e64 v4, s[28:29], -1, v0
; %bb.12028:                            ;   in Loop: Header=BB6_10567 Depth=3
	s_or_b64 exec, exec, s[38:39]
	v_add_u32_e32 v0, 0xffffff81, v37
	v_mov_b32_e32 v1, 0xffffff82
	v_cndmask_b32_e32 v0, v0, v1, vcc
	v_lshrrev_b32_e32 v1, 23, v52
	v_add3_u32 v37, v38, v0, v1
	v_add_u32_e32 v5, 6, v37
	v_and_b32_e32 v0, 0xfffff, v4
	v_add_u32_e32 v52, v0, v52
	v_mov_b32_e32 v53, v51
	v_cmp_ne_u32_e32 vcc, 0, v5
                                        ; implicit-def: $vgpr4
	s_and_saveexec_b64 s[28:29], vcc
	s_xor_b64 s[28:29], exec, s[28:29]
; %bb.12029:                            ;   in Loop: Header=BB6_10567 Depth=3
	v_cmp_lt_u64_e32 vcc, s[88:89], v[52:53]
	v_add_u32_e32 v0, 7, v37
	v_cndmask_b32_e32 v4, v5, v0, vcc
	v_cndmask_b32_e64 v0, 0, 1, vcc
	v_lshrrev_b64 v[52:53], v0, v[52:53]
; %bb.12030:                            ;   in Loop: Header=BB6_10567 Depth=3
	s_andn2_saveexec_b64 s[28:29], s[28:29]
; %bb.12031:                            ;   in Loop: Header=BB6_10567 Depth=3
	v_bfe_u32 v4, v52, 23, 1
; %bb.12032:                            ;   in Loop: Header=BB6_10567 Depth=3
	s_or_b64 exec, exec, s[28:29]
	v_lshrrev_b64 v[0:1], 20, v[52:53]
	v_cmp_gt_i32_e32 vcc, 16, v4
	v_cndmask_b32_e32 v1, 0, v1, vcc
	v_cndmask_b32_e32 v0, 7, v0, vcc
	v_cmp_eq_u64_e64 s[28:29], 0, v[0:1]
	v_min_i32_e32 v1, 15, v4
	v_lshlrev_b32_e32 v1, 3, v1
	v_cmp_eq_u32_e32 vcc, 0, v4
	v_and_b32_e32 v1, 0xf8, v1
	v_and_or_b32 v0, v0, 7, v1
	s_and_b64 s[28:29], vcc, s[28:29]
	v_cndmask_b32_e64 v0, v0, 0, s[28:29]
	v_or_b32_e32 v0, v0, v25
	buffer_store_dword v0, off, s[0:3], s33 offset:100 ; 4-byte Folded Spill
.LBB6_12033:                            ;   in Loop: Header=BB6_10567 Depth=3
	s_or_b64 exec, exec, s[36:37]
                                        ; implicit-def: $vgpr25
.LBB6_12034:                            ;   in Loop: Header=BB6_10567 Depth=3
	s_andn2_saveexec_b64 s[28:29], s[34:35]
	s_cbranch_execz .LBB6_12036
; %bb.12035:                            ;   in Loop: Header=BB6_10567 Depth=3
	v_or_b32_e32 v0, 0x7e, v25
	buffer_store_dword v0, off, s[0:3], s33 offset:100 ; 4-byte Folded Spill
.LBB6_12036:                            ;   in Loop: Header=BB6_10567 Depth=3
	s_or_b64 exec, exec, s[28:29]
                                        ; implicit-def: $vgpr4
.LBB6_12037:                            ;   in Loop: Header=BB6_10567 Depth=3
	s_andn2_saveexec_b64 s[28:29], s[30:31]
	s_cbranch_execz .LBB6_12039
; %bb.12038:                            ;   in Loop: Header=BB6_10567 Depth=3
	v_or_b32_sdwa v0, v4, s86 dst_sel:DWORD dst_unused:UNUSED_PAD src0_sel:BYTE_3 src1_sel:DWORD
	buffer_store_dword v0, off, s[0:3], s33 offset:100 ; 4-byte Folded Spill
.LBB6_12039:                            ;   in Loop: Header=BB6_10567 Depth=3
	s_or_b64 exec, exec, s[28:29]
	v_lshrrev_b32_e32 v25, 16, v24
	v_cmp_ne_u16_sdwa vcc, v25, v51 src0_sel:BYTE_0 src1_sel:DWORD
	v_mov_b32_e32 v4, 0
	v_mov_b32_e32 v5, 0
	s_and_saveexec_b64 s[28:29], vcc
	s_cbranch_execz .LBB6_12045
; %bb.12040:                            ;   in Loop: Header=BB6_10567 Depth=3
	v_cmp_ne_u16_sdwa vcc, v25, s96 src0_sel:BYTE_0 src1_sel:DWORD
	v_bfrev_b32_e32 v5, 1
	s_and_saveexec_b64 s[30:31], vcc
	s_cbranch_execz .LBB6_12044
; %bb.12041:                            ;   in Loop: Header=BB6_10567 Depth=3
	v_bfe_u32 v37, v24, 16, 7
	v_cmp_ne_u32_e32 vcc, s86, v37
	v_mov_b32_e32 v5, 0x7f800001
	s_and_saveexec_b64 s[34:35], vcc
	s_cbranch_execz .LBB6_12043
; %bb.12042:                            ;   in Loop: Header=BB6_10567 Depth=3
	v_and_b32_e32 v5, 7, v25
	v_ffbh_u32_e32 v0, v5
	v_lshrrev_b32_e32 v38, 3, v37
	v_cmp_gt_u32_e32 vcc, 8, v37
	v_min_u32_e32 v37, 32, v0
	v_subrev_u32_e32 v0, 28, v37
	v_lshlrev_b64 v[0:1], v0, v[25:26]
	v_sub_u32_e32 v1, 29, v37
	v_and_b32_e32 v0, 7, v0
	v_cndmask_b32_e32 v1, v38, v1, vcc
	v_cndmask_b32_e32 v0, v5, v0, vcc
	v_lshlrev_b32_e32 v5, 24, v25
	v_bfrev_b32_e32 v25, 60
	v_lshlrev_b32_e32 v0, 20, v0
	v_and_b32_e32 v5, 0x80000000, v5
	v_lshl_add_u32 v1, v1, 23, v25
	v_or3_b32 v5, v5, v1, v0
.LBB6_12043:                            ;   in Loop: Header=BB6_10567 Depth=3
	s_or_b64 exec, exec, s[34:35]
.LBB6_12044:                            ;   in Loop: Header=BB6_10567 Depth=3
	s_or_b64 exec, exec, s[30:31]
.LBB6_12045:                            ;   in Loop: Header=BB6_10567 Depth=3
	s_or_b64 exec, exec, s[28:29]
	v_lshrrev_b32_e32 v25, 16, v20
	v_cmp_ne_u16_sdwa vcc, v25, v51 src0_sel:BYTE_0 src1_sel:DWORD
	s_and_saveexec_b64 s[28:29], vcc
	s_cbranch_execz .LBB6_12051
; %bb.12046:                            ;   in Loop: Header=BB6_10567 Depth=3
	v_cmp_ne_u16_sdwa vcc, v25, s96 src0_sel:BYTE_0 src1_sel:DWORD
	v_bfrev_b32_e32 v4, 1
	s_and_saveexec_b64 s[30:31], vcc
	s_cbranch_execz .LBB6_12050
; %bb.12047:                            ;   in Loop: Header=BB6_10567 Depth=3
	v_bfe_u32 v37, v20, 16, 7
	v_cmp_ne_u32_e32 vcc, s86, v37
	v_mov_b32_e32 v4, 0x7f800001
	s_and_saveexec_b64 s[34:35], vcc
	s_cbranch_execz .LBB6_12049
; %bb.12048:                            ;   in Loop: Header=BB6_10567 Depth=3
	v_and_b32_e32 v4, 7, v25
	v_ffbh_u32_e32 v0, v4
	v_lshrrev_b32_e32 v38, 3, v37
	v_cmp_gt_u32_e32 vcc, 8, v37
	v_min_u32_e32 v37, 32, v0
	v_subrev_u32_e32 v0, 28, v37
	v_lshlrev_b64 v[0:1], v0, v[25:26]
	v_sub_u32_e32 v1, 29, v37
	v_and_b32_e32 v0, 7, v0
	v_cndmask_b32_e32 v1, v38, v1, vcc
	v_cndmask_b32_e32 v0, v4, v0, vcc
	v_lshlrev_b32_e32 v4, 8, v20
	v_bfrev_b32_e32 v25, 60
	v_lshlrev_b32_e32 v0, 20, v0
	v_and_b32_e32 v4, 0x80000000, v4
	v_lshl_add_u32 v1, v1, 23, v25
	v_or3_b32 v4, v4, v1, v0
.LBB6_12049:                            ;   in Loop: Header=BB6_10567 Depth=3
	s_or_b64 exec, exec, s[34:35]
.LBB6_12050:                            ;   in Loop: Header=BB6_10567 Depth=3
	s_or_b64 exec, exec, s[30:31]
.LBB6_12051:                            ;   in Loop: Header=BB6_10567 Depth=3
	s_or_b64 exec, exec, s[28:29]
	v_add_f32_e32 v4, v5, v4
	v_and_b32_e32 v0, 0x7f800000, v4
	v_mov_b32_e32 v1, v51
	v_cmp_ne_u64_e32 vcc, s[76:77], v[0:1]
                                        ; implicit-def: $vgpr0
                                        ; kill: killed $vgpr0
	s_and_saveexec_b64 s[28:29], vcc
	s_xor_b64 s[30:31], exec, s[28:29]
	s_cbranch_execz .LBB6_12065
; %bb.12052:                            ;   in Loop: Header=BB6_10567 Depth=3
	v_and_b32_e32 v0, 0x7fffffff, v4
	v_mov_b32_e32 v1, v51
	v_cmp_gt_u64_e32 vcc, s[78:79], v[0:1]
	v_and_b32_sdwa v25, v4, s96 dst_sel:DWORD dst_unused:UNUSED_PAD src0_sel:BYTE_3 src1_sel:DWORD
                                        ; implicit-def: $vgpr0
                                        ; kill: killed $vgpr0
	s_and_saveexec_b64 s[28:29], vcc
	s_xor_b64 s[34:35], exec, s[28:29]
	s_cbranch_execz .LBB6_12062
; %bb.12053:                            ;   in Loop: Header=BB6_10567 Depth=3
	v_mov_b32_e32 v0, 0
	v_cmp_ne_u32_e32 vcc, 0, v4
	buffer_store_dword v0, off, s[0:3], s33 offset:108 ; 4-byte Folded Spill
	s_and_saveexec_b64 s[36:37], vcc
	s_cbranch_execz .LBB6_12061
; %bb.12054:                            ;   in Loop: Header=BB6_10567 Depth=3
	v_bfe_u32 v37, v4, 23, 8
	v_cmp_gt_u32_e64 s[28:29], s97, v37
	v_sub_u32_e32 v1, 0x79, v37
	v_and_b32_e32 v0, 0x7fffff, v4
	v_cmp_eq_u32_e32 vcc, 0, v37
	v_cndmask_b32_e64 v1, 0, v1, s[28:29]
	v_mov_b32_e32 v5, 0x78
	v_or_b32_e32 v4, 0x800000, v0
	v_cndmask_b32_e32 v38, v1, v5, vcc
	v_cndmask_b32_e32 v0, v4, v0, vcc
	v_add_u32_e32 v4, 20, v38
	v_lshlrev_b64 v[4:5], v4, -1
	v_add_u32_e32 v39, 19, v38
	v_lshlrev_b64 v[52:53], v39, 1
	v_mov_b32_e32 v1, v51
	v_bfi_b32 v5, v5, 0, 0
	v_bfi_b32 v4, v4, 0, v0
	v_cmp_eq_u64_e64 s[28:29], v[4:5], v[52:53]
	v_lshrrev_b64 v[52:53], v38, v[0:1]
	v_mov_b32_e32 v4, v52
	v_mov_b32_e32 v5, v53
	s_and_saveexec_b64 s[38:39], s[28:29]
; %bb.12055:                            ;   in Loop: Header=BB6_10567 Depth=3
	v_bfe_u32 v0, v52, 20, 1
	v_add_co_u32_e64 v0, s[28:29], v52, v0
	v_add_co_u32_e64 v4, s[28:29], -1, v0
; %bb.12056:                            ;   in Loop: Header=BB6_10567 Depth=3
	s_or_b64 exec, exec, s[38:39]
	v_add_u32_e32 v0, 0xffffff81, v37
	v_mov_b32_e32 v1, 0xffffff82
	v_cndmask_b32_e32 v0, v0, v1, vcc
	v_lshrrev_b32_e32 v1, 23, v52
	v_add3_u32 v37, v38, v0, v1
	v_add_u32_e32 v5, 6, v37
	v_and_b32_e32 v0, 0xfffff, v4
	v_add_u32_e32 v52, v0, v52
	v_mov_b32_e32 v53, v51
	v_cmp_ne_u32_e32 vcc, 0, v5
                                        ; implicit-def: $vgpr4
	s_and_saveexec_b64 s[28:29], vcc
	s_xor_b64 s[28:29], exec, s[28:29]
; %bb.12057:                            ;   in Loop: Header=BB6_10567 Depth=3
	v_cmp_lt_u64_e32 vcc, s[88:89], v[52:53]
	v_add_u32_e32 v0, 7, v37
	v_cndmask_b32_e32 v4, v5, v0, vcc
	v_cndmask_b32_e64 v0, 0, 1, vcc
	v_lshrrev_b64 v[52:53], v0, v[52:53]
; %bb.12058:                            ;   in Loop: Header=BB6_10567 Depth=3
	s_andn2_saveexec_b64 s[28:29], s[28:29]
; %bb.12059:                            ;   in Loop: Header=BB6_10567 Depth=3
	v_bfe_u32 v4, v52, 23, 1
; %bb.12060:                            ;   in Loop: Header=BB6_10567 Depth=3
	s_or_b64 exec, exec, s[28:29]
	v_lshrrev_b64 v[0:1], 20, v[52:53]
	v_cmp_gt_i32_e32 vcc, 16, v4
	v_cndmask_b32_e32 v1, 0, v1, vcc
	v_cndmask_b32_e32 v0, 7, v0, vcc
	v_cmp_eq_u64_e64 s[28:29], 0, v[0:1]
	v_min_i32_e32 v1, 15, v4
	v_lshlrev_b32_e32 v1, 3, v1
	v_cmp_eq_u32_e32 vcc, 0, v4
	v_and_b32_e32 v1, 0xf8, v1
	v_and_or_b32 v0, v0, 7, v1
	s_and_b64 s[28:29], vcc, s[28:29]
	v_cndmask_b32_e64 v0, v0, 0, s[28:29]
	v_or_b32_e32 v0, v0, v25
	buffer_store_dword v0, off, s[0:3], s33 offset:108 ; 4-byte Folded Spill
.LBB6_12061:                            ;   in Loop: Header=BB6_10567 Depth=3
	s_or_b64 exec, exec, s[36:37]
                                        ; implicit-def: $vgpr25
.LBB6_12062:                            ;   in Loop: Header=BB6_10567 Depth=3
	s_andn2_saveexec_b64 s[28:29], s[34:35]
	s_cbranch_execz .LBB6_12064
; %bb.12063:                            ;   in Loop: Header=BB6_10567 Depth=3
	v_or_b32_e32 v0, 0x7e, v25
	buffer_store_dword v0, off, s[0:3], s33 offset:108 ; 4-byte Folded Spill
.LBB6_12064:                            ;   in Loop: Header=BB6_10567 Depth=3
	s_or_b64 exec, exec, s[28:29]
                                        ; implicit-def: $vgpr4
.LBB6_12065:                            ;   in Loop: Header=BB6_10567 Depth=3
	s_andn2_saveexec_b64 s[28:29], s[30:31]
	s_cbranch_execz .LBB6_12067
; %bb.12066:                            ;   in Loop: Header=BB6_10567 Depth=3
	v_or_b32_sdwa v0, v4, s86 dst_sel:DWORD dst_unused:UNUSED_PAD src0_sel:BYTE_3 src1_sel:DWORD
	buffer_store_dword v0, off, s[0:3], s33 offset:108 ; 4-byte Folded Spill
.LBB6_12067:                            ;   in Loop: Header=BB6_10567 Depth=3
	s_or_b64 exec, exec, s[28:29]
	v_cmp_lt_u32_e32 vcc, s57, v24
	v_mov_b32_e32 v4, 0
	v_mov_b32_e32 v5, 0
	s_and_saveexec_b64 s[28:29], vcc
	s_cbranch_execz .LBB6_12073
; %bb.12068:                            ;   in Loop: Header=BB6_10567 Depth=3
	v_lshrrev_b32_e32 v25, 24, v24
	v_cmp_ne_u32_sdwa vcc, v24, s96 src0_sel:BYTE_3 src1_sel:DWORD
	v_bfrev_b32_e32 v5, 1
	s_and_saveexec_b64 s[30:31], vcc
	s_cbranch_execz .LBB6_12072
; %bb.12069:                            ;   in Loop: Header=BB6_10567 Depth=3
	v_bfe_u32 v37, v24, 24, 7
	v_cmp_ne_u32_e32 vcc, s86, v37
	v_mov_b32_e32 v5, 0x7f800001
	s_and_saveexec_b64 s[34:35], vcc
	s_cbranch_execz .LBB6_12071
; %bb.12070:                            ;   in Loop: Header=BB6_10567 Depth=3
	v_and_b32_e32 v5, 7, v25
	v_ffbh_u32_e32 v0, v5
	v_lshrrev_b32_e32 v38, 3, v37
	v_cmp_gt_u32_e32 vcc, 8, v37
	v_min_u32_e32 v37, 32, v0
	v_subrev_u32_e32 v0, 28, v37
	v_lshlrev_b64 v[0:1], v0, v[25:26]
	v_sub_u32_e32 v1, 29, v37
	v_and_b32_e32 v0, 7, v0
	v_cndmask_b32_e32 v0, v5, v0, vcc
	v_mov_b32_e32 v5, 24
	v_cndmask_b32_e32 v1, v38, v1, vcc
	v_lshlrev_b32_sdwa v5, v5, v24 dst_sel:DWORD dst_unused:UNUSED_PAD src0_sel:DWORD src1_sel:BYTE_3
	v_bfrev_b32_e32 v24, 60
	v_lshlrev_b32_e32 v0, 20, v0
	v_and_b32_e32 v5, 0x80000000, v5
	v_lshl_add_u32 v1, v1, 23, v24
	v_or3_b32 v5, v5, v1, v0
.LBB6_12071:                            ;   in Loop: Header=BB6_10567 Depth=3
	s_or_b64 exec, exec, s[34:35]
.LBB6_12072:                            ;   in Loop: Header=BB6_10567 Depth=3
	s_or_b64 exec, exec, s[30:31]
.LBB6_12073:                            ;   in Loop: Header=BB6_10567 Depth=3
	s_or_b64 exec, exec, s[28:29]
	v_cmp_lt_u32_e32 vcc, s57, v20
	s_and_saveexec_b64 s[28:29], vcc
	s_cbranch_execz .LBB6_12079
; %bb.12074:                            ;   in Loop: Header=BB6_10567 Depth=3
	v_lshrrev_b32_e32 v24, 24, v20
	v_cmp_ne_u32_e32 vcc, s96, v24
	v_bfrev_b32_e32 v4, 1
	s_and_saveexec_b64 s[30:31], vcc
	s_cbranch_execz .LBB6_12078
; %bb.12075:                            ;   in Loop: Header=BB6_10567 Depth=3
	v_bfe_u32 v25, v20, 24, 7
	v_cmp_ne_u32_e32 vcc, s86, v25
	v_mov_b32_e32 v4, 0x7f800001
	s_and_saveexec_b64 s[34:35], vcc
	s_cbranch_execz .LBB6_12077
; %bb.12076:                            ;   in Loop: Header=BB6_10567 Depth=3
	v_and_b32_e32 v4, 7, v24
	v_ffbh_u32_e32 v0, v4
	v_lshrrev_b32_e32 v37, 3, v25
	v_cmp_gt_u32_e32 vcc, 8, v25
	v_min_u32_e32 v25, 32, v0
	v_subrev_u32_e32 v0, 28, v25
	v_lshlrev_b64 v[0:1], v0, v[24:25]
	v_sub_u32_e32 v1, 29, v25
	v_and_b32_e32 v0, 7, v0
	v_cndmask_b32_e32 v1, v37, v1, vcc
	v_cndmask_b32_e32 v0, v4, v0, vcc
	v_lshlrev_b32_e32 v4, 24, v24
	v_bfrev_b32_e32 v24, 60
	v_lshlrev_b32_e32 v0, 20, v0
	v_and_b32_e32 v4, 0x80000000, v4
	v_lshl_add_u32 v1, v1, 23, v24
	v_or3_b32 v4, v4, v1, v0
.LBB6_12077:                            ;   in Loop: Header=BB6_10567 Depth=3
	s_or_b64 exec, exec, s[34:35]
.LBB6_12078:                            ;   in Loop: Header=BB6_10567 Depth=3
	s_or_b64 exec, exec, s[30:31]
.LBB6_12079:                            ;   in Loop: Header=BB6_10567 Depth=3
	s_or_b64 exec, exec, s[28:29]
	v_add_f32_e32 v4, v5, v4
	v_and_b32_e32 v0, 0x7f800000, v4
	v_mov_b32_e32 v1, v51
	v_cmp_ne_u64_e32 vcc, s[76:77], v[0:1]
                                        ; implicit-def: $vgpr0
                                        ; kill: killed $vgpr0
	s_and_saveexec_b64 s[28:29], vcc
	s_xor_b64 s[30:31], exec, s[28:29]
	s_cbranch_execz .LBB6_12093
; %bb.12080:                            ;   in Loop: Header=BB6_10567 Depth=3
	v_and_b32_e32 v0, 0x7fffffff, v4
	v_mov_b32_e32 v1, v51
	v_cmp_gt_u64_e32 vcc, s[78:79], v[0:1]
	v_and_b32_sdwa v37, v4, s96 dst_sel:DWORD dst_unused:UNUSED_PAD src0_sel:BYTE_3 src1_sel:DWORD
                                        ; implicit-def: $vgpr0
                                        ; kill: killed $vgpr0
	s_and_saveexec_b64 s[28:29], vcc
	s_xor_b64 s[34:35], exec, s[28:29]
	s_cbranch_execz .LBB6_12090
; %bb.12081:                            ;   in Loop: Header=BB6_10567 Depth=3
	v_mov_b32_e32 v0, 0
	v_cmp_ne_u32_e32 vcc, 0, v4
	buffer_store_dword v0, off, s[0:3], s33 offset:124 ; 4-byte Folded Spill
	s_and_saveexec_b64 s[36:37], vcc
	s_cbranch_execz .LBB6_12089
; %bb.12082:                            ;   in Loop: Header=BB6_10567 Depth=3
	v_bfe_u32 v38, v4, 23, 8
	v_cmp_gt_u32_e64 s[28:29], s97, v38
	v_sub_u32_e32 v1, 0x79, v38
	v_and_b32_e32 v0, 0x7fffff, v4
	v_cmp_eq_u32_e32 vcc, 0, v38
	v_cndmask_b32_e64 v1, 0, v1, s[28:29]
	v_mov_b32_e32 v5, 0x78
	v_or_b32_e32 v4, 0x800000, v0
	v_cndmask_b32_e32 v39, v1, v5, vcc
	v_cndmask_b32_e32 v0, v4, v0, vcc
	v_add_u32_e32 v4, 20, v39
	v_lshlrev_b64 v[4:5], v4, -1
	v_add_u32_e32 v24, 19, v39
	v_lshlrev_b64 v[24:25], v24, 1
	v_mov_b32_e32 v1, v51
	v_bfi_b32 v5, v5, 0, 0
	v_bfi_b32 v4, v4, 0, v0
	v_cmp_eq_u64_e64 s[28:29], v[4:5], v[24:25]
	v_lshrrev_b64 v[24:25], v39, v[0:1]
	v_mov_b32_e32 v4, v24
	v_mov_b32_e32 v5, v25
	s_and_saveexec_b64 s[38:39], s[28:29]
; %bb.12083:                            ;   in Loop: Header=BB6_10567 Depth=3
	v_bfe_u32 v0, v24, 20, 1
	v_add_co_u32_e64 v0, s[28:29], v24, v0
	v_add_co_u32_e64 v4, s[28:29], -1, v0
; %bb.12084:                            ;   in Loop: Header=BB6_10567 Depth=3
	s_or_b64 exec, exec, s[38:39]
	v_add_u32_e32 v0, 0xffffff81, v38
	v_mov_b32_e32 v1, 0xffffff82
	v_cndmask_b32_e32 v0, v0, v1, vcc
	v_lshrrev_b32_e32 v1, 23, v24
	v_add3_u32 v38, v39, v0, v1
	v_add_u32_e32 v5, 6, v38
	v_and_b32_e32 v0, 0xfffff, v4
	v_add_u32_e32 v24, v0, v24
	v_mov_b32_e32 v25, v51
	v_cmp_ne_u32_e32 vcc, 0, v5
                                        ; implicit-def: $vgpr4
	s_and_saveexec_b64 s[28:29], vcc
	s_xor_b64 s[28:29], exec, s[28:29]
; %bb.12085:                            ;   in Loop: Header=BB6_10567 Depth=3
	v_cmp_lt_u64_e32 vcc, s[88:89], v[24:25]
	v_add_u32_e32 v0, 7, v38
	v_cndmask_b32_e32 v4, v5, v0, vcc
	v_cndmask_b32_e64 v0, 0, 1, vcc
	v_lshrrev_b64 v[24:25], v0, v[24:25]
; %bb.12086:                            ;   in Loop: Header=BB6_10567 Depth=3
	s_andn2_saveexec_b64 s[28:29], s[28:29]
; %bb.12087:                            ;   in Loop: Header=BB6_10567 Depth=3
	v_bfe_u32 v4, v24, 23, 1
; %bb.12088:                            ;   in Loop: Header=BB6_10567 Depth=3
	s_or_b64 exec, exec, s[28:29]
	v_lshrrev_b64 v[0:1], 20, v[24:25]
	v_cmp_gt_i32_e32 vcc, 16, v4
	v_cndmask_b32_e32 v1, 0, v1, vcc
	v_cndmask_b32_e32 v0, 7, v0, vcc
	v_cmp_eq_u64_e64 s[28:29], 0, v[0:1]
	v_min_i32_e32 v1, 15, v4
	v_lshlrev_b32_e32 v1, 3, v1
	v_cmp_eq_u32_e32 vcc, 0, v4
	v_and_b32_e32 v1, 0xf8, v1
	v_and_or_b32 v0, v0, 7, v1
	s_and_b64 s[28:29], vcc, s[28:29]
	v_cndmask_b32_e64 v0, v0, 0, s[28:29]
	v_or_b32_e32 v0, v0, v37
	buffer_store_dword v0, off, s[0:3], s33 offset:124 ; 4-byte Folded Spill
.LBB6_12089:                            ;   in Loop: Header=BB6_10567 Depth=3
	s_or_b64 exec, exec, s[36:37]
                                        ; implicit-def: $vgpr37
.LBB6_12090:                            ;   in Loop: Header=BB6_10567 Depth=3
	s_andn2_saveexec_b64 s[28:29], s[34:35]
	s_cbranch_execz .LBB6_12092
; %bb.12091:                            ;   in Loop: Header=BB6_10567 Depth=3
	v_or_b32_e32 v0, 0x7e, v37
	buffer_store_dword v0, off, s[0:3], s33 offset:124 ; 4-byte Folded Spill
.LBB6_12092:                            ;   in Loop: Header=BB6_10567 Depth=3
	s_or_b64 exec, exec, s[28:29]
                                        ; implicit-def: $vgpr4
.LBB6_12093:                            ;   in Loop: Header=BB6_10567 Depth=3
	s_andn2_saveexec_b64 s[28:29], s[30:31]
	s_cbranch_execz .LBB6_12095
; %bb.12094:                            ;   in Loop: Header=BB6_10567 Depth=3
	v_or_b32_sdwa v0, v4, s86 dst_sel:DWORD dst_unused:UNUSED_PAD src0_sel:BYTE_3 src1_sel:DWORD
	buffer_store_dword v0, off, s[0:3], s33 offset:124 ; 4-byte Folded Spill
.LBB6_12095:                            ;   in Loop: Header=BB6_10567 Depth=3
	s_or_b64 exec, exec, s[28:29]
	v_lshl_or_b32 v47, v47, 8, v49
	v_lshlrev_b32_e32 v0, 16, v48
	v_lshlrev_b32_e32 v1, 24, v32
	v_or3_b32 v24, v0, v1, v47
	v_mov_b32_e32 v25, v51
	v_cmp_ne_u32_e32 vcc, 0, v49
	v_mov_b32_e32 v5, 0
	v_mov_b32_e32 v4, 0
	s_and_saveexec_b64 s[28:29], vcc
	s_cbranch_execz .LBB6_12101
; %bb.12096:                            ;   in Loop: Header=BB6_10567 Depth=3
	v_cmp_ne_u32_e32 vcc, s96, v49
	v_bfrev_b32_e32 v4, 1
	s_and_saveexec_b64 s[30:31], vcc
	s_cbranch_execz .LBB6_12100
; %bb.12097:                            ;   in Loop: Header=BB6_10567 Depth=3
	v_and_b32_e32 v32, 0x7f, v49
	v_cmp_ne_u32_e32 vcc, s86, v32
	v_mov_b32_e32 v4, 0x7f800001
	s_and_saveexec_b64 s[34:35], vcc
	s_cbranch_execz .LBB6_12099
; %bb.12098:                            ;   in Loop: Header=BB6_10567 Depth=3
	v_and_b32_e32 v0, 7, v49
	v_ffbh_u32_e32 v0, v0
	v_min_u32_e32 v0, 32, v0
	v_lshrrev_b32_e32 v1, 3, v32
	v_cmp_gt_u32_e32 vcc, 8, v32
	v_subrev_u32_e32 v4, 28, v0
	v_sub_u32_e32 v0, 29, v0
	v_cndmask_b32_e32 v32, v1, v0, vcc
	v_cndmask_b32_e32 v0, 0, v4, vcc
	v_lshlrev_b64 v[0:1], v0, v[24:25]
	v_lshlrev_b32_e32 v1, 24, v24
	v_lshlrev_b32_e32 v0, 20, v0
	v_bfrev_b32_e32 v4, 60
	v_and_b32_e32 v0, 0x700000, v0
	v_and_b32_e32 v1, 0x80000000, v1
	v_lshl_add_u32 v4, v32, 23, v4
	v_or3_b32 v4, v1, v4, v0
.LBB6_12099:                            ;   in Loop: Header=BB6_10567 Depth=3
	s_or_b64 exec, exec, s[34:35]
.LBB6_12100:                            ;   in Loop: Header=BB6_10567 Depth=3
	s_or_b64 exec, exec, s[30:31]
.LBB6_12101:                            ;   in Loop: Header=BB6_10567 Depth=3
	s_or_b64 exec, exec, s[28:29]
	v_cmp_ne_u16_sdwa vcc, v21, v51 src0_sel:BYTE_0 src1_sel:DWORD
	s_and_saveexec_b64 s[28:29], vcc
	s_cbranch_execz .LBB6_12107
; %bb.12102:                            ;   in Loop: Header=BB6_10567 Depth=3
	v_cmp_ne_u16_sdwa vcc, v21, s96 src0_sel:BYTE_0 src1_sel:DWORD
	v_bfrev_b32_e32 v5, 1
	s_and_saveexec_b64 s[30:31], vcc
	s_cbranch_execz .LBB6_12106
; %bb.12103:                            ;   in Loop: Header=BB6_10567 Depth=3
	v_and_b32_e32 v25, 0x7f, v21
	v_cmp_ne_u32_e32 vcc, s86, v25
	v_mov_b32_e32 v5, 0x7f800001
	s_and_saveexec_b64 s[34:35], vcc
	s_cbranch_execz .LBB6_12105
; %bb.12104:                            ;   in Loop: Header=BB6_10567 Depth=3
	v_and_b32_e32 v5, 7, v21
	v_ffbh_u32_e32 v5, v5
	v_min_u32_e32 v5, 32, v5
	v_lshrrev_b32_e32 v32, 3, v25
	v_cmp_gt_u32_e32 vcc, 8, v25
	v_subrev_u32_e32 v25, 28, v5
	v_mov_b32_e32 v0, v21
	v_mov_b32_e32 v1, v51
	v_cndmask_b32_e32 v25, 0, v25, vcc
	v_lshlrev_b64 v[37:38], v25, v[0:1]
	v_sub_u32_e32 v5, 29, v5
	v_cndmask_b32_e32 v5, v32, v5, vcc
	v_lshlrev_b32_e32 v1, 20, v37
	v_lshlrev_b32_e32 v0, 24, v0
	v_bfrev_b32_e32 v25, 60
	v_and_b32_e32 v1, 0x700000, v1
	v_and_b32_e32 v0, 0x80000000, v0
	v_lshl_add_u32 v5, v5, 23, v25
	v_or3_b32 v5, v0, v5, v1
.LBB6_12105:                            ;   in Loop: Header=BB6_10567 Depth=3
	s_or_b64 exec, exec, s[34:35]
.LBB6_12106:                            ;   in Loop: Header=BB6_10567 Depth=3
	s_or_b64 exec, exec, s[30:31]
.LBB6_12107:                            ;   in Loop: Header=BB6_10567 Depth=3
	s_or_b64 exec, exec, s[28:29]
	v_add_f32_e32 v4, v4, v5
	v_and_b32_e32 v0, 0x7f800000, v4
	v_mov_b32_e32 v1, v51
	v_cmp_ne_u64_e32 vcc, s[76:77], v[0:1]
                                        ; implicit-def: $vgpr0
                                        ; kill: killed $vgpr0
	s_and_saveexec_b64 s[28:29], vcc
	s_xor_b64 s[30:31], exec, s[28:29]
	s_cbranch_execz .LBB6_12121
; %bb.12108:                            ;   in Loop: Header=BB6_10567 Depth=3
	v_and_b32_e32 v0, 0x7fffffff, v4
	v_mov_b32_e32 v1, v51
	v_cmp_gt_u64_e32 vcc, s[78:79], v[0:1]
	v_and_b32_sdwa v25, v4, s96 dst_sel:DWORD dst_unused:UNUSED_PAD src0_sel:BYTE_3 src1_sel:DWORD
                                        ; implicit-def: $vgpr0
                                        ; kill: killed $vgpr0
	s_and_saveexec_b64 s[28:29], vcc
	s_xor_b64 s[34:35], exec, s[28:29]
	s_cbranch_execz .LBB6_12118
; %bb.12109:                            ;   in Loop: Header=BB6_10567 Depth=3
	v_mov_b32_e32 v0, 0
	v_cmp_ne_u32_e32 vcc, 0, v4
	buffer_store_dword v0, off, s[0:3], s33 offset:148 ; 4-byte Folded Spill
	s_and_saveexec_b64 s[36:37], vcc
	s_cbranch_execz .LBB6_12117
; %bb.12110:                            ;   in Loop: Header=BB6_10567 Depth=3
	v_bfe_u32 v32, v4, 23, 8
	v_cmp_gt_u32_e64 s[28:29], s97, v32
	v_sub_u32_e32 v1, 0x79, v32
	v_and_b32_e32 v0, 0x7fffff, v4
	v_cmp_eq_u32_e32 vcc, 0, v32
	v_cndmask_b32_e64 v1, 0, v1, s[28:29]
	v_mov_b32_e32 v5, 0x78
	v_or_b32_e32 v4, 0x800000, v0
	v_cndmask_b32_e32 v37, v1, v5, vcc
	v_cndmask_b32_e32 v0, v4, v0, vcc
	v_add_u32_e32 v4, 20, v37
	v_lshlrev_b64 v[4:5], v4, -1
	v_add_u32_e32 v38, 19, v37
	v_mov_b32_e32 v1, v51
	v_lshlrev_b64 v[38:39], v38, 1
	v_bfi_b32 v5, v5, 0, 0
	v_bfi_b32 v4, v4, 0, v0
	v_lshrrev_b64 v[52:53], v37, v[0:1]
	v_cmp_eq_u64_e64 s[28:29], v[4:5], v[38:39]
	v_mov_b32_e32 v4, v52
	v_mov_b32_e32 v5, v53
	s_and_saveexec_b64 s[38:39], s[28:29]
; %bb.12111:                            ;   in Loop: Header=BB6_10567 Depth=3
	v_bfe_u32 v0, v52, 20, 1
	v_add_co_u32_e64 v0, s[28:29], v52, v0
	v_add_co_u32_e64 v4, s[28:29], -1, v0
; %bb.12112:                            ;   in Loop: Header=BB6_10567 Depth=3
	s_or_b64 exec, exec, s[38:39]
	v_add_u32_e32 v0, 0xffffff81, v32
	v_mov_b32_e32 v1, 0xffffff82
	v_cndmask_b32_e32 v0, v0, v1, vcc
	v_lshrrev_b32_e32 v1, 23, v52
	v_add3_u32 v32, v37, v0, v1
	v_add_u32_e32 v5, 6, v32
	v_and_b32_e32 v0, 0xfffff, v4
	v_add_u32_e32 v52, v0, v52
	v_mov_b32_e32 v53, v51
	v_cmp_ne_u32_e32 vcc, 0, v5
                                        ; implicit-def: $vgpr4
	s_and_saveexec_b64 s[28:29], vcc
	s_xor_b64 s[28:29], exec, s[28:29]
; %bb.12113:                            ;   in Loop: Header=BB6_10567 Depth=3
	v_cmp_lt_u64_e32 vcc, s[88:89], v[52:53]
	v_add_u32_e32 v0, 7, v32
	v_cndmask_b32_e32 v4, v5, v0, vcc
	v_cndmask_b32_e64 v0, 0, 1, vcc
	v_lshrrev_b64 v[52:53], v0, v[52:53]
; %bb.12114:                            ;   in Loop: Header=BB6_10567 Depth=3
	s_andn2_saveexec_b64 s[28:29], s[28:29]
; %bb.12115:                            ;   in Loop: Header=BB6_10567 Depth=3
	v_bfe_u32 v4, v52, 23, 1
; %bb.12116:                            ;   in Loop: Header=BB6_10567 Depth=3
	s_or_b64 exec, exec, s[28:29]
	v_lshrrev_b64 v[0:1], 20, v[52:53]
	v_cmp_gt_i32_e32 vcc, 16, v4
	v_cndmask_b32_e32 v1, 0, v1, vcc
	v_cndmask_b32_e32 v0, 7, v0, vcc
	v_cmp_eq_u64_e64 s[28:29], 0, v[0:1]
	v_min_i32_e32 v1, 15, v4
	v_lshlrev_b32_e32 v1, 3, v1
	v_cmp_eq_u32_e32 vcc, 0, v4
	v_and_b32_e32 v1, 0xf8, v1
	v_and_or_b32 v0, v0, 7, v1
	s_and_b64 s[28:29], vcc, s[28:29]
	v_cndmask_b32_e64 v0, v0, 0, s[28:29]
	v_or_b32_e32 v0, v0, v25
	buffer_store_dword v0, off, s[0:3], s33 offset:148 ; 4-byte Folded Spill
.LBB6_12117:                            ;   in Loop: Header=BB6_10567 Depth=3
	s_or_b64 exec, exec, s[36:37]
                                        ; implicit-def: $vgpr25
.LBB6_12118:                            ;   in Loop: Header=BB6_10567 Depth=3
	s_andn2_saveexec_b64 s[28:29], s[34:35]
	s_cbranch_execz .LBB6_12120
; %bb.12119:                            ;   in Loop: Header=BB6_10567 Depth=3
	v_or_b32_e32 v0, 0x7e, v25
	buffer_store_dword v0, off, s[0:3], s33 offset:148 ; 4-byte Folded Spill
.LBB6_12120:                            ;   in Loop: Header=BB6_10567 Depth=3
	s_or_b64 exec, exec, s[28:29]
                                        ; implicit-def: $vgpr4
.LBB6_12121:                            ;   in Loop: Header=BB6_10567 Depth=3
	s_andn2_saveexec_b64 s[28:29], s[30:31]
	s_cbranch_execz .LBB6_12123
; %bb.12122:                            ;   in Loop: Header=BB6_10567 Depth=3
	v_or_b32_sdwa v0, v4, s86 dst_sel:DWORD dst_unused:UNUSED_PAD src0_sel:BYTE_3 src1_sel:DWORD
	buffer_store_dword v0, off, s[0:3], s33 offset:148 ; 4-byte Folded Spill
.LBB6_12123:                            ;   in Loop: Header=BB6_10567 Depth=3
	s_or_b64 exec, exec, s[28:29]
	v_lshrrev_b16_e32 v25, 8, v47
	v_cmp_ne_u16_e32 vcc, 0, v25
	v_mov_b32_e32 v4, 0
	v_mov_b32_e32 v5, 0
	s_and_saveexec_b64 s[28:29], vcc
	s_cbranch_execz .LBB6_12129
; %bb.12124:                            ;   in Loop: Header=BB6_10567 Depth=3
	v_cmp_ne_u16_e32 vcc, s96, v25
	v_bfrev_b32_e32 v5, 1
	s_and_saveexec_b64 s[30:31], vcc
	s_cbranch_execz .LBB6_12128
; %bb.12125:                            ;   in Loop: Header=BB6_10567 Depth=3
	v_and_b32_e32 v32, 0x7f, v25
	v_cmp_ne_u32_e32 vcc, s86, v32
	v_mov_b32_e32 v5, 0x7f800001
	s_and_saveexec_b64 s[34:35], vcc
	s_cbranch_execz .LBB6_12127
; %bb.12126:                            ;   in Loop: Header=BB6_10567 Depth=3
	v_and_b32_e32 v5, 7, v25
	v_ffbh_u32_e32 v0, v5
	v_lshrrev_b32_e32 v37, 3, v32
	v_cmp_gt_u32_e32 vcc, 8, v32
	v_min_u32_e32 v32, 32, v0
	v_subrev_u32_e32 v0, 28, v32
	v_lshlrev_b64 v[0:1], v0, v[25:26]
	v_sub_u32_e32 v1, 29, v32
	v_and_b32_e32 v0, 7, v0
	v_cndmask_b32_e32 v1, v37, v1, vcc
	v_cndmask_b32_e32 v0, v5, v0, vcc
	v_lshlrev_b32_e32 v5, 16, v47
	v_bfrev_b32_e32 v25, 60
	v_lshlrev_b32_e32 v0, 20, v0
	v_and_b32_e32 v5, 0x80000000, v5
	v_lshl_add_u32 v1, v1, 23, v25
	v_or3_b32 v5, v5, v1, v0
.LBB6_12127:                            ;   in Loop: Header=BB6_10567 Depth=3
	s_or_b64 exec, exec, s[34:35]
.LBB6_12128:                            ;   in Loop: Header=BB6_10567 Depth=3
	s_or_b64 exec, exec, s[30:31]
.LBB6_12129:                            ;   in Loop: Header=BB6_10567 Depth=3
	s_or_b64 exec, exec, s[28:29]
	v_lshrrev_b16_e32 v25, 8, v21
	v_cmp_ne_u16_e32 vcc, 0, v25
	s_and_saveexec_b64 s[28:29], vcc
	s_cbranch_execz .LBB6_12135
; %bb.12130:                            ;   in Loop: Header=BB6_10567 Depth=3
	v_cmp_ne_u16_e32 vcc, s96, v25
	v_bfrev_b32_e32 v4, 1
	s_and_saveexec_b64 s[30:31], vcc
	s_cbranch_execz .LBB6_12134
; %bb.12131:                            ;   in Loop: Header=BB6_10567 Depth=3
	v_and_b32_e32 v32, 0x7f, v25
	v_cmp_ne_u32_e32 vcc, s86, v32
	v_mov_b32_e32 v4, 0x7f800001
	s_and_saveexec_b64 s[34:35], vcc
	s_cbranch_execz .LBB6_12133
; %bb.12132:                            ;   in Loop: Header=BB6_10567 Depth=3
	v_and_b32_e32 v4, 7, v25
	v_ffbh_u32_e32 v0, v4
	v_lshrrev_b32_e32 v37, 3, v32
	v_cmp_gt_u32_e32 vcc, 8, v32
	v_min_u32_e32 v32, 32, v0
	v_subrev_u32_e32 v0, 28, v32
	v_lshlrev_b64 v[0:1], v0, v[25:26]
	v_sub_u32_e32 v1, 29, v32
	v_and_b32_e32 v0, 7, v0
	v_cndmask_b32_e32 v1, v37, v1, vcc
	v_cndmask_b32_e32 v0, v4, v0, vcc
	v_lshlrev_b32_e32 v4, 16, v21
	v_bfrev_b32_e32 v25, 60
	v_lshlrev_b32_e32 v0, 20, v0
	v_and_b32_e32 v4, 0x80000000, v4
	v_lshl_add_u32 v1, v1, 23, v25
	v_or3_b32 v4, v4, v1, v0
.LBB6_12133:                            ;   in Loop: Header=BB6_10567 Depth=3
	s_or_b64 exec, exec, s[34:35]
.LBB6_12134:                            ;   in Loop: Header=BB6_10567 Depth=3
	s_or_b64 exec, exec, s[30:31]
.LBB6_12135:                            ;   in Loop: Header=BB6_10567 Depth=3
	s_or_b64 exec, exec, s[28:29]
	v_add_f32_e32 v4, v5, v4
	v_and_b32_e32 v0, 0x7f800000, v4
	v_mov_b32_e32 v1, v51
	v_cmp_ne_u64_e32 vcc, s[76:77], v[0:1]
                                        ; implicit-def: $vgpr0
                                        ; kill: killed $vgpr0
	s_and_saveexec_b64 s[28:29], vcc
	s_xor_b64 s[30:31], exec, s[28:29]
	s_cbranch_execz .LBB6_12149
; %bb.12136:                            ;   in Loop: Header=BB6_10567 Depth=3
	v_and_b32_e32 v0, 0x7fffffff, v4
	v_mov_b32_e32 v1, v51
	v_cmp_gt_u64_e32 vcc, s[78:79], v[0:1]
	v_and_b32_sdwa v25, v4, s96 dst_sel:DWORD dst_unused:UNUSED_PAD src0_sel:BYTE_3 src1_sel:DWORD
                                        ; implicit-def: $vgpr0
                                        ; kill: killed $vgpr0
	s_and_saveexec_b64 s[28:29], vcc
	s_xor_b64 s[34:35], exec, s[28:29]
	s_cbranch_execz .LBB6_12146
; %bb.12137:                            ;   in Loop: Header=BB6_10567 Depth=3
	v_mov_b32_e32 v0, 0
	v_cmp_ne_u32_e32 vcc, 0, v4
	buffer_store_dword v0, off, s[0:3], s33 offset:164 ; 4-byte Folded Spill
	s_and_saveexec_b64 s[36:37], vcc
	s_cbranch_execz .LBB6_12145
; %bb.12138:                            ;   in Loop: Header=BB6_10567 Depth=3
	v_bfe_u32 v32, v4, 23, 8
	v_cmp_gt_u32_e64 s[28:29], s97, v32
	v_sub_u32_e32 v1, 0x79, v32
	v_and_b32_e32 v0, 0x7fffff, v4
	v_cmp_eq_u32_e32 vcc, 0, v32
	v_cndmask_b32_e64 v1, 0, v1, s[28:29]
	v_mov_b32_e32 v5, 0x78
	v_or_b32_e32 v4, 0x800000, v0
	v_cndmask_b32_e32 v37, v1, v5, vcc
	v_cndmask_b32_e32 v0, v4, v0, vcc
	v_add_u32_e32 v4, 20, v37
	v_lshlrev_b64 v[4:5], v4, -1
	v_add_u32_e32 v38, 19, v37
	v_mov_b32_e32 v1, v51
	v_lshlrev_b64 v[38:39], v38, 1
	v_bfi_b32 v5, v5, 0, 0
	v_bfi_b32 v4, v4, 0, v0
	v_lshrrev_b64 v[52:53], v37, v[0:1]
	v_cmp_eq_u64_e64 s[28:29], v[4:5], v[38:39]
	v_mov_b32_e32 v4, v52
	v_mov_b32_e32 v5, v53
	s_and_saveexec_b64 s[38:39], s[28:29]
; %bb.12139:                            ;   in Loop: Header=BB6_10567 Depth=3
	v_bfe_u32 v0, v52, 20, 1
	v_add_co_u32_e64 v0, s[28:29], v52, v0
	v_add_co_u32_e64 v4, s[28:29], -1, v0
; %bb.12140:                            ;   in Loop: Header=BB6_10567 Depth=3
	s_or_b64 exec, exec, s[38:39]
	v_add_u32_e32 v0, 0xffffff81, v32
	v_mov_b32_e32 v1, 0xffffff82
	v_cndmask_b32_e32 v0, v0, v1, vcc
	v_lshrrev_b32_e32 v1, 23, v52
	v_add3_u32 v32, v37, v0, v1
	v_add_u32_e32 v5, 6, v32
	v_and_b32_e32 v0, 0xfffff, v4
	v_add_u32_e32 v52, v0, v52
	v_mov_b32_e32 v53, v51
	v_cmp_ne_u32_e32 vcc, 0, v5
                                        ; implicit-def: $vgpr4
	s_and_saveexec_b64 s[28:29], vcc
	s_xor_b64 s[28:29], exec, s[28:29]
; %bb.12141:                            ;   in Loop: Header=BB6_10567 Depth=3
	v_cmp_lt_u64_e32 vcc, s[88:89], v[52:53]
	v_add_u32_e32 v0, 7, v32
	v_cndmask_b32_e32 v4, v5, v0, vcc
	v_cndmask_b32_e64 v0, 0, 1, vcc
	v_lshrrev_b64 v[52:53], v0, v[52:53]
; %bb.12142:                            ;   in Loop: Header=BB6_10567 Depth=3
	s_andn2_saveexec_b64 s[28:29], s[28:29]
; %bb.12143:                            ;   in Loop: Header=BB6_10567 Depth=3
	v_bfe_u32 v4, v52, 23, 1
; %bb.12144:                            ;   in Loop: Header=BB6_10567 Depth=3
	s_or_b64 exec, exec, s[28:29]
	v_lshrrev_b64 v[0:1], 20, v[52:53]
	v_cmp_gt_i32_e32 vcc, 16, v4
	v_cndmask_b32_e32 v1, 0, v1, vcc
	v_cndmask_b32_e32 v0, 7, v0, vcc
	v_cmp_eq_u64_e64 s[28:29], 0, v[0:1]
	v_min_i32_e32 v1, 15, v4
	v_lshlrev_b32_e32 v1, 3, v1
	v_cmp_eq_u32_e32 vcc, 0, v4
	v_and_b32_e32 v1, 0xf8, v1
	v_and_or_b32 v0, v0, 7, v1
	s_and_b64 s[28:29], vcc, s[28:29]
	v_cndmask_b32_e64 v0, v0, 0, s[28:29]
	v_or_b32_e32 v0, v0, v25
	buffer_store_dword v0, off, s[0:3], s33 offset:164 ; 4-byte Folded Spill
.LBB6_12145:                            ;   in Loop: Header=BB6_10567 Depth=3
	s_or_b64 exec, exec, s[36:37]
                                        ; implicit-def: $vgpr25
.LBB6_12146:                            ;   in Loop: Header=BB6_10567 Depth=3
	s_andn2_saveexec_b64 s[28:29], s[34:35]
	s_cbranch_execz .LBB6_12148
; %bb.12147:                            ;   in Loop: Header=BB6_10567 Depth=3
	v_or_b32_e32 v0, 0x7e, v25
	buffer_store_dword v0, off, s[0:3], s33 offset:164 ; 4-byte Folded Spill
.LBB6_12148:                            ;   in Loop: Header=BB6_10567 Depth=3
	s_or_b64 exec, exec, s[28:29]
                                        ; implicit-def: $vgpr4
.LBB6_12149:                            ;   in Loop: Header=BB6_10567 Depth=3
	s_andn2_saveexec_b64 s[28:29], s[30:31]
	s_cbranch_execz .LBB6_12151
; %bb.12150:                            ;   in Loop: Header=BB6_10567 Depth=3
	v_or_b32_sdwa v0, v4, s86 dst_sel:DWORD dst_unused:UNUSED_PAD src0_sel:BYTE_3 src1_sel:DWORD
	buffer_store_dword v0, off, s[0:3], s33 offset:164 ; 4-byte Folded Spill
.LBB6_12151:                            ;   in Loop: Header=BB6_10567 Depth=3
	s_or_b64 exec, exec, s[28:29]
	v_lshrrev_b32_e32 v25, 16, v24
	v_cmp_ne_u16_sdwa vcc, v25, v51 src0_sel:BYTE_0 src1_sel:DWORD
	v_mov_b32_e32 v4, 0
	v_mov_b32_e32 v5, 0
	s_and_saveexec_b64 s[28:29], vcc
	s_cbranch_execz .LBB6_12157
; %bb.12152:                            ;   in Loop: Header=BB6_10567 Depth=3
	v_cmp_ne_u16_sdwa vcc, v25, s96 src0_sel:BYTE_0 src1_sel:DWORD
	v_bfrev_b32_e32 v5, 1
	s_and_saveexec_b64 s[30:31], vcc
	s_cbranch_execz .LBB6_12156
; %bb.12153:                            ;   in Loop: Header=BB6_10567 Depth=3
	v_bfe_u32 v32, v24, 16, 7
	v_cmp_ne_u32_e32 vcc, s86, v32
	v_mov_b32_e32 v5, 0x7f800001
	s_and_saveexec_b64 s[34:35], vcc
	s_cbranch_execz .LBB6_12155
; %bb.12154:                            ;   in Loop: Header=BB6_10567 Depth=3
	v_and_b32_e32 v5, 7, v25
	v_ffbh_u32_e32 v0, v5
	v_lshrrev_b32_e32 v37, 3, v32
	v_cmp_gt_u32_e32 vcc, 8, v32
	v_min_u32_e32 v32, 32, v0
	v_subrev_u32_e32 v0, 28, v32
	v_lshlrev_b64 v[0:1], v0, v[25:26]
	v_sub_u32_e32 v1, 29, v32
	v_and_b32_e32 v0, 7, v0
	v_cndmask_b32_e32 v1, v37, v1, vcc
	v_cndmask_b32_e32 v0, v5, v0, vcc
	v_lshlrev_b32_e32 v5, 24, v25
	v_bfrev_b32_e32 v25, 60
	v_lshlrev_b32_e32 v0, 20, v0
	v_and_b32_e32 v5, 0x80000000, v5
	v_lshl_add_u32 v1, v1, 23, v25
	v_or3_b32 v5, v5, v1, v0
.LBB6_12155:                            ;   in Loop: Header=BB6_10567 Depth=3
	s_or_b64 exec, exec, s[34:35]
.LBB6_12156:                            ;   in Loop: Header=BB6_10567 Depth=3
	s_or_b64 exec, exec, s[30:31]
.LBB6_12157:                            ;   in Loop: Header=BB6_10567 Depth=3
	s_or_b64 exec, exec, s[28:29]
	v_lshrrev_b32_e32 v25, 16, v21
	v_cmp_ne_u16_sdwa vcc, v25, v51 src0_sel:BYTE_0 src1_sel:DWORD
	s_and_saveexec_b64 s[28:29], vcc
	s_cbranch_execz .LBB6_12163
; %bb.12158:                            ;   in Loop: Header=BB6_10567 Depth=3
	v_cmp_ne_u16_sdwa vcc, v25, s96 src0_sel:BYTE_0 src1_sel:DWORD
	v_bfrev_b32_e32 v4, 1
	s_and_saveexec_b64 s[30:31], vcc
	s_cbranch_execz .LBB6_12162
; %bb.12159:                            ;   in Loop: Header=BB6_10567 Depth=3
	v_bfe_u32 v32, v21, 16, 7
	v_cmp_ne_u32_e32 vcc, s86, v32
	v_mov_b32_e32 v4, 0x7f800001
	s_and_saveexec_b64 s[34:35], vcc
	s_cbranch_execz .LBB6_12161
; %bb.12160:                            ;   in Loop: Header=BB6_10567 Depth=3
	v_and_b32_e32 v4, 7, v25
	v_ffbh_u32_e32 v0, v4
	v_lshrrev_b32_e32 v37, 3, v32
	v_cmp_gt_u32_e32 vcc, 8, v32
	v_min_u32_e32 v32, 32, v0
	v_subrev_u32_e32 v0, 28, v32
	v_lshlrev_b64 v[0:1], v0, v[25:26]
	v_sub_u32_e32 v1, 29, v32
	v_and_b32_e32 v0, 7, v0
	v_cndmask_b32_e32 v1, v37, v1, vcc
	v_cndmask_b32_e32 v0, v4, v0, vcc
	v_lshlrev_b32_e32 v4, 8, v21
	v_bfrev_b32_e32 v25, 60
	v_lshlrev_b32_e32 v0, 20, v0
	v_and_b32_e32 v4, 0x80000000, v4
	v_lshl_add_u32 v1, v1, 23, v25
	v_or3_b32 v4, v4, v1, v0
.LBB6_12161:                            ;   in Loop: Header=BB6_10567 Depth=3
	s_or_b64 exec, exec, s[34:35]
.LBB6_12162:                            ;   in Loop: Header=BB6_10567 Depth=3
	s_or_b64 exec, exec, s[30:31]
.LBB6_12163:                            ;   in Loop: Header=BB6_10567 Depth=3
	s_or_b64 exec, exec, s[28:29]
	v_add_f32_e32 v4, v5, v4
	v_and_b32_e32 v0, 0x7f800000, v4
	v_mov_b32_e32 v1, v51
	v_cmp_ne_u64_e32 vcc, s[76:77], v[0:1]
                                        ; implicit-def: $vgpr0
                                        ; kill: killed $vgpr0
	s_and_saveexec_b64 s[28:29], vcc
	s_xor_b64 s[30:31], exec, s[28:29]
	s_cbranch_execz .LBB6_12177
; %bb.12164:                            ;   in Loop: Header=BB6_10567 Depth=3
	v_and_b32_e32 v0, 0x7fffffff, v4
	v_mov_b32_e32 v1, v51
	v_cmp_gt_u64_e32 vcc, s[78:79], v[0:1]
	v_and_b32_sdwa v25, v4, s96 dst_sel:DWORD dst_unused:UNUSED_PAD src0_sel:BYTE_3 src1_sel:DWORD
                                        ; implicit-def: $vgpr0
                                        ; kill: killed $vgpr0
	s_and_saveexec_b64 s[28:29], vcc
	s_xor_b64 s[34:35], exec, s[28:29]
	s_cbranch_execz .LBB6_12174
; %bb.12165:                            ;   in Loop: Header=BB6_10567 Depth=3
	v_mov_b32_e32 v0, 0
	v_cmp_ne_u32_e32 vcc, 0, v4
	buffer_store_dword v0, off, s[0:3], s33 offset:188 ; 4-byte Folded Spill
	s_and_saveexec_b64 s[36:37], vcc
	s_cbranch_execz .LBB6_12173
; %bb.12166:                            ;   in Loop: Header=BB6_10567 Depth=3
	v_bfe_u32 v32, v4, 23, 8
	v_cmp_gt_u32_e64 s[28:29], s97, v32
	v_sub_u32_e32 v1, 0x79, v32
	v_and_b32_e32 v0, 0x7fffff, v4
	v_cmp_eq_u32_e32 vcc, 0, v32
	v_cndmask_b32_e64 v1, 0, v1, s[28:29]
	v_mov_b32_e32 v5, 0x78
	v_or_b32_e32 v4, 0x800000, v0
	v_cndmask_b32_e32 v37, v1, v5, vcc
	v_cndmask_b32_e32 v0, v4, v0, vcc
	v_add_u32_e32 v4, 20, v37
	v_lshlrev_b64 v[4:5], v4, -1
	v_add_u32_e32 v38, 19, v37
	v_mov_b32_e32 v1, v51
	v_lshlrev_b64 v[38:39], v38, 1
	v_bfi_b32 v5, v5, 0, 0
	v_bfi_b32 v4, v4, 0, v0
	v_lshrrev_b64 v[52:53], v37, v[0:1]
	v_cmp_eq_u64_e64 s[28:29], v[4:5], v[38:39]
	v_mov_b32_e32 v4, v52
	v_mov_b32_e32 v5, v53
	s_and_saveexec_b64 s[38:39], s[28:29]
; %bb.12167:                            ;   in Loop: Header=BB6_10567 Depth=3
	v_bfe_u32 v0, v52, 20, 1
	v_add_co_u32_e64 v0, s[28:29], v52, v0
	v_add_co_u32_e64 v4, s[28:29], -1, v0
; %bb.12168:                            ;   in Loop: Header=BB6_10567 Depth=3
	s_or_b64 exec, exec, s[38:39]
	v_add_u32_e32 v0, 0xffffff81, v32
	v_mov_b32_e32 v1, 0xffffff82
	v_cndmask_b32_e32 v0, v0, v1, vcc
	v_lshrrev_b32_e32 v1, 23, v52
	v_add3_u32 v32, v37, v0, v1
	v_add_u32_e32 v5, 6, v32
	v_and_b32_e32 v0, 0xfffff, v4
	v_add_u32_e32 v52, v0, v52
	v_mov_b32_e32 v53, v51
	v_cmp_ne_u32_e32 vcc, 0, v5
                                        ; implicit-def: $vgpr4
	s_and_saveexec_b64 s[28:29], vcc
	s_xor_b64 s[28:29], exec, s[28:29]
; %bb.12169:                            ;   in Loop: Header=BB6_10567 Depth=3
	v_cmp_lt_u64_e32 vcc, s[88:89], v[52:53]
	v_add_u32_e32 v0, 7, v32
	v_cndmask_b32_e32 v4, v5, v0, vcc
	v_cndmask_b32_e64 v0, 0, 1, vcc
	v_lshrrev_b64 v[52:53], v0, v[52:53]
; %bb.12170:                            ;   in Loop: Header=BB6_10567 Depth=3
	s_andn2_saveexec_b64 s[28:29], s[28:29]
; %bb.12171:                            ;   in Loop: Header=BB6_10567 Depth=3
	v_bfe_u32 v4, v52, 23, 1
; %bb.12172:                            ;   in Loop: Header=BB6_10567 Depth=3
	s_or_b64 exec, exec, s[28:29]
	v_lshrrev_b64 v[0:1], 20, v[52:53]
	v_cmp_gt_i32_e32 vcc, 16, v4
	v_cndmask_b32_e32 v1, 0, v1, vcc
	v_cndmask_b32_e32 v0, 7, v0, vcc
	v_cmp_eq_u64_e64 s[28:29], 0, v[0:1]
	v_min_i32_e32 v1, 15, v4
	v_lshlrev_b32_e32 v1, 3, v1
	v_cmp_eq_u32_e32 vcc, 0, v4
	v_and_b32_e32 v1, 0xf8, v1
	v_and_or_b32 v0, v0, 7, v1
	s_and_b64 s[28:29], vcc, s[28:29]
	v_cndmask_b32_e64 v0, v0, 0, s[28:29]
	v_or_b32_e32 v0, v0, v25
	buffer_store_dword v0, off, s[0:3], s33 offset:188 ; 4-byte Folded Spill
.LBB6_12173:                            ;   in Loop: Header=BB6_10567 Depth=3
	s_or_b64 exec, exec, s[36:37]
                                        ; implicit-def: $vgpr25
.LBB6_12174:                            ;   in Loop: Header=BB6_10567 Depth=3
	s_andn2_saveexec_b64 s[28:29], s[34:35]
	s_cbranch_execz .LBB6_12176
; %bb.12175:                            ;   in Loop: Header=BB6_10567 Depth=3
	v_or_b32_e32 v0, 0x7e, v25
	buffer_store_dword v0, off, s[0:3], s33 offset:188 ; 4-byte Folded Spill
.LBB6_12176:                            ;   in Loop: Header=BB6_10567 Depth=3
	s_or_b64 exec, exec, s[28:29]
                                        ; implicit-def: $vgpr4
.LBB6_12177:                            ;   in Loop: Header=BB6_10567 Depth=3
	s_andn2_saveexec_b64 s[28:29], s[30:31]
	s_cbranch_execz .LBB6_12179
; %bb.12178:                            ;   in Loop: Header=BB6_10567 Depth=3
	v_or_b32_sdwa v0, v4, s86 dst_sel:DWORD dst_unused:UNUSED_PAD src0_sel:BYTE_3 src1_sel:DWORD
	buffer_store_dword v0, off, s[0:3], s33 offset:188 ; 4-byte Folded Spill
.LBB6_12179:                            ;   in Loop: Header=BB6_10567 Depth=3
	s_or_b64 exec, exec, s[28:29]
	v_cmp_lt_u32_e32 vcc, s57, v24
	v_mov_b32_e32 v4, 0
	v_mov_b32_e32 v5, 0
	s_and_saveexec_b64 s[28:29], vcc
	s_cbranch_execz .LBB6_12185
; %bb.12180:                            ;   in Loop: Header=BB6_10567 Depth=3
	v_lshrrev_b32_e32 v25, 24, v24
	v_cmp_ne_u32_sdwa vcc, v24, s96 src0_sel:BYTE_3 src1_sel:DWORD
	v_bfrev_b32_e32 v5, 1
	s_and_saveexec_b64 s[30:31], vcc
	s_cbranch_execz .LBB6_12184
; %bb.12181:                            ;   in Loop: Header=BB6_10567 Depth=3
	v_bfe_u32 v32, v24, 24, 7
	v_cmp_ne_u32_e32 vcc, s86, v32
	v_mov_b32_e32 v5, 0x7f800001
	s_and_saveexec_b64 s[34:35], vcc
	s_cbranch_execz .LBB6_12183
; %bb.12182:                            ;   in Loop: Header=BB6_10567 Depth=3
	v_and_b32_e32 v5, 7, v25
	v_ffbh_u32_e32 v0, v5
	v_lshrrev_b32_e32 v37, 3, v32
	v_cmp_gt_u32_e32 vcc, 8, v32
	v_min_u32_e32 v32, 32, v0
	v_subrev_u32_e32 v0, 28, v32
	v_lshlrev_b64 v[0:1], v0, v[25:26]
	v_sub_u32_e32 v1, 29, v32
	v_and_b32_e32 v0, 7, v0
	v_cndmask_b32_e32 v0, v5, v0, vcc
	v_mov_b32_e32 v5, 24
	v_cndmask_b32_e32 v1, v37, v1, vcc
	v_lshlrev_b32_sdwa v5, v5, v24 dst_sel:DWORD dst_unused:UNUSED_PAD src0_sel:DWORD src1_sel:BYTE_3
	v_bfrev_b32_e32 v24, 60
	v_lshlrev_b32_e32 v0, 20, v0
	v_and_b32_e32 v5, 0x80000000, v5
	v_lshl_add_u32 v1, v1, 23, v24
	v_or3_b32 v5, v5, v1, v0
.LBB6_12183:                            ;   in Loop: Header=BB6_10567 Depth=3
	s_or_b64 exec, exec, s[34:35]
.LBB6_12184:                            ;   in Loop: Header=BB6_10567 Depth=3
	s_or_b64 exec, exec, s[30:31]
.LBB6_12185:                            ;   in Loop: Header=BB6_10567 Depth=3
	s_or_b64 exec, exec, s[28:29]
	v_cmp_lt_u64_e32 vcc, s[56:57], v[20:21]
	s_and_saveexec_b64 s[28:29], vcc
	s_cbranch_execz .LBB6_12191
; %bb.12186:                            ;   in Loop: Header=BB6_10567 Depth=3
	v_lshrrev_b32_e32 v20, 24, v21
	v_cmp_ne_u32_e32 vcc, s96, v20
	v_bfrev_b32_e32 v4, 1
	s_and_saveexec_b64 s[30:31], vcc
	s_cbranch_execz .LBB6_12190
; %bb.12187:                            ;   in Loop: Header=BB6_10567 Depth=3
	v_bfe_u32 v21, v21, 24, 7
	v_cmp_ne_u32_e32 vcc, s86, v21
	v_mov_b32_e32 v4, 0x7f800001
	s_and_saveexec_b64 s[34:35], vcc
	s_cbranch_execz .LBB6_12189
; %bb.12188:                            ;   in Loop: Header=BB6_10567 Depth=3
	v_and_b32_e32 v4, 7, v20
	v_ffbh_u32_e32 v0, v4
	v_lshrrev_b32_e32 v24, 3, v21
	v_cmp_gt_u32_e32 vcc, 8, v21
	v_min_u32_e32 v21, 32, v0
	v_subrev_u32_e32 v0, 28, v21
	v_lshlrev_b64 v[0:1], v0, v[20:21]
	v_sub_u32_e32 v1, 29, v21
	v_and_b32_e32 v0, 7, v0
	v_cndmask_b32_e32 v1, v24, v1, vcc
	v_cndmask_b32_e32 v0, v4, v0, vcc
	v_lshlrev_b32_e32 v4, 24, v20
	v_bfrev_b32_e32 v20, 60
	v_lshlrev_b32_e32 v0, 20, v0
	v_and_b32_e32 v4, 0x80000000, v4
	v_lshl_add_u32 v1, v1, 23, v20
	v_or3_b32 v4, v4, v1, v0
.LBB6_12189:                            ;   in Loop: Header=BB6_10567 Depth=3
	s_or_b64 exec, exec, s[34:35]
.LBB6_12190:                            ;   in Loop: Header=BB6_10567 Depth=3
	s_or_b64 exec, exec, s[30:31]
.LBB6_12191:                            ;   in Loop: Header=BB6_10567 Depth=3
	s_or_b64 exec, exec, s[28:29]
	v_add_f32_e32 v4, v5, v4
	v_and_b32_e32 v0, 0x7f800000, v4
	v_mov_b32_e32 v1, v51
	v_cmp_ne_u64_e32 vcc, s[76:77], v[0:1]
                                        ; implicit-def: $vgpr0
                                        ; kill: killed $vgpr0
	s_and_saveexec_b64 s[28:29], vcc
	s_xor_b64 s[30:31], exec, s[28:29]
	s_cbranch_execz .LBB6_12205
; %bb.12192:                            ;   in Loop: Header=BB6_10567 Depth=3
	v_and_b32_e32 v0, 0x7fffffff, v4
	v_mov_b32_e32 v1, v51
	v_cmp_gt_u64_e32 vcc, s[78:79], v[0:1]
	v_and_b32_sdwa v24, v4, s96 dst_sel:DWORD dst_unused:UNUSED_PAD src0_sel:BYTE_3 src1_sel:DWORD
                                        ; implicit-def: $vgpr0
                                        ; kill: killed $vgpr0
	s_and_saveexec_b64 s[28:29], vcc
	s_xor_b64 s[34:35], exec, s[28:29]
	s_cbranch_execz .LBB6_12202
; %bb.12193:                            ;   in Loop: Header=BB6_10567 Depth=3
	v_mov_b32_e32 v0, 0
	v_cmp_ne_u32_e32 vcc, 0, v4
	buffer_store_dword v0, off, s[0:3], s33 offset:212 ; 4-byte Folded Spill
	s_and_saveexec_b64 s[36:37], vcc
	s_cbranch_execz .LBB6_12201
; %bb.12194:                            ;   in Loop: Header=BB6_10567 Depth=3
	v_bfe_u32 v25, v4, 23, 8
	v_cmp_gt_u32_e64 s[28:29], s97, v25
	v_sub_u32_e32 v1, 0x79, v25
	v_and_b32_e32 v0, 0x7fffff, v4
	v_cmp_eq_u32_e32 vcc, 0, v25
	v_cndmask_b32_e64 v1, 0, v1, s[28:29]
	v_mov_b32_e32 v5, 0x78
	v_or_b32_e32 v4, 0x800000, v0
	v_cndmask_b32_e32 v32, v1, v5, vcc
	v_cndmask_b32_e32 v0, v4, v0, vcc
	v_add_u32_e32 v4, 20, v32
	v_lshlrev_b64 v[4:5], v4, -1
	v_add_u32_e32 v20, 19, v32
	v_lshlrev_b64 v[20:21], v20, 1
	v_mov_b32_e32 v1, v51
	v_bfi_b32 v5, v5, 0, 0
	v_bfi_b32 v4, v4, 0, v0
	v_cmp_eq_u64_e64 s[28:29], v[4:5], v[20:21]
	v_lshrrev_b64 v[20:21], v32, v[0:1]
	v_mov_b32_e32 v4, v20
	v_mov_b32_e32 v5, v21
	s_and_saveexec_b64 s[38:39], s[28:29]
; %bb.12195:                            ;   in Loop: Header=BB6_10567 Depth=3
	v_bfe_u32 v0, v20, 20, 1
	v_add_co_u32_e64 v0, s[28:29], v20, v0
	v_add_co_u32_e64 v4, s[28:29], -1, v0
; %bb.12196:                            ;   in Loop: Header=BB6_10567 Depth=3
	s_or_b64 exec, exec, s[38:39]
	v_add_u32_e32 v0, 0xffffff81, v25
	v_mov_b32_e32 v1, 0xffffff82
	v_cndmask_b32_e32 v0, v0, v1, vcc
	v_lshrrev_b32_e32 v1, 23, v20
	v_add3_u32 v25, v32, v0, v1
	v_add_u32_e32 v5, 6, v25
	v_and_b32_e32 v0, 0xfffff, v4
	v_add_u32_e32 v20, v0, v20
	v_mov_b32_e32 v21, v51
	v_cmp_ne_u32_e32 vcc, 0, v5
                                        ; implicit-def: $vgpr4
	s_and_saveexec_b64 s[28:29], vcc
	s_xor_b64 s[28:29], exec, s[28:29]
; %bb.12197:                            ;   in Loop: Header=BB6_10567 Depth=3
	v_cmp_lt_u64_e32 vcc, s[88:89], v[20:21]
	v_add_u32_e32 v0, 7, v25
	v_cndmask_b32_e32 v4, v5, v0, vcc
	v_cndmask_b32_e64 v0, 0, 1, vcc
	v_lshrrev_b64 v[20:21], v0, v[20:21]
; %bb.12198:                            ;   in Loop: Header=BB6_10567 Depth=3
	s_andn2_saveexec_b64 s[28:29], s[28:29]
; %bb.12199:                            ;   in Loop: Header=BB6_10567 Depth=3
	v_bfe_u32 v4, v20, 23, 1
; %bb.12200:                            ;   in Loop: Header=BB6_10567 Depth=3
	s_or_b64 exec, exec, s[28:29]
	v_lshrrev_b64 v[0:1], 20, v[20:21]
	v_cmp_gt_i32_e32 vcc, 16, v4
	v_cndmask_b32_e32 v1, 0, v1, vcc
	v_cndmask_b32_e32 v0, 7, v0, vcc
	v_cmp_eq_u64_e64 s[28:29], 0, v[0:1]
	v_min_i32_e32 v1, 15, v4
	v_lshlrev_b32_e32 v1, 3, v1
	v_cmp_eq_u32_e32 vcc, 0, v4
	v_and_b32_e32 v1, 0xf8, v1
	v_and_or_b32 v0, v0, 7, v1
	s_and_b64 s[28:29], vcc, s[28:29]
	v_cndmask_b32_e64 v0, v0, 0, s[28:29]
	v_or_b32_e32 v0, v0, v24
	buffer_store_dword v0, off, s[0:3], s33 offset:212 ; 4-byte Folded Spill
.LBB6_12201:                            ;   in Loop: Header=BB6_10567 Depth=3
	s_or_b64 exec, exec, s[36:37]
                                        ; implicit-def: $vgpr24
.LBB6_12202:                            ;   in Loop: Header=BB6_10567 Depth=3
	s_andn2_saveexec_b64 s[28:29], s[34:35]
	s_cbranch_execz .LBB6_12204
; %bb.12203:                            ;   in Loop: Header=BB6_10567 Depth=3
	v_or_b32_e32 v0, 0x7e, v24
	buffer_store_dword v0, off, s[0:3], s33 offset:212 ; 4-byte Folded Spill
.LBB6_12204:                            ;   in Loop: Header=BB6_10567 Depth=3
	s_or_b64 exec, exec, s[28:29]
                                        ; implicit-def: $vgpr4
.LBB6_12205:                            ;   in Loop: Header=BB6_10567 Depth=3
	s_andn2_saveexec_b64 s[28:29], s[30:31]
	s_cbranch_execz .LBB6_12207
; %bb.12206:                            ;   in Loop: Header=BB6_10567 Depth=3
	v_or_b32_sdwa v0, v4, s86 dst_sel:DWORD dst_unused:UNUSED_PAD src0_sel:BYTE_3 src1_sel:DWORD
	buffer_store_dword v0, off, s[0:3], s33 offset:212 ; 4-byte Folded Spill
.LBB6_12207:                            ;   in Loop: Header=BB6_10567 Depth=3
	s_or_b64 exec, exec, s[28:29]
	v_lshl_or_b32 v3, v3, 8, v35
	v_lshlrev_b32_e32 v0, 16, v55
	v_lshlrev_b32_e32 v1, 24, v34
	v_or3_b32 v20, v0, v1, v3
	v_mov_b32_e32 v21, v51
	v_cmp_ne_u32_e32 vcc, 0, v35
	v_mov_b32_e32 v0, 0
	v_mov_b32_e32 v4, 0
	s_and_saveexec_b64 s[28:29], vcc
	s_cbranch_execz .LBB6_12213
; %bb.12208:                            ;   in Loop: Header=BB6_10567 Depth=3
	v_cmp_ne_u32_e32 vcc, s96, v35
	v_bfrev_b32_e32 v4, 1
	s_and_saveexec_b64 s[30:31], vcc
	s_cbranch_execz .LBB6_12212
; %bb.12209:                            ;   in Loop: Header=BB6_10567 Depth=3
	v_and_b32_e32 v5, 0x7f, v35
	v_cmp_ne_u32_e32 vcc, s86, v5
	v_mov_b32_e32 v4, 0x7f800001
	s_and_saveexec_b64 s[34:35], vcc
	s_cbranch_execz .LBB6_12211
; %bb.12210:                            ;   in Loop: Header=BB6_10567 Depth=3
	v_and_b32_e32 v1, 7, v35
	v_ffbh_u32_e32 v1, v1
	v_min_u32_e32 v1, 32, v1
	v_lshrrev_b32_e32 v4, 3, v5
	v_cmp_gt_u32_e32 vcc, 8, v5
	v_subrev_u32_e32 v5, 28, v1
	v_sub_u32_e32 v1, 29, v1
	v_cndmask_b32_e32 v1, v4, v1, vcc
	v_cndmask_b32_e32 v4, 0, v5, vcc
	v_lshlrev_b64 v[4:5], v4, v[20:21]
	v_lshlrev_b32_e32 v5, 24, v20
	v_lshlrev_b32_e32 v4, 20, v4
	v_bfrev_b32_e32 v21, 60
	v_and_b32_e32 v4, 0x700000, v4
	v_and_b32_e32 v5, 0x80000000, v5
	v_lshl_add_u32 v1, v1, 23, v21
	v_or3_b32 v4, v5, v1, v4
.LBB6_12211:                            ;   in Loop: Header=BB6_10567 Depth=3
	s_or_b64 exec, exec, s[34:35]
.LBB6_12212:                            ;   in Loop: Header=BB6_10567 Depth=3
	s_or_b64 exec, exec, s[30:31]
.LBB6_12213:                            ;   in Loop: Header=BB6_10567 Depth=3
	s_or_b64 exec, exec, s[28:29]
	v_cmp_ne_u16_sdwa vcc, v22, v51 src0_sel:BYTE_0 src1_sel:DWORD
	s_and_saveexec_b64 s[28:29], vcc
	s_cbranch_execz .LBB6_12219
; %bb.12214:                            ;   in Loop: Header=BB6_10567 Depth=3
	v_cmp_ne_u16_sdwa vcc, v22, s96 src0_sel:BYTE_0 src1_sel:DWORD
	v_bfrev_b32_e32 v0, 1
	s_and_saveexec_b64 s[30:31], vcc
	s_cbranch_execz .LBB6_12218
; %bb.12215:                            ;   in Loop: Header=BB6_10567 Depth=3
	v_and_b32_e32 v5, 0x7f, v22
	v_cmp_ne_u32_e32 vcc, s86, v5
	v_mov_b32_e32 v0, 0x7f800001
	s_and_saveexec_b64 s[34:35], vcc
	s_cbranch_execz .LBB6_12217
; %bb.12216:                            ;   in Loop: Header=BB6_10567 Depth=3
	v_and_b32_e32 v0, 7, v22
	v_ffbh_u32_e32 v0, v0
	v_min_u32_e32 v0, 32, v0
	v_lshrrev_b32_e32 v1, 3, v5
	v_cmp_gt_u32_e32 vcc, 8, v5
	v_subrev_u32_e32 v5, 28, v0
	v_sub_u32_e32 v0, 29, v0
	v_cndmask_b32_e32 v21, v1, v0, vcc
	v_cndmask_b32_e32 v0, 0, v5, vcc
	v_lshlrev_b64 v[0:1], v0, v[22:23]
	v_lshlrev_b32_e32 v1, 24, v22
	v_lshlrev_b32_e32 v0, 20, v0
	v_bfrev_b32_e32 v5, 60
	v_and_b32_e32 v0, 0x700000, v0
	v_and_b32_e32 v1, 0x80000000, v1
	v_lshl_add_u32 v5, v21, 23, v5
	v_or3_b32 v0, v1, v5, v0
.LBB6_12217:                            ;   in Loop: Header=BB6_10567 Depth=3
	s_or_b64 exec, exec, s[34:35]
.LBB6_12218:                            ;   in Loop: Header=BB6_10567 Depth=3
	s_or_b64 exec, exec, s[30:31]
.LBB6_12219:                            ;   in Loop: Header=BB6_10567 Depth=3
	s_or_b64 exec, exec, s[28:29]
	v_add_f32_e32 v4, v4, v0
	v_and_b32_e32 v0, 0x7f800000, v4
	v_mov_b32_e32 v1, v51
	v_cmp_ne_u64_e32 vcc, s[76:77], v[0:1]
                                        ; implicit-def: $vgpr34
	s_and_saveexec_b64 s[28:29], vcc
	s_xor_b64 s[30:31], exec, s[28:29]
	s_cbranch_execz .LBB6_12233
; %bb.12220:                            ;   in Loop: Header=BB6_10567 Depth=3
	v_and_b32_e32 v0, 0x7fffffff, v4
	v_mov_b32_e32 v1, v51
	v_cmp_gt_u64_e32 vcc, s[78:79], v[0:1]
	v_and_b32_sdwa v0, v4, s96 dst_sel:DWORD dst_unused:UNUSED_PAD src0_sel:BYTE_3 src1_sel:DWORD
                                        ; implicit-def: $vgpr34
	s_and_saveexec_b64 s[28:29], vcc
	s_xor_b64 s[34:35], exec, s[28:29]
	s_cbranch_execz .LBB6_12230
; %bb.12221:                            ;   in Loop: Header=BB6_10567 Depth=3
	v_mov_b32_e32 v34, 0
	v_cmp_ne_u32_e32 vcc, 0, v4
	s_and_saveexec_b64 s[36:37], vcc
	s_cbranch_execz .LBB6_12229
; %bb.12222:                            ;   in Loop: Header=BB6_10567 Depth=3
	v_bfe_u32 v21, v4, 23, 8
	v_and_b32_e32 v1, 0x7fffff, v4
	v_cmp_gt_u32_e64 s[28:29], s97, v21
	v_sub_u32_e32 v4, 0x79, v21
	v_cmp_eq_u32_e32 vcc, 0, v21
	v_cndmask_b32_e64 v4, 0, v4, s[28:29]
	v_mov_b32_e32 v24, 0x78
	v_or_b32_e32 v5, 0x800000, v1
	v_cndmask_b32_e32 v32, v4, v24, vcc
	v_cndmask_b32_e32 v4, v5, v1, vcc
	v_add_u32_e32 v1, 20, v32
	v_lshlrev_b64 v[24:25], v1, -1
	v_add_u32_e32 v1, 19, v32
	v_lshlrev_b64 v[34:35], v1, 1
	v_mov_b32_e32 v5, v51
	v_bfi_b32 v25, v25, 0, 0
	v_bfi_b32 v24, v24, 0, v4
	v_cmp_eq_u64_e64 s[28:29], v[24:25], v[34:35]
	v_lshrrev_b64 v[24:25], v32, v[4:5]
	v_mov_b32_e32 v4, v24
	v_mov_b32_e32 v5, v25
	s_and_saveexec_b64 s[38:39], s[28:29]
; %bb.12223:                            ;   in Loop: Header=BB6_10567 Depth=3
	v_bfe_u32 v1, v24, 20, 1
	v_add_co_u32_e64 v1, s[28:29], v24, v1
	v_add_co_u32_e64 v4, s[28:29], -1, v1
; %bb.12224:                            ;   in Loop: Header=BB6_10567 Depth=3
	s_or_b64 exec, exec, s[38:39]
	v_add_u32_e32 v1, 0xffffff81, v21
	v_mov_b32_e32 v5, 0xffffff82
	v_cndmask_b32_e32 v1, v1, v5, vcc
	v_lshrrev_b32_e32 v5, 23, v24
	v_add3_u32 v21, v32, v1, v5
	v_add_u32_e32 v5, 6, v21
	v_and_b32_e32 v1, 0xfffff, v4
	v_add_u32_e32 v24, v1, v24
	v_mov_b32_e32 v25, v51
	v_cmp_ne_u32_e32 vcc, 0, v5
                                        ; implicit-def: $vgpr4
	s_and_saveexec_b64 s[28:29], vcc
	s_xor_b64 s[28:29], exec, s[28:29]
; %bb.12225:                            ;   in Loop: Header=BB6_10567 Depth=3
	v_cmp_lt_u64_e32 vcc, s[88:89], v[24:25]
	v_add_u32_e32 v1, 7, v21
	v_cndmask_b32_e32 v4, v5, v1, vcc
	v_cndmask_b32_e64 v1, 0, 1, vcc
	v_lshrrev_b64 v[24:25], v1, v[24:25]
; %bb.12226:                            ;   in Loop: Header=BB6_10567 Depth=3
	s_andn2_saveexec_b64 s[28:29], s[28:29]
; %bb.12227:                            ;   in Loop: Header=BB6_10567 Depth=3
	v_bfe_u32 v4, v24, 23, 1
; %bb.12228:                            ;   in Loop: Header=BB6_10567 Depth=3
	s_or_b64 exec, exec, s[28:29]
	v_lshrrev_b64 v[24:25], 20, v[24:25]
	v_cmp_gt_i32_e32 vcc, 16, v4
	v_cndmask_b32_e32 v25, 0, v25, vcc
	v_cndmask_b32_e32 v24, 7, v24, vcc
	v_min_i32_e32 v1, 15, v4
	v_cmp_eq_u64_e64 s[28:29], 0, v[24:25]
	v_lshlrev_b32_e32 v1, 3, v1
	v_cmp_eq_u32_e32 vcc, 0, v4
	v_and_b32_e32 v1, 0xf8, v1
	v_and_or_b32 v1, v24, 7, v1
	s_and_b64 s[28:29], vcc, s[28:29]
	v_cndmask_b32_e64 v1, v1, 0, s[28:29]
	v_or_b32_e32 v34, v1, v0
.LBB6_12229:                            ;   in Loop: Header=BB6_10567 Depth=3
	s_or_b64 exec, exec, s[36:37]
                                        ; implicit-def: $vgpr0
.LBB6_12230:                            ;   in Loop: Header=BB6_10567 Depth=3
	s_andn2_saveexec_b64 s[28:29], s[34:35]
; %bb.12231:                            ;   in Loop: Header=BB6_10567 Depth=3
	v_or_b32_e32 v34, 0x7e, v0
; %bb.12232:                            ;   in Loop: Header=BB6_10567 Depth=3
	s_or_b64 exec, exec, s[28:29]
                                        ; implicit-def: $vgpr4
.LBB6_12233:                            ;   in Loop: Header=BB6_10567 Depth=3
	s_andn2_saveexec_b64 s[28:29], s[30:31]
; %bb.12234:                            ;   in Loop: Header=BB6_10567 Depth=3
	v_or_b32_sdwa v34, v4, s86 dst_sel:DWORD dst_unused:UNUSED_PAD src0_sel:BYTE_3 src1_sel:DWORD
; %bb.12235:                            ;   in Loop: Header=BB6_10567 Depth=3
	s_or_b64 exec, exec, s[28:29]
	v_lshrrev_b16_e32 v21, 8, v3
	v_cmp_ne_u16_e32 vcc, 0, v21
	v_mov_b32_e32 v0, 0
	v_mov_b32_e32 v4, 0
	s_and_saveexec_b64 s[28:29], vcc
	s_cbranch_execz .LBB6_12241
; %bb.12236:                            ;   in Loop: Header=BB6_10567 Depth=3
	v_cmp_ne_u16_e32 vcc, s96, v21
	v_bfrev_b32_e32 v4, 1
	s_and_saveexec_b64 s[30:31], vcc
	s_cbranch_execz .LBB6_12240
; %bb.12237:                            ;   in Loop: Header=BB6_10567 Depth=3
	v_and_b32_e32 v5, 0x7f, v21
	v_cmp_ne_u32_e32 vcc, s86, v5
	v_mov_b32_e32 v4, 0x7f800001
	s_and_saveexec_b64 s[34:35], vcc
	s_cbranch_execz .LBB6_12239
; %bb.12238:                            ;   in Loop: Header=BB6_10567 Depth=3
	v_and_b32_e32 v1, 7, v21
	v_ffbh_u32_e32 v4, v1
	v_min_u32_e32 v25, 32, v4
	v_subrev_u32_e32 v4, 28, v25
	v_lshrrev_b32_e32 v24, 3, v5
	v_cmp_gt_u32_e32 vcc, 8, v5
	v_lshlrev_b64 v[4:5], v4, v[21:22]
	v_sub_u32_e32 v5, 29, v25
	v_and_b32_e32 v4, 7, v4
	v_cndmask_b32_e32 v5, v24, v5, vcc
	v_cndmask_b32_e32 v1, v1, v4, vcc
	v_lshlrev_b32_e32 v3, 16, v3
	v_bfrev_b32_e32 v4, 60
	v_lshlrev_b32_e32 v1, 20, v1
	v_and_b32_e32 v3, 0x80000000, v3
	v_lshl_add_u32 v4, v5, 23, v4
	v_or3_b32 v4, v3, v4, v1
.LBB6_12239:                            ;   in Loop: Header=BB6_10567 Depth=3
	s_or_b64 exec, exec, s[34:35]
.LBB6_12240:                            ;   in Loop: Header=BB6_10567 Depth=3
	s_or_b64 exec, exec, s[30:31]
.LBB6_12241:                            ;   in Loop: Header=BB6_10567 Depth=3
	s_or_b64 exec, exec, s[28:29]
	v_lshrrev_b16_e32 v21, 8, v22
	v_cmp_ne_u16_e32 vcc, 0, v21
	s_and_saveexec_b64 s[28:29], vcc
	s_cbranch_execz .LBB6_12247
; %bb.12242:                            ;   in Loop: Header=BB6_10567 Depth=3
	v_cmp_ne_u16_e32 vcc, s96, v21
	v_bfrev_b32_e32 v0, 1
	s_and_saveexec_b64 s[30:31], vcc
	s_cbranch_execz .LBB6_12246
; %bb.12243:                            ;   in Loop: Header=BB6_10567 Depth=3
	v_and_b32_e32 v3, 0x7f, v21
	v_cmp_ne_u32_e32 vcc, s86, v3
	v_mov_b32_e32 v0, 0x7f800001
	s_and_saveexec_b64 s[34:35], vcc
	s_cbranch_execz .LBB6_12245
; %bb.12244:                            ;   in Loop: Header=BB6_10567 Depth=3
	v_and_b32_e32 v5, 7, v21
	v_ffbh_u32_e32 v0, v5
	v_lshrrev_b32_e32 v24, 3, v3
	v_cmp_gt_u32_e32 vcc, 8, v3
	v_min_u32_e32 v3, 32, v0
	v_subrev_u32_e32 v0, 28, v3
	v_lshlrev_b64 v[0:1], v0, v[21:22]
	v_sub_u32_e32 v1, 29, v3
	v_and_b32_e32 v0, 7, v0
	v_cndmask_b32_e32 v1, v24, v1, vcc
	v_cndmask_b32_e32 v0, v5, v0, vcc
	v_lshlrev_b32_e32 v3, 16, v22
	v_bfrev_b32_e32 v5, 60
	v_lshlrev_b32_e32 v0, 20, v0
	v_and_b32_e32 v3, 0x80000000, v3
	v_lshl_add_u32 v1, v1, 23, v5
	v_or3_b32 v0, v3, v1, v0
.LBB6_12245:                            ;   in Loop: Header=BB6_10567 Depth=3
	s_or_b64 exec, exec, s[34:35]
.LBB6_12246:                            ;   in Loop: Header=BB6_10567 Depth=3
	s_or_b64 exec, exec, s[30:31]
.LBB6_12247:                            ;   in Loop: Header=BB6_10567 Depth=3
	s_or_b64 exec, exec, s[28:29]
	v_add_f32_e32 v3, v4, v0
	v_and_b32_e32 v0, 0x7f800000, v3
	v_mov_b32_e32 v1, v51
	v_cmp_ne_u64_e32 vcc, s[76:77], v[0:1]
                                        ; implicit-def: $vgpr0
                                        ; kill: killed $vgpr0
	s_and_saveexec_b64 s[28:29], vcc
	s_xor_b64 s[30:31], exec, s[28:29]
	s_cbranch_execz .LBB6_12261
; %bb.12248:                            ;   in Loop: Header=BB6_10567 Depth=3
	v_and_b32_e32 v0, 0x7fffffff, v3
	v_mov_b32_e32 v1, v51
	v_cmp_gt_u64_e32 vcc, s[78:79], v[0:1]
	v_and_b32_sdwa v0, v3, s96 dst_sel:DWORD dst_unused:UNUSED_PAD src0_sel:BYTE_3 src1_sel:DWORD
                                        ; implicit-def: $vgpr1
                                        ; kill: killed $vgpr1
	s_and_saveexec_b64 s[28:29], vcc
	s_xor_b64 s[34:35], exec, s[28:29]
	s_cbranch_execz .LBB6_12258
; %bb.12249:                            ;   in Loop: Header=BB6_10567 Depth=3
	v_mov_b32_e32 v1, 0
	v_cmp_ne_u32_e32 vcc, 0, v3
	buffer_store_dword v1, off, s[0:3], s33 offset:244 ; 4-byte Folded Spill
	s_and_saveexec_b64 s[36:37], vcc
	s_cbranch_execz .LBB6_12257
; %bb.12250:                            ;   in Loop: Header=BB6_10567 Depth=3
	v_and_b32_e32 v1, 0x7fffff, v3
	v_bfe_u32 v3, v3, 23, 8
	v_cmp_gt_u32_e64 s[28:29], s97, v3
	v_sub_u32_e32 v4, 0x79, v3
	v_cmp_eq_u32_e32 vcc, 0, v3
	v_cndmask_b32_e64 v4, 0, v4, s[28:29]
	v_mov_b32_e32 v21, 0x78
	v_or_b32_e32 v5, 0x800000, v1
	v_cndmask_b32_e32 v21, v4, v21, vcc
	v_cndmask_b32_e32 v4, v5, v1, vcc
	v_add_u32_e32 v1, 20, v21
	v_lshlrev_b64 v[24:25], v1, -1
	v_add_u32_e32 v1, 19, v21
	v_mov_b32_e32 v32, v34
	v_lshlrev_b64 v[34:35], v1, 1
	v_mov_b32_e32 v5, v51
	v_bfi_b32 v25, v25, 0, 0
	v_bfi_b32 v24, v24, 0, v4
	v_cmp_eq_u64_e64 s[28:29], v[24:25], v[34:35]
	v_lshrrev_b64 v[24:25], v21, v[4:5]
	v_mov_b32_e32 v4, v24
	v_mov_b32_e32 v5, v25
	s_and_saveexec_b64 s[38:39], s[28:29]
; %bb.12251:                            ;   in Loop: Header=BB6_10567 Depth=3
	v_bfe_u32 v1, v24, 20, 1
	v_add_co_u32_e64 v1, s[28:29], v24, v1
	v_add_co_u32_e64 v4, s[28:29], -1, v1
; %bb.12252:                            ;   in Loop: Header=BB6_10567 Depth=3
	s_or_b64 exec, exec, s[38:39]
	v_add_u32_e32 v1, 0xffffff81, v3
	v_mov_b32_e32 v3, 0xffffff82
	v_cndmask_b32_e32 v1, v1, v3, vcc
	v_lshrrev_b32_e32 v3, 23, v24
	v_add3_u32 v21, v21, v1, v3
	v_add_u32_e32 v5, 6, v21
	v_and_b32_e32 v1, 0xfffff, v4
	v_add_u32_e32 v24, v1, v24
	v_mov_b32_e32 v25, v51
	v_cmp_ne_u32_e32 vcc, 0, v5
                                        ; implicit-def: $vgpr3
	s_and_saveexec_b64 s[28:29], vcc
	s_xor_b64 s[28:29], exec, s[28:29]
; %bb.12253:                            ;   in Loop: Header=BB6_10567 Depth=3
	v_cmp_lt_u64_e32 vcc, s[88:89], v[24:25]
	v_add_u32_e32 v1, 7, v21
	v_cndmask_b32_e32 v3, v5, v1, vcc
	v_cndmask_b32_e64 v1, 0, 1, vcc
	v_lshrrev_b64 v[24:25], v1, v[24:25]
; %bb.12254:                            ;   in Loop: Header=BB6_10567 Depth=3
	s_or_saveexec_b64 s[28:29], s[28:29]
	v_mov_b32_e32 v34, v32
	s_xor_b64 exec, exec, s[28:29]
; %bb.12255:                            ;   in Loop: Header=BB6_10567 Depth=3
	v_bfe_u32 v3, v24, 23, 1
; %bb.12256:                            ;   in Loop: Header=BB6_10567 Depth=3
	s_or_b64 exec, exec, s[28:29]
	v_lshrrev_b64 v[4:5], 20, v[24:25]
	v_cmp_gt_i32_e32 vcc, 16, v3
	v_cndmask_b32_e32 v5, 0, v5, vcc
	v_cndmask_b32_e32 v4, 7, v4, vcc
	v_min_i32_e32 v1, 15, v3
	v_cmp_eq_u64_e64 s[28:29], 0, v[4:5]
	v_lshlrev_b32_e32 v1, 3, v1
	v_cmp_eq_u32_e32 vcc, 0, v3
	v_and_b32_e32 v1, 0xf8, v1
	v_and_or_b32 v1, v4, 7, v1
	s_and_b64 s[28:29], vcc, s[28:29]
	v_cndmask_b32_e64 v1, v1, 0, s[28:29]
	v_or_b32_e32 v0, v1, v0
	buffer_store_dword v0, off, s[0:3], s33 offset:244 ; 4-byte Folded Spill
.LBB6_12257:                            ;   in Loop: Header=BB6_10567 Depth=3
	s_or_b64 exec, exec, s[36:37]
                                        ; implicit-def: $vgpr0
.LBB6_12258:                            ;   in Loop: Header=BB6_10567 Depth=3
	s_andn2_saveexec_b64 s[28:29], s[34:35]
	s_cbranch_execz .LBB6_12260
; %bb.12259:                            ;   in Loop: Header=BB6_10567 Depth=3
	v_or_b32_e32 v0, 0x7e, v0
	buffer_store_dword v0, off, s[0:3], s33 offset:244 ; 4-byte Folded Spill
.LBB6_12260:                            ;   in Loop: Header=BB6_10567 Depth=3
	s_or_b64 exec, exec, s[28:29]
                                        ; implicit-def: $vgpr3
.LBB6_12261:                            ;   in Loop: Header=BB6_10567 Depth=3
	s_andn2_saveexec_b64 s[28:29], s[30:31]
	s_cbranch_execz .LBB6_12263
; %bb.12262:                            ;   in Loop: Header=BB6_10567 Depth=3
	v_or_b32_sdwa v0, v3, s86 dst_sel:DWORD dst_unused:UNUSED_PAD src0_sel:BYTE_3 src1_sel:DWORD
	buffer_store_dword v0, off, s[0:3], s33 offset:244 ; 4-byte Folded Spill
.LBB6_12263:                            ;   in Loop: Header=BB6_10567 Depth=3
	s_or_b64 exec, exec, s[28:29]
	v_lshrrev_b32_e32 v21, 16, v20
	v_cmp_ne_u16_sdwa vcc, v21, v51 src0_sel:BYTE_0 src1_sel:DWORD
	v_mov_b32_e32 v0, 0
	v_mov_b32_e32 v3, 0
	s_and_saveexec_b64 s[28:29], vcc
	s_cbranch_execz .LBB6_12269
; %bb.12264:                            ;   in Loop: Header=BB6_10567 Depth=3
	v_cmp_ne_u16_sdwa vcc, v21, s96 src0_sel:BYTE_0 src1_sel:DWORD
	v_bfrev_b32_e32 v3, 1
	s_and_saveexec_b64 s[30:31], vcc
	s_cbranch_execz .LBB6_12268
; %bb.12265:                            ;   in Loop: Header=BB6_10567 Depth=3
	v_bfe_u32 v4, v20, 16, 7
	v_cmp_ne_u32_e32 vcc, s86, v4
	v_mov_b32_e32 v3, 0x7f800001
	s_and_saveexec_b64 s[34:35], vcc
	s_cbranch_execz .LBB6_12267
; %bb.12266:                            ;   in Loop: Header=BB6_10567 Depth=3
	v_and_b32_e32 v1, 7, v21
	v_ffbh_u32_e32 v3, v1
	v_min_u32_e32 v24, 32, v3
	v_subrev_u32_e32 v3, 28, v24
	v_lshrrev_b32_e32 v5, 3, v4
	v_cmp_gt_u32_e32 vcc, 8, v4
	v_lshlrev_b64 v[3:4], v3, v[21:22]
	v_sub_u32_e32 v4, 29, v24
	v_and_b32_e32 v3, 7, v3
	v_cndmask_b32_e32 v4, v5, v4, vcc
	v_cndmask_b32_e32 v1, v1, v3, vcc
	v_lshlrev_b32_e32 v3, 24, v21
	v_bfrev_b32_e32 v5, 60
	v_lshlrev_b32_e32 v1, 20, v1
	v_and_b32_e32 v3, 0x80000000, v3
	v_lshl_add_u32 v4, v4, 23, v5
	v_or3_b32 v3, v3, v4, v1
.LBB6_12267:                            ;   in Loop: Header=BB6_10567 Depth=3
	s_or_b64 exec, exec, s[34:35]
.LBB6_12268:                            ;   in Loop: Header=BB6_10567 Depth=3
	s_or_b64 exec, exec, s[30:31]
.LBB6_12269:                            ;   in Loop: Header=BB6_10567 Depth=3
	s_or_b64 exec, exec, s[28:29]
	v_lshrrev_b32_e32 v21, 16, v22
	v_cmp_ne_u16_sdwa vcc, v21, v51 src0_sel:BYTE_0 src1_sel:DWORD
	s_and_saveexec_b64 s[28:29], vcc
	s_cbranch_execz .LBB6_12275
; %bb.12270:                            ;   in Loop: Header=BB6_10567 Depth=3
	v_cmp_ne_u16_sdwa vcc, v21, s96 src0_sel:BYTE_0 src1_sel:DWORD
	v_bfrev_b32_e32 v0, 1
	s_and_saveexec_b64 s[30:31], vcc
	s_cbranch_execz .LBB6_12274
; %bb.12271:                            ;   in Loop: Header=BB6_10567 Depth=3
	v_bfe_u32 v4, v22, 16, 7
	v_cmp_ne_u32_e32 vcc, s86, v4
	v_mov_b32_e32 v0, 0x7f800001
	s_and_saveexec_b64 s[34:35], vcc
	s_cbranch_execz .LBB6_12273
; %bb.12272:                            ;   in Loop: Header=BB6_10567 Depth=3
	v_and_b32_e32 v5, 7, v21
	v_ffbh_u32_e32 v0, v5
	v_lshrrev_b32_e32 v24, 3, v4
	v_cmp_gt_u32_e32 vcc, 8, v4
	v_min_u32_e32 v4, 32, v0
	v_subrev_u32_e32 v0, 28, v4
	v_lshlrev_b64 v[0:1], v0, v[21:22]
	v_sub_u32_e32 v1, 29, v4
	v_and_b32_e32 v0, 7, v0
	v_cndmask_b32_e32 v1, v24, v1, vcc
	v_cndmask_b32_e32 v0, v5, v0, vcc
	v_lshlrev_b32_e32 v4, 8, v22
	v_bfrev_b32_e32 v5, 60
	v_lshlrev_b32_e32 v0, 20, v0
	v_and_b32_e32 v4, 0x80000000, v4
	v_lshl_add_u32 v1, v1, 23, v5
	v_or3_b32 v0, v4, v1, v0
.LBB6_12273:                            ;   in Loop: Header=BB6_10567 Depth=3
	s_or_b64 exec, exec, s[34:35]
.LBB6_12274:                            ;   in Loop: Header=BB6_10567 Depth=3
	s_or_b64 exec, exec, s[30:31]
.LBB6_12275:                            ;   in Loop: Header=BB6_10567 Depth=3
	s_or_b64 exec, exec, s[28:29]
	v_add_f32_e32 v3, v3, v0
	v_and_b32_e32 v0, 0x7f800000, v3
	v_mov_b32_e32 v1, v51
	v_cmp_ne_u64_e32 vcc, s[76:77], v[0:1]
                                        ; implicit-def: $vgpr0
                                        ; kill: killed $vgpr0
	s_and_saveexec_b64 s[28:29], vcc
	s_xor_b64 s[30:31], exec, s[28:29]
	s_cbranch_execz .LBB6_12289
; %bb.12276:                            ;   in Loop: Header=BB6_10567 Depth=3
	v_and_b32_e32 v0, 0x7fffffff, v3
	v_mov_b32_e32 v1, v51
	v_cmp_gt_u64_e32 vcc, s[78:79], v[0:1]
	v_and_b32_sdwa v0, v3, s96 dst_sel:DWORD dst_unused:UNUSED_PAD src0_sel:BYTE_3 src1_sel:DWORD
                                        ; implicit-def: $vgpr1
                                        ; kill: killed $vgpr1
	s_and_saveexec_b64 s[28:29], vcc
	s_xor_b64 s[34:35], exec, s[28:29]
	s_cbranch_execz .LBB6_12286
; %bb.12277:                            ;   in Loop: Header=BB6_10567 Depth=3
	v_mov_b32_e32 v1, 0
	v_cmp_ne_u32_e32 vcc, 0, v3
	buffer_store_dword v1, off, s[0:3], s33 offset:268 ; 4-byte Folded Spill
	s_and_saveexec_b64 s[36:37], vcc
	s_cbranch_execz .LBB6_12285
; %bb.12278:                            ;   in Loop: Header=BB6_10567 Depth=3
	v_and_b32_e32 v1, 0x7fffff, v3
	v_bfe_u32 v3, v3, 23, 8
	v_cmp_gt_u32_e64 s[28:29], s97, v3
	v_sub_u32_e32 v4, 0x79, v3
	v_cmp_eq_u32_e32 vcc, 0, v3
	v_cndmask_b32_e64 v4, 0, v4, s[28:29]
	v_mov_b32_e32 v21, 0x78
	v_or_b32_e32 v5, 0x800000, v1
	v_cndmask_b32_e32 v21, v4, v21, vcc
	v_cndmask_b32_e32 v4, v5, v1, vcc
	v_add_u32_e32 v1, 20, v21
	v_lshlrev_b64 v[24:25], v1, -1
	v_add_u32_e32 v1, 19, v21
	v_mov_b32_e32 v32, v34
	v_lshlrev_b64 v[34:35], v1, 1
	v_mov_b32_e32 v5, v51
	v_bfi_b32 v25, v25, 0, 0
	v_bfi_b32 v24, v24, 0, v4
	v_cmp_eq_u64_e64 s[28:29], v[24:25], v[34:35]
	v_lshrrev_b64 v[24:25], v21, v[4:5]
	v_mov_b32_e32 v4, v24
	v_mov_b32_e32 v5, v25
	s_and_saveexec_b64 s[38:39], s[28:29]
; %bb.12279:                            ;   in Loop: Header=BB6_10567 Depth=3
	v_bfe_u32 v1, v24, 20, 1
	v_add_co_u32_e64 v1, s[28:29], v24, v1
	v_add_co_u32_e64 v4, s[28:29], -1, v1
; %bb.12280:                            ;   in Loop: Header=BB6_10567 Depth=3
	s_or_b64 exec, exec, s[38:39]
	v_add_u32_e32 v1, 0xffffff81, v3
	v_mov_b32_e32 v3, 0xffffff82
	v_cndmask_b32_e32 v1, v1, v3, vcc
	v_lshrrev_b32_e32 v3, 23, v24
	v_add3_u32 v21, v21, v1, v3
	v_add_u32_e32 v5, 6, v21
	v_and_b32_e32 v1, 0xfffff, v4
	v_add_u32_e32 v24, v1, v24
	v_mov_b32_e32 v25, v51
	v_cmp_ne_u32_e32 vcc, 0, v5
                                        ; implicit-def: $vgpr3
	s_and_saveexec_b64 s[28:29], vcc
	s_xor_b64 s[28:29], exec, s[28:29]
; %bb.12281:                            ;   in Loop: Header=BB6_10567 Depth=3
	v_cmp_lt_u64_e32 vcc, s[88:89], v[24:25]
	v_add_u32_e32 v1, 7, v21
	v_cndmask_b32_e32 v3, v5, v1, vcc
	v_cndmask_b32_e64 v1, 0, 1, vcc
	v_lshrrev_b64 v[24:25], v1, v[24:25]
; %bb.12282:                            ;   in Loop: Header=BB6_10567 Depth=3
	s_or_saveexec_b64 s[28:29], s[28:29]
	v_mov_b32_e32 v34, v32
	s_xor_b64 exec, exec, s[28:29]
; %bb.12283:                            ;   in Loop: Header=BB6_10567 Depth=3
	v_bfe_u32 v3, v24, 23, 1
; %bb.12284:                            ;   in Loop: Header=BB6_10567 Depth=3
	s_or_b64 exec, exec, s[28:29]
	v_lshrrev_b64 v[4:5], 20, v[24:25]
	v_cmp_gt_i32_e32 vcc, 16, v3
	v_cndmask_b32_e32 v5, 0, v5, vcc
	v_cndmask_b32_e32 v4, 7, v4, vcc
	v_min_i32_e32 v1, 15, v3
	v_cmp_eq_u64_e64 s[28:29], 0, v[4:5]
	v_lshlrev_b32_e32 v1, 3, v1
	v_cmp_eq_u32_e32 vcc, 0, v3
	v_and_b32_e32 v1, 0xf8, v1
	v_and_or_b32 v1, v4, 7, v1
	s_and_b64 s[28:29], vcc, s[28:29]
	v_cndmask_b32_e64 v1, v1, 0, s[28:29]
	v_or_b32_e32 v0, v1, v0
	buffer_store_dword v0, off, s[0:3], s33 offset:268 ; 4-byte Folded Spill
.LBB6_12285:                            ;   in Loop: Header=BB6_10567 Depth=3
	s_or_b64 exec, exec, s[36:37]
                                        ; implicit-def: $vgpr0
.LBB6_12286:                            ;   in Loop: Header=BB6_10567 Depth=3
	s_andn2_saveexec_b64 s[28:29], s[34:35]
	s_cbranch_execz .LBB6_12288
; %bb.12287:                            ;   in Loop: Header=BB6_10567 Depth=3
	v_or_b32_e32 v0, 0x7e, v0
	buffer_store_dword v0, off, s[0:3], s33 offset:268 ; 4-byte Folded Spill
.LBB6_12288:                            ;   in Loop: Header=BB6_10567 Depth=3
	s_or_b64 exec, exec, s[28:29]
                                        ; implicit-def: $vgpr3
.LBB6_12289:                            ;   in Loop: Header=BB6_10567 Depth=3
	s_andn2_saveexec_b64 s[28:29], s[30:31]
	s_cbranch_execz .LBB6_12291
; %bb.12290:                            ;   in Loop: Header=BB6_10567 Depth=3
	v_or_b32_sdwa v0, v3, s86 dst_sel:DWORD dst_unused:UNUSED_PAD src0_sel:BYTE_3 src1_sel:DWORD
	buffer_store_dword v0, off, s[0:3], s33 offset:268 ; 4-byte Folded Spill
.LBB6_12291:                            ;   in Loop: Header=BB6_10567 Depth=3
	s_or_b64 exec, exec, s[28:29]
	v_cmp_lt_u32_e32 vcc, s57, v20
	v_mov_b32_e32 v0, 0
	v_mov_b32_e32 v3, 0
	s_and_saveexec_b64 s[28:29], vcc
	s_cbranch_execz .LBB6_12297
; %bb.12292:                            ;   in Loop: Header=BB6_10567 Depth=3
	v_lshrrev_b32_e32 v21, 24, v20
	v_cmp_ne_u32_sdwa vcc, v20, s96 src0_sel:BYTE_3 src1_sel:DWORD
	v_bfrev_b32_e32 v3, 1
	s_and_saveexec_b64 s[30:31], vcc
	s_cbranch_execz .LBB6_12296
; %bb.12293:                            ;   in Loop: Header=BB6_10567 Depth=3
	v_bfe_u32 v4, v20, 24, 7
	v_cmp_ne_u32_e32 vcc, s86, v4
	v_mov_b32_e32 v3, 0x7f800001
	s_and_saveexec_b64 s[34:35], vcc
	s_cbranch_execz .LBB6_12295
; %bb.12294:                            ;   in Loop: Header=BB6_10567 Depth=3
	v_and_b32_e32 v1, 7, v21
	v_ffbh_u32_e32 v3, v1
	v_min_u32_e32 v24, 32, v3
	v_subrev_u32_e32 v3, 28, v24
	v_lshrrev_b32_e32 v5, 3, v4
	v_cmp_gt_u32_e32 vcc, 8, v4
	v_lshlrev_b64 v[3:4], v3, v[21:22]
	v_sub_u32_e32 v4, 29, v24
	v_and_b32_e32 v3, 7, v3
	v_cndmask_b32_e32 v1, v1, v3, vcc
	v_mov_b32_e32 v3, 24
	v_cndmask_b32_e32 v4, v5, v4, vcc
	v_lshlrev_b32_sdwa v3, v3, v20 dst_sel:DWORD dst_unused:UNUSED_PAD src0_sel:DWORD src1_sel:BYTE_3
	v_bfrev_b32_e32 v5, 60
	v_lshlrev_b32_e32 v1, 20, v1
	v_and_b32_e32 v3, 0x80000000, v3
	v_lshl_add_u32 v4, v4, 23, v5
	v_or3_b32 v3, v3, v4, v1
.LBB6_12295:                            ;   in Loop: Header=BB6_10567 Depth=3
	s_or_b64 exec, exec, s[34:35]
.LBB6_12296:                            ;   in Loop: Header=BB6_10567 Depth=3
	s_or_b64 exec, exec, s[30:31]
.LBB6_12297:                            ;   in Loop: Header=BB6_10567 Depth=3
	s_or_b64 exec, exec, s[28:29]
	v_cmp_lt_u32_e32 vcc, s57, v22
	s_and_saveexec_b64 s[28:29], vcc
	s_cbranch_execz .LBB6_12303
; %bb.12298:                            ;   in Loop: Header=BB6_10567 Depth=3
	v_lshrrev_b32_e32 v20, 24, v22
	v_cmp_ne_u32_e32 vcc, s96, v20
	v_bfrev_b32_e32 v0, 1
	s_and_saveexec_b64 s[30:31], vcc
	s_cbranch_execz .LBB6_12302
; %bb.12299:                            ;   in Loop: Header=BB6_10567 Depth=3
	v_bfe_u32 v4, v22, 24, 7
	v_cmp_ne_u32_e32 vcc, s86, v4
	v_mov_b32_e32 v0, 0x7f800001
	s_and_saveexec_b64 s[34:35], vcc
	s_cbranch_execz .LBB6_12301
; %bb.12300:                            ;   in Loop: Header=BB6_10567 Depth=3
	v_and_b32_e32 v5, 7, v20
	v_ffbh_u32_e32 v0, v5
	v_lshrrev_b32_e32 v21, 3, v4
	v_cmp_gt_u32_e32 vcc, 8, v4
	v_min_u32_e32 v4, 32, v0
	v_subrev_u32_e32 v0, 28, v4
	v_lshlrev_b64 v[0:1], v0, v[20:21]
	v_sub_u32_e32 v1, 29, v4
	v_and_b32_e32 v0, 7, v0
	v_cndmask_b32_e32 v1, v21, v1, vcc
	v_cndmask_b32_e32 v0, v5, v0, vcc
	v_lshlrev_b32_e32 v4, 24, v20
	v_bfrev_b32_e32 v5, 60
	v_lshlrev_b32_e32 v0, 20, v0
	v_and_b32_e32 v4, 0x80000000, v4
	v_lshl_add_u32 v1, v1, 23, v5
	v_or3_b32 v0, v4, v1, v0
.LBB6_12301:                            ;   in Loop: Header=BB6_10567 Depth=3
	s_or_b64 exec, exec, s[34:35]
.LBB6_12302:                            ;   in Loop: Header=BB6_10567 Depth=3
	s_or_b64 exec, exec, s[30:31]
.LBB6_12303:                            ;   in Loop: Header=BB6_10567 Depth=3
	s_or_b64 exec, exec, s[28:29]
	v_add_f32_e32 v3, v3, v0
	v_and_b32_e32 v0, 0x7f800000, v3
	v_mov_b32_e32 v1, v51
	v_cmp_ne_u64_e32 vcc, s[76:77], v[0:1]
                                        ; implicit-def: $vgpr0
                                        ; kill: killed $vgpr0
	s_and_saveexec_b64 s[28:29], vcc
	s_xor_b64 s[30:31], exec, s[28:29]
	s_cbranch_execz .LBB6_12317
; %bb.12304:                            ;   in Loop: Header=BB6_10567 Depth=3
	v_and_b32_e32 v0, 0x7fffffff, v3
	v_mov_b32_e32 v1, v51
	v_cmp_gt_u64_e32 vcc, s[78:79], v[0:1]
	v_and_b32_sdwa v0, v3, s96 dst_sel:DWORD dst_unused:UNUSED_PAD src0_sel:BYTE_3 src1_sel:DWORD
                                        ; implicit-def: $vgpr1
                                        ; kill: killed $vgpr1
	s_and_saveexec_b64 s[28:29], vcc
	s_xor_b64 s[34:35], exec, s[28:29]
	s_cbranch_execz .LBB6_12314
; %bb.12305:                            ;   in Loop: Header=BB6_10567 Depth=3
	v_mov_b32_e32 v1, 0
	v_cmp_ne_u32_e32 vcc, 0, v3
	buffer_store_dword v1, off, s[0:3], s33 offset:280 ; 4-byte Folded Spill
	s_and_saveexec_b64 s[36:37], vcc
	s_cbranch_execz .LBB6_12313
; %bb.12306:                            ;   in Loop: Header=BB6_10567 Depth=3
	v_and_b32_e32 v1, 0x7fffff, v3
	v_bfe_u32 v3, v3, 23, 8
	v_cmp_gt_u32_e64 s[28:29], s97, v3
	v_sub_u32_e32 v4, 0x79, v3
	v_cmp_eq_u32_e32 vcc, 0, v3
	v_cndmask_b32_e64 v4, 0, v4, s[28:29]
	v_mov_b32_e32 v20, 0x78
	v_or_b32_e32 v5, 0x800000, v1
	v_cndmask_b32_e32 v24, v4, v20, vcc
	v_cndmask_b32_e32 v4, v5, v1, vcc
	v_add_u32_e32 v1, 20, v24
	v_lshlrev_b64 v[20:21], v1, -1
	v_add_u32_e32 v1, 19, v24
	v_mov_b32_e32 v25, v34
	v_lshlrev_b64 v[34:35], v1, 1
	v_mov_b32_e32 v5, v51
	v_bfi_b32 v21, v21, 0, 0
	v_bfi_b32 v20, v20, 0, v4
	v_cmp_eq_u64_e64 s[28:29], v[20:21], v[34:35]
	v_lshrrev_b64 v[20:21], v24, v[4:5]
	v_mov_b32_e32 v4, v20
	v_mov_b32_e32 v5, v21
	s_and_saveexec_b64 s[38:39], s[28:29]
; %bb.12307:                            ;   in Loop: Header=BB6_10567 Depth=3
	v_bfe_u32 v1, v20, 20, 1
	v_add_co_u32_e64 v1, s[28:29], v20, v1
	v_add_co_u32_e64 v4, s[28:29], -1, v1
; %bb.12308:                            ;   in Loop: Header=BB6_10567 Depth=3
	s_or_b64 exec, exec, s[38:39]
	v_add_u32_e32 v1, 0xffffff81, v3
	v_mov_b32_e32 v3, 0xffffff82
	v_cndmask_b32_e32 v1, v1, v3, vcc
	v_lshrrev_b32_e32 v3, 23, v20
	v_add3_u32 v24, v24, v1, v3
	v_add_u32_e32 v5, 6, v24
	v_and_b32_e32 v1, 0xfffff, v4
	v_add_u32_e32 v20, v1, v20
	v_mov_b32_e32 v21, v51
	v_cmp_ne_u32_e32 vcc, 0, v5
                                        ; implicit-def: $vgpr3
	s_and_saveexec_b64 s[28:29], vcc
	s_xor_b64 s[28:29], exec, s[28:29]
; %bb.12309:                            ;   in Loop: Header=BB6_10567 Depth=3
	v_cmp_lt_u64_e32 vcc, s[88:89], v[20:21]
	v_add_u32_e32 v1, 7, v24
	v_cndmask_b32_e32 v3, v5, v1, vcc
	v_cndmask_b32_e64 v1, 0, 1, vcc
	v_lshrrev_b64 v[20:21], v1, v[20:21]
; %bb.12310:                            ;   in Loop: Header=BB6_10567 Depth=3
	s_or_saveexec_b64 s[28:29], s[28:29]
	v_mov_b32_e32 v34, v25
	s_xor_b64 exec, exec, s[28:29]
; %bb.12311:                            ;   in Loop: Header=BB6_10567 Depth=3
	v_bfe_u32 v3, v20, 23, 1
; %bb.12312:                            ;   in Loop: Header=BB6_10567 Depth=3
	s_or_b64 exec, exec, s[28:29]
	v_lshrrev_b64 v[4:5], 20, v[20:21]
	v_cmp_gt_i32_e32 vcc, 16, v3
	v_cndmask_b32_e32 v5, 0, v5, vcc
	v_cndmask_b32_e32 v4, 7, v4, vcc
	v_min_i32_e32 v1, 15, v3
	v_cmp_eq_u64_e64 s[28:29], 0, v[4:5]
	v_lshlrev_b32_e32 v1, 3, v1
	v_cmp_eq_u32_e32 vcc, 0, v3
	v_and_b32_e32 v1, 0xf8, v1
	v_and_or_b32 v1, v4, 7, v1
	s_and_b64 s[28:29], vcc, s[28:29]
	v_cndmask_b32_e64 v1, v1, 0, s[28:29]
	v_or_b32_e32 v0, v1, v0
	buffer_store_dword v0, off, s[0:3], s33 offset:280 ; 4-byte Folded Spill
.LBB6_12313:                            ;   in Loop: Header=BB6_10567 Depth=3
	s_or_b64 exec, exec, s[36:37]
                                        ; implicit-def: $vgpr0
.LBB6_12314:                            ;   in Loop: Header=BB6_10567 Depth=3
	s_andn2_saveexec_b64 s[28:29], s[34:35]
	s_cbranch_execz .LBB6_12316
; %bb.12315:                            ;   in Loop: Header=BB6_10567 Depth=3
	v_or_b32_e32 v0, 0x7e, v0
	buffer_store_dword v0, off, s[0:3], s33 offset:280 ; 4-byte Folded Spill
.LBB6_12316:                            ;   in Loop: Header=BB6_10567 Depth=3
	s_or_b64 exec, exec, s[28:29]
                                        ; implicit-def: $vgpr3
.LBB6_12317:                            ;   in Loop: Header=BB6_10567 Depth=3
	s_andn2_saveexec_b64 s[28:29], s[30:31]
	s_cbranch_execz .LBB6_12319
; %bb.12318:                            ;   in Loop: Header=BB6_10567 Depth=3
	v_or_b32_sdwa v0, v3, s86 dst_sel:DWORD dst_unused:UNUSED_PAD src0_sel:BYTE_3 src1_sel:DWORD
	buffer_store_dword v0, off, s[0:3], s33 offset:280 ; 4-byte Folded Spill
.LBB6_12319:                            ;   in Loop: Header=BB6_10567 Depth=3
	s_or_b64 exec, exec, s[28:29]
	buffer_load_dword v0, off, s[0:3], s33 offset:272 ; 4-byte Folded Reload
	v_lshlrev_b32_e32 v1, 24, v40
	v_lshlrev_b32_e32 v3, 16, v57
	v_mov_b32_e32 v21, v51
	v_cmp_ne_u32_e32 vcc, 0, v33
	s_waitcnt vmcnt(0)
	v_lshl_or_b32 v0, v0, 8, v33
	v_or3_b32 v20, v3, v1, v0
	v_mov_b32_e32 v3, 0
	v_mov_b32_e32 v1, 0
	s_and_saveexec_b64 s[28:29], vcc
	s_cbranch_execz .LBB6_12325
; %bb.12320:                            ;   in Loop: Header=BB6_10567 Depth=3
	v_cmp_ne_u32_e32 vcc, s96, v33
	v_bfrev_b32_e32 v1, 1
	s_and_saveexec_b64 s[30:31], vcc
	s_cbranch_execz .LBB6_12324
; %bb.12321:                            ;   in Loop: Header=BB6_10567 Depth=3
	v_and_b32_e32 v4, 0x7f, v33
	v_cmp_ne_u32_e32 vcc, s86, v4
	v_mov_b32_e32 v1, 0x7f800001
	s_and_saveexec_b64 s[34:35], vcc
	s_cbranch_execz .LBB6_12323
; %bb.12322:                            ;   in Loop: Header=BB6_10567 Depth=3
	v_and_b32_e32 v1, 7, v33
	v_ffbh_u32_e32 v1, v1
	v_min_u32_e32 v1, 32, v1
	v_lshrrev_b32_e32 v5, 3, v4
	v_cmp_gt_u32_e32 vcc, 8, v4
	v_subrev_u32_e32 v4, 28, v1
	v_sub_u32_e32 v1, 29, v1
	v_cndmask_b32_e32 v4, 0, v4, vcc
	v_cndmask_b32_e32 v1, v5, v1, vcc
	v_lshlrev_b64 v[4:5], v4, v[20:21]
	v_lshlrev_b32_e32 v5, 24, v20
	v_lshlrev_b32_e32 v4, 20, v4
	v_bfrev_b32_e32 v21, 60
	v_and_b32_e32 v4, 0x700000, v4
	v_and_b32_e32 v5, 0x80000000, v5
	v_lshl_add_u32 v1, v1, 23, v21
	v_or3_b32 v1, v5, v1, v4
.LBB6_12323:                            ;   in Loop: Header=BB6_10567 Depth=3
	s_or_b64 exec, exec, s[34:35]
.LBB6_12324:                            ;   in Loop: Header=BB6_10567 Depth=3
	s_or_b64 exec, exec, s[30:31]
.LBB6_12325:                            ;   in Loop: Header=BB6_10567 Depth=3
	s_or_b64 exec, exec, s[28:29]
	v_cmp_ne_u16_sdwa vcc, v23, v51 src0_sel:BYTE_0 src1_sel:DWORD
	s_and_saveexec_b64 s[28:29], vcc
	s_cbranch_execz .LBB6_12331
; %bb.12326:                            ;   in Loop: Header=BB6_10567 Depth=3
	v_cmp_ne_u16_sdwa vcc, v23, s96 src0_sel:BYTE_0 src1_sel:DWORD
	v_bfrev_b32_e32 v3, 1
	s_and_saveexec_b64 s[30:31], vcc
	s_cbranch_execz .LBB6_12330
; %bb.12327:                            ;   in Loop: Header=BB6_10567 Depth=3
	v_and_b32_e32 v4, 0x7f, v23
	v_cmp_ne_u32_e32 vcc, s86, v4
	v_mov_b32_e32 v3, 0x7f800001
	s_and_saveexec_b64 s[34:35], vcc
	s_cbranch_execz .LBB6_12329
; %bb.12328:                            ;   in Loop: Header=BB6_10567 Depth=3
	v_and_b32_e32 v3, 7, v23
	v_ffbh_u32_e32 v3, v3
	v_min_u32_e32 v3, 32, v3
	v_lshrrev_b32_e32 v5, 3, v4
	v_cmp_gt_u32_e32 vcc, 8, v4
	v_subrev_u32_e32 v4, 28, v3
	v_sub_u32_e32 v3, 29, v3
	v_mov_b32_e32 v24, v23
	v_mov_b32_e32 v25, v51
	v_cndmask_b32_e32 v5, v5, v3, vcc
	v_cndmask_b32_e32 v3, 0, v4, vcc
	v_lshlrev_b64 v[3:4], v3, v[24:25]
	v_lshlrev_b32_e32 v4, 24, v24
	v_lshlrev_b32_e32 v3, 20, v3
	v_bfrev_b32_e32 v21, 60
	v_and_b32_e32 v3, 0x700000, v3
	v_and_b32_e32 v4, 0x80000000, v4
	v_lshl_add_u32 v5, v5, 23, v21
	v_or3_b32 v3, v4, v5, v3
.LBB6_12329:                            ;   in Loop: Header=BB6_10567 Depth=3
	s_or_b64 exec, exec, s[34:35]
.LBB6_12330:                            ;   in Loop: Header=BB6_10567 Depth=3
	s_or_b64 exec, exec, s[30:31]
.LBB6_12331:                            ;   in Loop: Header=BB6_10567 Depth=3
	s_or_b64 exec, exec, s[28:29]
	v_add_f32_e32 v3, v1, v3
	v_and_b32_e32 v4, 0x7f800000, v3
	v_mov_b32_e32 v5, v51
	v_cmp_ne_u64_e32 vcc, s[76:77], v[4:5]
                                        ; implicit-def: $vgpr1
                                        ; kill: killed $vgpr1
	s_and_saveexec_b64 s[28:29], vcc
	s_xor_b64 s[30:31], exec, s[28:29]
	s_cbranch_execz .LBB6_12345
; %bb.12332:                            ;   in Loop: Header=BB6_10567 Depth=3
	v_and_b32_e32 v4, 0x7fffffff, v3
	v_mov_b32_e32 v5, v51
	v_cmp_gt_u64_e32 vcc, s[78:79], v[4:5]
	v_and_b32_sdwa v1, v3, s96 dst_sel:DWORD dst_unused:UNUSED_PAD src0_sel:BYTE_3 src1_sel:DWORD
                                        ; implicit-def: $vgpr4
                                        ; kill: killed $vgpr4
	s_and_saveexec_b64 s[28:29], vcc
	s_xor_b64 s[34:35], exec, s[28:29]
	s_cbranch_execz .LBB6_12342
; %bb.12333:                            ;   in Loop: Header=BB6_10567 Depth=3
	v_mov_b32_e32 v4, 0
	v_cmp_ne_u32_e32 vcc, 0, v3
	buffer_store_dword v4, off, s[0:3], s33 offset:272 ; 4-byte Folded Spill
	s_and_saveexec_b64 s[36:37], vcc
	s_cbranch_execz .LBB6_12341
; %bb.12334:                            ;   in Loop: Header=BB6_10567 Depth=3
	v_and_b32_e32 v4, 0x7fffff, v3
	v_bfe_u32 v3, v3, 23, 8
	v_cmp_gt_u32_e64 s[28:29], s97, v3
	v_sub_u32_e32 v5, 0x79, v3
	v_cmp_eq_u32_e32 vcc, 0, v3
	v_cndmask_b32_e64 v5, 0, v5, s[28:29]
	v_mov_b32_e32 v21, 0x78
	v_or_b32_e32 v24, 0x800000, v4
	v_cndmask_b32_e32 v21, v5, v21, vcc
	v_cndmask_b32_e32 v4, v24, v4, vcc
	v_add_u32_e32 v24, 20, v21
	v_lshlrev_b64 v[24:25], v24, -1
	v_add_u32_e32 v32, 19, v21
	v_lshlrev_b64 v[32:33], v32, 1
	v_mov_b32_e32 v5, v51
	v_bfi_b32 v25, v25, 0, 0
	v_bfi_b32 v24, v24, 0, v4
	v_cmp_eq_u64_e64 s[28:29], v[24:25], v[32:33]
	v_lshrrev_b64 v[24:25], v21, v[4:5]
	v_mov_b32_e32 v4, v24
	v_mov_b32_e32 v5, v25
	s_and_saveexec_b64 s[38:39], s[28:29]
; %bb.12335:                            ;   in Loop: Header=BB6_10567 Depth=3
	v_bfe_u32 v4, v24, 20, 1
	v_add_co_u32_e64 v4, s[28:29], v24, v4
	v_add_co_u32_e64 v4, s[28:29], -1, v4
; %bb.12336:                            ;   in Loop: Header=BB6_10567 Depth=3
	s_or_b64 exec, exec, s[38:39]
	v_add_u32_e32 v3, 0xffffff81, v3
	v_mov_b32_e32 v5, 0xffffff82
	v_cndmask_b32_e32 v3, v3, v5, vcc
	v_lshrrev_b32_e32 v5, 23, v24
	v_add3_u32 v21, v21, v3, v5
	v_add_u32_e32 v5, 6, v21
	v_and_b32_e32 v3, 0xfffff, v4
	v_add_u32_e32 v24, v3, v24
	v_mov_b32_e32 v25, v51
	v_cmp_ne_u32_e32 vcc, 0, v5
                                        ; implicit-def: $vgpr3
	s_and_saveexec_b64 s[28:29], vcc
	s_xor_b64 s[28:29], exec, s[28:29]
; %bb.12337:                            ;   in Loop: Header=BB6_10567 Depth=3
	v_cmp_lt_u64_e32 vcc, s[88:89], v[24:25]
	v_add_u32_e32 v3, 7, v21
	v_cndmask_b32_e64 v4, 0, 1, vcc
	v_cndmask_b32_e32 v3, v5, v3, vcc
	v_lshrrev_b64 v[24:25], v4, v[24:25]
; %bb.12338:                            ;   in Loop: Header=BB6_10567 Depth=3
	s_andn2_saveexec_b64 s[28:29], s[28:29]
; %bb.12339:                            ;   in Loop: Header=BB6_10567 Depth=3
	v_bfe_u32 v3, v24, 23, 1
; %bb.12340:                            ;   in Loop: Header=BB6_10567 Depth=3
	s_or_b64 exec, exec, s[28:29]
	v_lshrrev_b64 v[4:5], 20, v[24:25]
	v_cmp_gt_i32_e32 vcc, 16, v3
	v_cndmask_b32_e32 v5, 0, v5, vcc
	v_cndmask_b32_e32 v4, 7, v4, vcc
	v_cmp_eq_u32_e32 vcc, 0, v3
	v_min_i32_e32 v3, 15, v3
	v_cmp_eq_u64_e64 s[28:29], 0, v[4:5]
	v_lshlrev_b32_e32 v3, 3, v3
	v_and_b32_e32 v3, 0xf8, v3
	v_and_or_b32 v3, v4, 7, v3
	s_and_b64 s[28:29], vcc, s[28:29]
	v_cndmask_b32_e64 v3, v3, 0, s[28:29]
	v_or_b32_e32 v1, v3, v1
	buffer_store_dword v1, off, s[0:3], s33 offset:272 ; 4-byte Folded Spill
.LBB6_12341:                            ;   in Loop: Header=BB6_10567 Depth=3
	s_or_b64 exec, exec, s[36:37]
                                        ; implicit-def: $vgpr1
.LBB6_12342:                            ;   in Loop: Header=BB6_10567 Depth=3
	s_andn2_saveexec_b64 s[28:29], s[34:35]
	s_cbranch_execz .LBB6_12344
; %bb.12343:                            ;   in Loop: Header=BB6_10567 Depth=3
	v_or_b32_e32 v1, 0x7e, v1
	buffer_store_dword v1, off, s[0:3], s33 offset:272 ; 4-byte Folded Spill
.LBB6_12344:                            ;   in Loop: Header=BB6_10567 Depth=3
	s_or_b64 exec, exec, s[28:29]
                                        ; implicit-def: $vgpr3
.LBB6_12345:                            ;   in Loop: Header=BB6_10567 Depth=3
	s_andn2_saveexec_b64 s[28:29], s[30:31]
	s_cbranch_execz .LBB6_12347
; %bb.12346:                            ;   in Loop: Header=BB6_10567 Depth=3
	v_or_b32_sdwa v1, v3, s86 dst_sel:DWORD dst_unused:UNUSED_PAD src0_sel:BYTE_3 src1_sel:DWORD
	buffer_store_dword v1, off, s[0:3], s33 offset:272 ; 4-byte Folded Spill
.LBB6_12347:                            ;   in Loop: Header=BB6_10567 Depth=3
	s_or_b64 exec, exec, s[28:29]
	v_lshrrev_b16_e32 v21, 8, v0
	v_cmp_ne_u16_e32 vcc, 0, v21
	v_mov_b32_e32 v1, 0
	v_mov_b32_e32 v3, 0
	s_and_saveexec_b64 s[28:29], vcc
	s_cbranch_execz .LBB6_12353
; %bb.12348:                            ;   in Loop: Header=BB6_10567 Depth=3
	v_cmp_ne_u16_e32 vcc, s96, v21
	v_bfrev_b32_e32 v3, 1
	s_and_saveexec_b64 s[30:31], vcc
	s_cbranch_execz .LBB6_12352
; %bb.12349:                            ;   in Loop: Header=BB6_10567 Depth=3
	v_and_b32_e32 v4, 0x7f, v21
	v_cmp_ne_u32_e32 vcc, s86, v4
	v_mov_b32_e32 v3, 0x7f800001
	s_and_saveexec_b64 s[34:35], vcc
	s_cbranch_execz .LBB6_12351
; %bb.12350:                            ;   in Loop: Header=BB6_10567 Depth=3
	v_and_b32_e32 v5, 7, v21
	v_ffbh_u32_e32 v3, v5
	v_min_u32_e32 v25, 32, v3
	v_subrev_u32_e32 v3, 28, v25
	v_lshrrev_b32_e32 v24, 3, v4
	v_cmp_gt_u32_e32 vcc, 8, v4
	v_lshlrev_b64 v[3:4], v3, v[21:22]
	v_sub_u32_e32 v4, 29, v25
	v_and_b32_e32 v3, 7, v3
	v_cndmask_b32_e32 v4, v24, v4, vcc
	v_cndmask_b32_e32 v3, v5, v3, vcc
	v_lshlrev_b32_e32 v0, 16, v0
	v_bfrev_b32_e32 v5, 60
	v_lshlrev_b32_e32 v3, 20, v3
	v_and_b32_e32 v0, 0x80000000, v0
	v_lshl_add_u32 v4, v4, 23, v5
	v_or3_b32 v3, v0, v4, v3
.LBB6_12351:                            ;   in Loop: Header=BB6_10567 Depth=3
	s_or_b64 exec, exec, s[34:35]
.LBB6_12352:                            ;   in Loop: Header=BB6_10567 Depth=3
	s_or_b64 exec, exec, s[30:31]
.LBB6_12353:                            ;   in Loop: Header=BB6_10567 Depth=3
	s_or_b64 exec, exec, s[28:29]
	v_lshrrev_b16_e32 v21, 8, v23
	v_cmp_ne_u16_e32 vcc, 0, v21
	s_and_saveexec_b64 s[28:29], vcc
	s_cbranch_execz .LBB6_12359
; %bb.12354:                            ;   in Loop: Header=BB6_10567 Depth=3
	v_cmp_ne_u16_e32 vcc, s96, v21
	v_bfrev_b32_e32 v1, 1
	s_and_saveexec_b64 s[30:31], vcc
	s_cbranch_execz .LBB6_12358
; %bb.12355:                            ;   in Loop: Header=BB6_10567 Depth=3
	v_and_b32_e32 v0, 0x7f, v21
	v_cmp_ne_u32_e32 vcc, s86, v0
	v_mov_b32_e32 v1, 0x7f800001
	s_and_saveexec_b64 s[34:35], vcc
	s_cbranch_execz .LBB6_12357
; %bb.12356:                            ;   in Loop: Header=BB6_10567 Depth=3
	v_and_b32_e32 v4, 7, v21
	v_lshrrev_b32_e32 v5, 3, v0
	v_cmp_gt_u32_e32 vcc, 8, v0
	v_ffbh_u32_e32 v0, v4
	v_min_u32_e32 v24, 32, v0
	v_subrev_u32_e32 v0, 28, v24
	v_lshlrev_b64 v[0:1], v0, v[21:22]
	v_sub_u32_e32 v1, 29, v24
	v_and_b32_e32 v0, 7, v0
	v_cndmask_b32_e32 v1, v5, v1, vcc
	v_cndmask_b32_e32 v0, v4, v0, vcc
	v_lshlrev_b32_e32 v4, 16, v23
	v_bfrev_b32_e32 v5, 60
	v_lshlrev_b32_e32 v0, 20, v0
	v_and_b32_e32 v4, 0x80000000, v4
	v_lshl_add_u32 v1, v1, 23, v5
	v_or3_b32 v1, v4, v1, v0
.LBB6_12357:                            ;   in Loop: Header=BB6_10567 Depth=3
	s_or_b64 exec, exec, s[34:35]
.LBB6_12358:                            ;   in Loop: Header=BB6_10567 Depth=3
	s_or_b64 exec, exec, s[30:31]
.LBB6_12359:                            ;   in Loop: Header=BB6_10567 Depth=3
	s_or_b64 exec, exec, s[28:29]
	v_add_f32_e32 v1, v3, v1
	v_and_b32_e32 v3, 0x7f800000, v1
	v_mov_b32_e32 v4, v51
	v_cmp_ne_u64_e32 vcc, s[76:77], v[3:4]
                                        ; implicit-def: $vgpr0
                                        ; kill: killed $vgpr0
	s_and_saveexec_b64 s[28:29], vcc
	s_xor_b64 s[30:31], exec, s[28:29]
	s_cbranch_execz .LBB6_12373
; %bb.12360:                            ;   in Loop: Header=BB6_10567 Depth=3
	v_and_b32_e32 v3, 0x7fffffff, v1
	v_mov_b32_e32 v4, v51
	v_cmp_gt_u64_e32 vcc, s[78:79], v[3:4]
	v_and_b32_sdwa v0, v1, s96 dst_sel:DWORD dst_unused:UNUSED_PAD src0_sel:BYTE_3 src1_sel:DWORD
                                        ; implicit-def: $vgpr3
                                        ; kill: killed $vgpr3
	s_and_saveexec_b64 s[28:29], vcc
	s_xor_b64 s[34:35], exec, s[28:29]
	s_cbranch_execz .LBB6_12370
; %bb.12361:                            ;   in Loop: Header=BB6_10567 Depth=3
	v_mov_b32_e32 v3, 0
	v_cmp_ne_u32_e32 vcc, 0, v1
	buffer_store_dword v3, off, s[0:3], s33 offset:284 ; 4-byte Folded Spill
	s_and_saveexec_b64 s[36:37], vcc
	s_cbranch_execz .LBB6_12369
; %bb.12362:                            ;   in Loop: Header=BB6_10567 Depth=3
	v_and_b32_e32 v4, 0x7fffff, v1
	v_bfe_u32 v1, v1, 23, 8
	v_cmp_gt_u32_e64 s[28:29], s97, v1
	v_sub_u32_e32 v3, 0x79, v1
	v_cmp_eq_u32_e32 vcc, 0, v1
	v_cndmask_b32_e64 v3, 0, v3, s[28:29]
	v_mov_b32_e32 v21, 0x78
	v_cndmask_b32_e32 v3, v3, v21, vcc
	v_add_u32_e32 v21, 20, v3
	v_or_b32_e32 v5, 0x800000, v4
	v_lshlrev_b64 v[24:25], v21, -1
	v_add_u32_e32 v21, 19, v3
	v_cndmask_b32_e32 v4, v5, v4, vcc
	v_lshlrev_b64 v[32:33], v21, 1
	v_mov_b32_e32 v5, v51
	v_bfi_b32 v25, v25, 0, 0
	v_bfi_b32 v24, v24, 0, v4
	v_cmp_eq_u64_e64 s[28:29], v[24:25], v[32:33]
	v_lshrrev_b64 v[24:25], v3, v[4:5]
	v_mov_b32_e32 v4, v24
	v_mov_b32_e32 v5, v25
	s_and_saveexec_b64 s[38:39], s[28:29]
; %bb.12363:                            ;   in Loop: Header=BB6_10567 Depth=3
	v_bfe_u32 v4, v24, 20, 1
	v_add_co_u32_e64 v4, s[28:29], v24, v4
	v_add_co_u32_e64 v4, s[28:29], -1, v4
; %bb.12364:                            ;   in Loop: Header=BB6_10567 Depth=3
	s_or_b64 exec, exec, s[38:39]
	v_add_u32_e32 v1, 0xffffff81, v1
	v_mov_b32_e32 v5, 0xffffff82
	v_cndmask_b32_e32 v1, v1, v5, vcc
	v_lshrrev_b32_e32 v5, 23, v24
	v_add3_u32 v5, v3, v1, v5
	v_add_u32_e32 v3, 6, v5
	v_and_b32_e32 v1, 0xfffff, v4
	v_add_u32_e32 v24, v1, v24
	v_mov_b32_e32 v25, v51
	v_cmp_ne_u32_e32 vcc, 0, v3
                                        ; implicit-def: $vgpr1
	s_and_saveexec_b64 s[28:29], vcc
	s_xor_b64 s[28:29], exec, s[28:29]
; %bb.12365:                            ;   in Loop: Header=BB6_10567 Depth=3
	v_cmp_lt_u64_e32 vcc, s[88:89], v[24:25]
	v_add_u32_e32 v1, 7, v5
	v_cndmask_b32_e32 v1, v3, v1, vcc
	v_cndmask_b32_e64 v3, 0, 1, vcc
	v_lshrrev_b64 v[24:25], v3, v[24:25]
; %bb.12366:                            ;   in Loop: Header=BB6_10567 Depth=3
	s_andn2_saveexec_b64 s[28:29], s[28:29]
; %bb.12367:                            ;   in Loop: Header=BB6_10567 Depth=3
	v_bfe_u32 v1, v24, 23, 1
; %bb.12368:                            ;   in Loop: Header=BB6_10567 Depth=3
	s_or_b64 exec, exec, s[28:29]
	v_lshrrev_b64 v[3:4], 20, v[24:25]
	v_cmp_gt_i32_e32 vcc, 16, v1
	v_cndmask_b32_e32 v4, 0, v4, vcc
	v_cndmask_b32_e32 v3, 7, v3, vcc
	v_cmp_eq_u32_e32 vcc, 0, v1
	v_min_i32_e32 v1, 15, v1
	v_cmp_eq_u64_e64 s[28:29], 0, v[3:4]
	v_lshlrev_b32_e32 v1, 3, v1
	v_and_b32_e32 v1, 0xf8, v1
	v_and_or_b32 v1, v3, 7, v1
	s_and_b64 s[28:29], vcc, s[28:29]
	v_cndmask_b32_e64 v1, v1, 0, s[28:29]
	v_or_b32_e32 v0, v1, v0
	buffer_store_dword v0, off, s[0:3], s33 offset:284 ; 4-byte Folded Spill
.LBB6_12369:                            ;   in Loop: Header=BB6_10567 Depth=3
	s_or_b64 exec, exec, s[36:37]
                                        ; implicit-def: $vgpr0
.LBB6_12370:                            ;   in Loop: Header=BB6_10567 Depth=3
	s_andn2_saveexec_b64 s[28:29], s[34:35]
	s_cbranch_execz .LBB6_12372
; %bb.12371:                            ;   in Loop: Header=BB6_10567 Depth=3
	v_or_b32_e32 v0, 0x7e, v0
	buffer_store_dword v0, off, s[0:3], s33 offset:284 ; 4-byte Folded Spill
.LBB6_12372:                            ;   in Loop: Header=BB6_10567 Depth=3
	s_or_b64 exec, exec, s[28:29]
                                        ; implicit-def: $vgpr1
.LBB6_12373:                            ;   in Loop: Header=BB6_10567 Depth=3
	s_andn2_saveexec_b64 s[28:29], s[30:31]
	s_cbranch_execz .LBB6_12375
; %bb.12374:                            ;   in Loop: Header=BB6_10567 Depth=3
	v_or_b32_sdwa v0, v1, s86 dst_sel:DWORD dst_unused:UNUSED_PAD src0_sel:BYTE_3 src1_sel:DWORD
	buffer_store_dword v0, off, s[0:3], s33 offset:284 ; 4-byte Folded Spill
.LBB6_12375:                            ;   in Loop: Header=BB6_10567 Depth=3
	s_or_b64 exec, exec, s[28:29]
	v_lshrrev_b32_e32 v21, 16, v20
	v_cmp_ne_u16_sdwa vcc, v21, v51 src0_sel:BYTE_0 src1_sel:DWORD
	v_mov_b32_e32 v0, 0
	v_mov_b32_e32 v1, 0
	s_and_saveexec_b64 s[28:29], vcc
	s_cbranch_execz .LBB6_12381
; %bb.12376:                            ;   in Loop: Header=BB6_10567 Depth=3
	v_cmp_ne_u16_sdwa vcc, v21, s96 src0_sel:BYTE_0 src1_sel:DWORD
	v_bfrev_b32_e32 v1, 1
	s_and_saveexec_b64 s[30:31], vcc
	s_cbranch_execz .LBB6_12380
; %bb.12377:                            ;   in Loop: Header=BB6_10567 Depth=3
	v_bfe_u32 v3, v20, 16, 7
	v_cmp_ne_u32_e32 vcc, s86, v3
	v_mov_b32_e32 v1, 0x7f800001
	s_and_saveexec_b64 s[34:35], vcc
	s_cbranch_execz .LBB6_12379
; %bb.12378:                            ;   in Loop: Header=BB6_10567 Depth=3
	v_and_b32_e32 v1, 7, v21
	v_lshrrev_b32_e32 v5, 3, v3
	v_cmp_gt_u32_e32 vcc, 8, v3
	v_ffbh_u32_e32 v3, v1
	v_min_u32_e32 v24, 32, v3
	v_subrev_u32_e32 v3, 28, v24
	v_lshlrev_b64 v[3:4], v3, v[21:22]
	v_sub_u32_e32 v4, 29, v24
	v_and_b32_e32 v3, 7, v3
	v_cndmask_b32_e32 v4, v5, v4, vcc
	v_cndmask_b32_e32 v1, v1, v3, vcc
	v_lshlrev_b32_e32 v3, 24, v21
	v_bfrev_b32_e32 v5, 60
	v_lshlrev_b32_e32 v1, 20, v1
	v_and_b32_e32 v3, 0x80000000, v3
	v_lshl_add_u32 v4, v4, 23, v5
	v_or3_b32 v1, v3, v4, v1
.LBB6_12379:                            ;   in Loop: Header=BB6_10567 Depth=3
	s_or_b64 exec, exec, s[34:35]
.LBB6_12380:                            ;   in Loop: Header=BB6_10567 Depth=3
	s_or_b64 exec, exec, s[30:31]
.LBB6_12381:                            ;   in Loop: Header=BB6_10567 Depth=3
	s_or_b64 exec, exec, s[28:29]
	v_lshrrev_b32_e32 v21, 16, v23
	v_cmp_ne_u16_sdwa vcc, v21, v51 src0_sel:BYTE_0 src1_sel:DWORD
	s_and_saveexec_b64 s[28:29], vcc
	s_cbranch_execz .LBB6_12387
; %bb.12382:                            ;   in Loop: Header=BB6_10567 Depth=3
	v_cmp_ne_u16_sdwa vcc, v21, s96 src0_sel:BYTE_0 src1_sel:DWORD
	v_bfrev_b32_e32 v0, 1
	s_and_saveexec_b64 s[30:31], vcc
	s_cbranch_execz .LBB6_12386
; %bb.12383:                            ;   in Loop: Header=BB6_10567 Depth=3
	v_bfe_u32 v3, v23, 16, 7
	v_cmp_ne_u32_e32 vcc, s86, v3
	v_mov_b32_e32 v0, 0x7f800001
	s_and_saveexec_b64 s[34:35], vcc
	s_cbranch_execz .LBB6_12385
; %bb.12384:                            ;   in Loop: Header=BB6_10567 Depth=3
	v_and_b32_e32 v0, 7, v21
	v_lshrrev_b32_e32 v5, 3, v3
	v_cmp_gt_u32_e32 vcc, 8, v3
	v_ffbh_u32_e32 v3, v0
	v_min_u32_e32 v24, 32, v3
	v_subrev_u32_e32 v3, 28, v24
	v_lshlrev_b64 v[3:4], v3, v[21:22]
	v_sub_u32_e32 v4, 29, v24
	v_and_b32_e32 v3, 7, v3
	v_cndmask_b32_e32 v4, v5, v4, vcc
	v_cndmask_b32_e32 v0, v0, v3, vcc
	v_lshlrev_b32_e32 v3, 8, v23
	v_bfrev_b32_e32 v5, 60
	v_lshlrev_b32_e32 v0, 20, v0
	v_and_b32_e32 v3, 0x80000000, v3
	v_lshl_add_u32 v4, v4, 23, v5
	v_or3_b32 v0, v3, v4, v0
.LBB6_12385:                            ;   in Loop: Header=BB6_10567 Depth=3
	s_or_b64 exec, exec, s[34:35]
.LBB6_12386:                            ;   in Loop: Header=BB6_10567 Depth=3
	s_or_b64 exec, exec, s[30:31]
.LBB6_12387:                            ;   in Loop: Header=BB6_10567 Depth=3
	s_or_b64 exec, exec, s[28:29]
	v_add_f32_e32 v1, v1, v0
	v_and_b32_e32 v3, 0x7f800000, v1
	v_mov_b32_e32 v4, v51
	v_cmp_ne_u64_e32 vcc, s[76:77], v[3:4]
                                        ; implicit-def: $vgpr0
                                        ; kill: killed $vgpr0
	s_and_saveexec_b64 s[28:29], vcc
	s_xor_b64 s[30:31], exec, s[28:29]
	s_cbranch_execz .LBB6_12401
; %bb.12388:                            ;   in Loop: Header=BB6_10567 Depth=3
	v_and_b32_e32 v3, 0x7fffffff, v1
	v_mov_b32_e32 v4, v51
	v_cmp_gt_u64_e32 vcc, s[78:79], v[3:4]
	v_and_b32_sdwa v0, v1, s96 dst_sel:DWORD dst_unused:UNUSED_PAD src0_sel:BYTE_3 src1_sel:DWORD
                                        ; implicit-def: $vgpr3
                                        ; kill: killed $vgpr3
	s_and_saveexec_b64 s[28:29], vcc
	s_xor_b64 s[34:35], exec, s[28:29]
	s_cbranch_execz .LBB6_12398
; %bb.12389:                            ;   in Loop: Header=BB6_10567 Depth=3
	v_mov_b32_e32 v3, 0
	v_cmp_ne_u32_e32 vcc, 0, v1
	buffer_store_dword v3, off, s[0:3], s33 offset:288 ; 4-byte Folded Spill
	s_and_saveexec_b64 s[36:37], vcc
	s_cbranch_execz .LBB6_12397
; %bb.12390:                            ;   in Loop: Header=BB6_10567 Depth=3
	v_and_b32_e32 v4, 0x7fffff, v1
	v_bfe_u32 v1, v1, 23, 8
	v_cmp_gt_u32_e64 s[28:29], s97, v1
	v_sub_u32_e32 v3, 0x79, v1
	v_cmp_eq_u32_e32 vcc, 0, v1
	v_cndmask_b32_e64 v3, 0, v3, s[28:29]
	v_mov_b32_e32 v21, 0x78
	v_cndmask_b32_e32 v3, v3, v21, vcc
	v_add_u32_e32 v21, 20, v3
	v_or_b32_e32 v5, 0x800000, v4
	v_lshlrev_b64 v[24:25], v21, -1
	v_add_u32_e32 v21, 19, v3
	v_cndmask_b32_e32 v4, v5, v4, vcc
	v_lshlrev_b64 v[32:33], v21, 1
	v_mov_b32_e32 v5, v51
	v_bfi_b32 v25, v25, 0, 0
	v_bfi_b32 v24, v24, 0, v4
	v_cmp_eq_u64_e64 s[28:29], v[24:25], v[32:33]
	v_lshrrev_b64 v[24:25], v3, v[4:5]
	v_mov_b32_e32 v4, v24
	v_mov_b32_e32 v5, v25
	s_and_saveexec_b64 s[38:39], s[28:29]
; %bb.12391:                            ;   in Loop: Header=BB6_10567 Depth=3
	v_bfe_u32 v4, v24, 20, 1
	v_add_co_u32_e64 v4, s[28:29], v24, v4
	v_add_co_u32_e64 v4, s[28:29], -1, v4
; %bb.12392:                            ;   in Loop: Header=BB6_10567 Depth=3
	s_or_b64 exec, exec, s[38:39]
	v_add_u32_e32 v1, 0xffffff81, v1
	v_mov_b32_e32 v5, 0xffffff82
	v_cndmask_b32_e32 v1, v1, v5, vcc
	v_lshrrev_b32_e32 v5, 23, v24
	v_add3_u32 v5, v3, v1, v5
	v_add_u32_e32 v3, 6, v5
	v_and_b32_e32 v1, 0xfffff, v4
	v_add_u32_e32 v24, v1, v24
	v_mov_b32_e32 v25, v51
	v_cmp_ne_u32_e32 vcc, 0, v3
                                        ; implicit-def: $vgpr1
	s_and_saveexec_b64 s[28:29], vcc
	s_xor_b64 s[28:29], exec, s[28:29]
; %bb.12393:                            ;   in Loop: Header=BB6_10567 Depth=3
	v_cmp_lt_u64_e32 vcc, s[88:89], v[24:25]
	v_add_u32_e32 v1, 7, v5
	v_cndmask_b32_e32 v1, v3, v1, vcc
	v_cndmask_b32_e64 v3, 0, 1, vcc
	v_lshrrev_b64 v[24:25], v3, v[24:25]
; %bb.12394:                            ;   in Loop: Header=BB6_10567 Depth=3
	s_andn2_saveexec_b64 s[28:29], s[28:29]
; %bb.12395:                            ;   in Loop: Header=BB6_10567 Depth=3
	v_bfe_u32 v1, v24, 23, 1
; %bb.12396:                            ;   in Loop: Header=BB6_10567 Depth=3
	s_or_b64 exec, exec, s[28:29]
	v_lshrrev_b64 v[3:4], 20, v[24:25]
	v_cmp_gt_i32_e32 vcc, 16, v1
	v_cndmask_b32_e32 v4, 0, v4, vcc
	v_cndmask_b32_e32 v3, 7, v3, vcc
	v_cmp_eq_u32_e32 vcc, 0, v1
	v_min_i32_e32 v1, 15, v1
	v_cmp_eq_u64_e64 s[28:29], 0, v[3:4]
	v_lshlrev_b32_e32 v1, 3, v1
	v_and_b32_e32 v1, 0xf8, v1
	v_and_or_b32 v1, v3, 7, v1
	s_and_b64 s[28:29], vcc, s[28:29]
	v_cndmask_b32_e64 v1, v1, 0, s[28:29]
	v_or_b32_e32 v0, v1, v0
	buffer_store_dword v0, off, s[0:3], s33 offset:288 ; 4-byte Folded Spill
.LBB6_12397:                            ;   in Loop: Header=BB6_10567 Depth=3
	s_or_b64 exec, exec, s[36:37]
                                        ; implicit-def: $vgpr0
.LBB6_12398:                            ;   in Loop: Header=BB6_10567 Depth=3
	s_andn2_saveexec_b64 s[28:29], s[34:35]
	s_cbranch_execz .LBB6_12400
; %bb.12399:                            ;   in Loop: Header=BB6_10567 Depth=3
	v_or_b32_e32 v0, 0x7e, v0
	buffer_store_dword v0, off, s[0:3], s33 offset:288 ; 4-byte Folded Spill
.LBB6_12400:                            ;   in Loop: Header=BB6_10567 Depth=3
	s_or_b64 exec, exec, s[28:29]
                                        ; implicit-def: $vgpr1
.LBB6_12401:                            ;   in Loop: Header=BB6_10567 Depth=3
	s_andn2_saveexec_b64 s[28:29], s[30:31]
	s_cbranch_execz .LBB6_12403
; %bb.12402:                            ;   in Loop: Header=BB6_10567 Depth=3
	v_or_b32_sdwa v0, v1, s86 dst_sel:DWORD dst_unused:UNUSED_PAD src0_sel:BYTE_3 src1_sel:DWORD
	buffer_store_dword v0, off, s[0:3], s33 offset:288 ; 4-byte Folded Spill
.LBB6_12403:                            ;   in Loop: Header=BB6_10567 Depth=3
	s_or_b64 exec, exec, s[28:29]
	v_cmp_lt_u32_e32 vcc, s57, v20
	v_mov_b32_e32 v0, 0
	v_mov_b32_e32 v1, 0
	s_and_saveexec_b64 s[28:29], vcc
	s_cbranch_execz .LBB6_12409
; %bb.12404:                            ;   in Loop: Header=BB6_10567 Depth=3
	v_lshrrev_b32_e32 v21, 24, v20
	v_cmp_ne_u32_sdwa vcc, v20, s96 src0_sel:BYTE_3 src1_sel:DWORD
	v_bfrev_b32_e32 v1, 1
	s_and_saveexec_b64 s[30:31], vcc
	s_cbranch_execz .LBB6_12408
; %bb.12405:                            ;   in Loop: Header=BB6_10567 Depth=3
	v_bfe_u32 v3, v20, 24, 7
	v_cmp_ne_u32_e32 vcc, s86, v3
	v_mov_b32_e32 v1, 0x7f800001
	s_and_saveexec_b64 s[34:35], vcc
	s_cbranch_execz .LBB6_12407
; %bb.12406:                            ;   in Loop: Header=BB6_10567 Depth=3
	v_and_b32_e32 v1, 7, v21
	v_lshrrev_b32_e32 v5, 3, v3
	v_cmp_gt_u32_e32 vcc, 8, v3
	v_ffbh_u32_e32 v3, v1
	v_min_u32_e32 v24, 32, v3
	v_subrev_u32_e32 v3, 28, v24
	v_lshlrev_b64 v[3:4], v3, v[21:22]
	v_sub_u32_e32 v4, 29, v24
	v_and_b32_e32 v3, 7, v3
	v_cndmask_b32_e32 v1, v1, v3, vcc
	v_mov_b32_e32 v3, 24
	v_cndmask_b32_e32 v4, v5, v4, vcc
	v_lshlrev_b32_sdwa v3, v3, v20 dst_sel:DWORD dst_unused:UNUSED_PAD src0_sel:DWORD src1_sel:BYTE_3
	v_bfrev_b32_e32 v5, 60
	v_lshlrev_b32_e32 v1, 20, v1
	v_and_b32_e32 v3, 0x80000000, v3
	v_lshl_add_u32 v4, v4, 23, v5
	v_or3_b32 v1, v3, v4, v1
.LBB6_12407:                            ;   in Loop: Header=BB6_10567 Depth=3
	s_or_b64 exec, exec, s[34:35]
.LBB6_12408:                            ;   in Loop: Header=BB6_10567 Depth=3
	s_or_b64 exec, exec, s[30:31]
.LBB6_12409:                            ;   in Loop: Header=BB6_10567 Depth=3
	s_or_b64 exec, exec, s[28:29]
	v_cmp_lt_u64_e32 vcc, s[56:57], v[22:23]
	s_and_saveexec_b64 s[28:29], vcc
	s_cbranch_execz .LBB6_12415
; %bb.12410:                            ;   in Loop: Header=BB6_10567 Depth=3
	v_lshrrev_b32_e32 v20, 24, v23
	v_cmp_ne_u32_e32 vcc, s96, v20
	v_bfrev_b32_e32 v0, 1
	s_and_saveexec_b64 s[30:31], vcc
	s_cbranch_execz .LBB6_12414
; %bb.12411:                            ;   in Loop: Header=BB6_10567 Depth=3
	v_bfe_u32 v3, v23, 24, 7
	v_cmp_ne_u32_e32 vcc, s86, v3
	v_mov_b32_e32 v0, 0x7f800001
	s_and_saveexec_b64 s[34:35], vcc
	s_cbranch_execz .LBB6_12413
; %bb.12412:                            ;   in Loop: Header=BB6_10567 Depth=3
	v_and_b32_e32 v0, 7, v20
	v_lshrrev_b32_e32 v5, 3, v3
	v_cmp_gt_u32_e32 vcc, 8, v3
	v_ffbh_u32_e32 v3, v0
	v_min_u32_e32 v21, 32, v3
	v_subrev_u32_e32 v3, 28, v21
	v_lshlrev_b64 v[3:4], v3, v[20:21]
	v_sub_u32_e32 v4, 29, v21
	v_and_b32_e32 v3, 7, v3
	v_cndmask_b32_e32 v4, v5, v4, vcc
	v_cndmask_b32_e32 v0, v0, v3, vcc
	v_lshlrev_b32_e32 v3, 24, v20
	v_bfrev_b32_e32 v5, 60
	v_lshlrev_b32_e32 v0, 20, v0
	v_and_b32_e32 v3, 0x80000000, v3
	v_lshl_add_u32 v4, v4, 23, v5
	v_or3_b32 v0, v3, v4, v0
.LBB6_12413:                            ;   in Loop: Header=BB6_10567 Depth=3
	s_or_b64 exec, exec, s[34:35]
.LBB6_12414:                            ;   in Loop: Header=BB6_10567 Depth=3
	s_or_b64 exec, exec, s[30:31]
.LBB6_12415:                            ;   in Loop: Header=BB6_10567 Depth=3
	s_or_b64 exec, exec, s[28:29]
	v_add_f32_e32 v1, v1, v0
	v_and_b32_e32 v3, 0x7f800000, v1
	v_mov_b32_e32 v4, v51
	v_cmp_ne_u64_e32 vcc, s[76:77], v[3:4]
                                        ; implicit-def: $vgpr0
                                        ; kill: killed $vgpr0
	s_and_saveexec_b64 s[28:29], vcc
	s_xor_b64 s[30:31], exec, s[28:29]
	s_cbranch_execz .LBB6_12429
; %bb.12416:                            ;   in Loop: Header=BB6_10567 Depth=3
	v_and_b32_e32 v3, 0x7fffffff, v1
	v_mov_b32_e32 v4, v51
	v_cmp_gt_u64_e32 vcc, s[78:79], v[3:4]
	v_and_b32_sdwa v0, v1, s96 dst_sel:DWORD dst_unused:UNUSED_PAD src0_sel:BYTE_3 src1_sel:DWORD
                                        ; implicit-def: $vgpr3
                                        ; kill: killed $vgpr3
	s_and_saveexec_b64 s[28:29], vcc
	s_xor_b64 s[34:35], exec, s[28:29]
	s_cbranch_execz .LBB6_12426
; %bb.12417:                            ;   in Loop: Header=BB6_10567 Depth=3
	v_mov_b32_e32 v3, 0
	v_cmp_ne_u32_e32 vcc, 0, v1
	buffer_store_dword v3, off, s[0:3], s33 offset:292 ; 4-byte Folded Spill
	s_and_saveexec_b64 s[36:37], vcc
	s_cbranch_execz .LBB6_12425
; %bb.12418:                            ;   in Loop: Header=BB6_10567 Depth=3
	v_and_b32_e32 v4, 0x7fffff, v1
	v_bfe_u32 v1, v1, 23, 8
	v_cmp_gt_u32_e64 s[28:29], s97, v1
	v_sub_u32_e32 v3, 0x79, v1
	v_cmp_eq_u32_e32 vcc, 0, v1
	v_cndmask_b32_e64 v3, 0, v3, s[28:29]
	v_mov_b32_e32 v20, 0x78
	v_cndmask_b32_e32 v3, v3, v20, vcc
	v_add_u32_e32 v20, 20, v3
	v_or_b32_e32 v5, 0x800000, v4
	v_lshlrev_b64 v[20:21], v20, -1
	v_add_u32_e32 v22, 19, v3
	v_cndmask_b32_e32 v4, v5, v4, vcc
	v_lshlrev_b64 v[22:23], v22, 1
	v_mov_b32_e32 v5, v51
	v_bfi_b32 v21, v21, 0, 0
	v_bfi_b32 v20, v20, 0, v4
	v_cmp_eq_u64_e64 s[28:29], v[20:21], v[22:23]
	v_lshrrev_b64 v[20:21], v3, v[4:5]
	v_mov_b32_e32 v4, v20
	v_mov_b32_e32 v5, v21
	s_and_saveexec_b64 s[38:39], s[28:29]
; %bb.12419:                            ;   in Loop: Header=BB6_10567 Depth=3
	v_bfe_u32 v4, v20, 20, 1
	v_add_co_u32_e64 v4, s[28:29], v20, v4
	v_add_co_u32_e64 v4, s[28:29], -1, v4
; %bb.12420:                            ;   in Loop: Header=BB6_10567 Depth=3
	s_or_b64 exec, exec, s[38:39]
	v_add_u32_e32 v1, 0xffffff81, v1
	v_mov_b32_e32 v5, 0xffffff82
	v_cndmask_b32_e32 v1, v1, v5, vcc
	v_lshrrev_b32_e32 v5, 23, v20
	v_add3_u32 v5, v3, v1, v5
	v_add_u32_e32 v3, 6, v5
	v_and_b32_e32 v1, 0xfffff, v4
	v_add_u32_e32 v20, v1, v20
	v_mov_b32_e32 v21, v51
	v_cmp_ne_u32_e32 vcc, 0, v3
                                        ; implicit-def: $vgpr1
	s_and_saveexec_b64 s[28:29], vcc
	s_xor_b64 s[28:29], exec, s[28:29]
; %bb.12421:                            ;   in Loop: Header=BB6_10567 Depth=3
	v_cmp_lt_u64_e32 vcc, s[88:89], v[20:21]
	v_add_u32_e32 v1, 7, v5
	v_cndmask_b32_e32 v1, v3, v1, vcc
	v_cndmask_b32_e64 v3, 0, 1, vcc
	v_lshrrev_b64 v[20:21], v3, v[20:21]
; %bb.12422:                            ;   in Loop: Header=BB6_10567 Depth=3
	s_andn2_saveexec_b64 s[28:29], s[28:29]
; %bb.12423:                            ;   in Loop: Header=BB6_10567 Depth=3
	v_bfe_u32 v1, v20, 23, 1
; %bb.12424:                            ;   in Loop: Header=BB6_10567 Depth=3
	s_or_b64 exec, exec, s[28:29]
	v_lshrrev_b64 v[3:4], 20, v[20:21]
	v_cmp_gt_i32_e32 vcc, 16, v1
	v_cndmask_b32_e32 v4, 0, v4, vcc
	v_cndmask_b32_e32 v3, 7, v3, vcc
	v_cmp_eq_u32_e32 vcc, 0, v1
	v_min_i32_e32 v1, 15, v1
	v_cmp_eq_u64_e64 s[28:29], 0, v[3:4]
	v_lshlrev_b32_e32 v1, 3, v1
	v_and_b32_e32 v1, 0xf8, v1
	v_and_or_b32 v1, v3, 7, v1
	s_and_b64 s[28:29], vcc, s[28:29]
	v_cndmask_b32_e64 v1, v1, 0, s[28:29]
	v_or_b32_e32 v0, v1, v0
	buffer_store_dword v0, off, s[0:3], s33 offset:292 ; 4-byte Folded Spill
.LBB6_12425:                            ;   in Loop: Header=BB6_10567 Depth=3
	s_or_b64 exec, exec, s[36:37]
                                        ; implicit-def: $vgpr0
.LBB6_12426:                            ;   in Loop: Header=BB6_10567 Depth=3
	s_andn2_saveexec_b64 s[28:29], s[34:35]
	s_cbranch_execz .LBB6_12428
; %bb.12427:                            ;   in Loop: Header=BB6_10567 Depth=3
	v_or_b32_e32 v0, 0x7e, v0
	buffer_store_dword v0, off, s[0:3], s33 offset:292 ; 4-byte Folded Spill
.LBB6_12428:                            ;   in Loop: Header=BB6_10567 Depth=3
	s_or_b64 exec, exec, s[28:29]
                                        ; implicit-def: $vgpr1
.LBB6_12429:                            ;   in Loop: Header=BB6_10567 Depth=3
	s_andn2_saveexec_b64 s[28:29], s[30:31]
	s_cbranch_execz .LBB6_12431
; %bb.12430:                            ;   in Loop: Header=BB6_10567 Depth=3
	v_or_b32_sdwa v0, v1, s86 dst_sel:DWORD dst_unused:UNUSED_PAD src0_sel:BYTE_3 src1_sel:DWORD
	buffer_store_dword v0, off, s[0:3], s33 offset:292 ; 4-byte Folded Spill
.LBB6_12431:                            ;   in Loop: Header=BB6_10567 Depth=3
	s_or_b64 exec, exec, s[28:29]
	buffer_load_dword v0, off, s[0:3], s33 offset:256 ; 4-byte Folded Reload
	v_lshlrev_b32_e32 v1, 16, v6
	v_lshlrev_b32_e32 v3, 24, v44
	v_mov_b32_e32 v21, v51
	v_cmp_ne_u32_e32 vcc, 0, v41
	s_waitcnt vmcnt(0)
	v_lshl_or_b32 v0, v0, 8, v41
	v_or3_b32 v20, v1, v3, v0
	v_mov_b32_e32 v1, 0
	v_mov_b32_e32 v3, 0
	s_and_saveexec_b64 s[28:29], vcc
	s_cbranch_execz .LBB6_12437
; %bb.12432:                            ;   in Loop: Header=BB6_10567 Depth=3
	v_cmp_ne_u32_e32 vcc, s96, v41
	v_bfrev_b32_e32 v3, 1
	s_and_saveexec_b64 s[30:31], vcc
	s_cbranch_execz .LBB6_12436
; %bb.12433:                            ;   in Loop: Header=BB6_10567 Depth=3
	v_and_b32_e32 v4, 0x7f, v41
	v_cmp_ne_u32_e32 vcc, s86, v4
	v_mov_b32_e32 v3, 0x7f800001
	s_and_saveexec_b64 s[34:35], vcc
	s_cbranch_execz .LBB6_12435
; %bb.12434:                            ;   in Loop: Header=BB6_10567 Depth=3
	v_and_b32_e32 v3, 7, v41
	v_ffbh_u32_e32 v3, v3
	v_min_u32_e32 v3, 32, v3
	v_lshrrev_b32_e32 v5, 3, v4
	v_cmp_gt_u32_e32 vcc, 8, v4
	v_subrev_u32_e32 v4, 28, v3
	v_sub_u32_e32 v3, 29, v3
	v_cndmask_b32_e32 v5, v5, v3, vcc
	v_cndmask_b32_e32 v3, 0, v4, vcc
	v_lshlrev_b64 v[3:4], v3, v[20:21]
	v_lshlrev_b32_e32 v4, 24, v20
	v_lshlrev_b32_e32 v3, 20, v3
	v_bfrev_b32_e32 v6, 60
	v_and_b32_e32 v3, 0x700000, v3
	v_and_b32_e32 v4, 0x80000000, v4
	v_lshl_add_u32 v5, v5, 23, v6
	v_or3_b32 v3, v4, v5, v3
.LBB6_12435:                            ;   in Loop: Header=BB6_10567 Depth=3
	s_or_b64 exec, exec, s[34:35]
.LBB6_12436:                            ;   in Loop: Header=BB6_10567 Depth=3
	s_or_b64 exec, exec, s[30:31]
.LBB6_12437:                            ;   in Loop: Header=BB6_10567 Depth=3
	s_or_b64 exec, exec, s[28:29]
	v_cmp_ne_u16_sdwa vcc, v16, v51 src0_sel:BYTE_0 src1_sel:DWORD
	s_and_saveexec_b64 s[28:29], vcc
	s_cbranch_execz .LBB6_12443
; %bb.12438:                            ;   in Loop: Header=BB6_10567 Depth=3
	v_cmp_ne_u16_sdwa vcc, v16, s96 src0_sel:BYTE_0 src1_sel:DWORD
	v_bfrev_b32_e32 v1, 1
	s_and_saveexec_b64 s[30:31], vcc
	s_cbranch_execz .LBB6_12442
; %bb.12439:                            ;   in Loop: Header=BB6_10567 Depth=3
	v_and_b32_e32 v4, 0x7f, v16
	v_cmp_ne_u32_e32 vcc, s86, v4
	v_mov_b32_e32 v1, 0x7f800001
	s_and_saveexec_b64 s[34:35], vcc
	s_cbranch_execz .LBB6_12441
; %bb.12440:                            ;   in Loop: Header=BB6_10567 Depth=3
	v_and_b32_e32 v1, 7, v16
	v_ffbh_u32_e32 v1, v1
	v_min_u32_e32 v1, 32, v1
	v_lshrrev_b32_e32 v5, 3, v4
	v_cmp_gt_u32_e32 vcc, 8, v4
	v_subrev_u32_e32 v4, 28, v1
	v_sub_u32_e32 v1, 29, v1
	v_cndmask_b32_e32 v4, 0, v4, vcc
	v_cndmask_b32_e32 v1, v5, v1, vcc
	v_lshlrev_b64 v[4:5], v4, v[16:17]
	v_lshlrev_b32_e32 v5, 24, v16
	v_lshlrev_b32_e32 v4, 20, v4
	v_bfrev_b32_e32 v6, 60
	v_and_b32_e32 v4, 0x700000, v4
	v_and_b32_e32 v5, 0x80000000, v5
	v_lshl_add_u32 v1, v1, 23, v6
	v_or3_b32 v1, v5, v1, v4
.LBB6_12441:                            ;   in Loop: Header=BB6_10567 Depth=3
	s_or_b64 exec, exec, s[34:35]
.LBB6_12442:                            ;   in Loop: Header=BB6_10567 Depth=3
	s_or_b64 exec, exec, s[30:31]
.LBB6_12443:                            ;   in Loop: Header=BB6_10567 Depth=3
	s_or_b64 exec, exec, s[28:29]
	v_add_f32_e32 v3, v3, v1
	v_and_b32_e32 v4, 0x7f800000, v3
	v_mov_b32_e32 v5, v51
	v_cmp_ne_u64_e32 vcc, s[76:77], v[4:5]
                                        ; implicit-def: $vgpr37
	s_and_saveexec_b64 s[28:29], vcc
	s_xor_b64 s[30:31], exec, s[28:29]
	s_cbranch_execz .LBB6_12457
; %bb.12444:                            ;   in Loop: Header=BB6_10567 Depth=3
	v_and_b32_e32 v4, 0x7fffffff, v3
	v_mov_b32_e32 v5, v51
	v_cmp_gt_u64_e32 vcc, s[78:79], v[4:5]
	v_and_b32_sdwa v1, v3, s96 dst_sel:DWORD dst_unused:UNUSED_PAD src0_sel:BYTE_3 src1_sel:DWORD
                                        ; implicit-def: $vgpr37
	s_and_saveexec_b64 s[28:29], vcc
	s_xor_b64 s[34:35], exec, s[28:29]
	s_cbranch_execz .LBB6_12454
; %bb.12445:                            ;   in Loop: Header=BB6_10567 Depth=3
	v_mov_b32_e32 v37, 0
	v_cmp_ne_u32_e32 vcc, 0, v3
	s_and_saveexec_b64 s[36:37], vcc
	s_cbranch_execz .LBB6_12453
; %bb.12446:                            ;   in Loop: Header=BB6_10567 Depth=3
	v_and_b32_e32 v4, 0x7fffff, v3
	v_bfe_u32 v3, v3, 23, 8
	v_cmp_gt_u32_e64 s[28:29], s97, v3
	v_sub_u32_e32 v5, 0x79, v3
	v_cmp_eq_u32_e32 vcc, 0, v3
	v_cndmask_b32_e64 v5, 0, v5, s[28:29]
	v_mov_b32_e32 v6, 0x78
	v_or_b32_e32 v21, 0x800000, v4
	v_cndmask_b32_e32 v6, v5, v6, vcc
	v_cndmask_b32_e32 v4, v21, v4, vcc
	v_add_u32_e32 v21, 20, v6
	v_lshlrev_b64 v[21:22], v21, -1
	v_add_u32_e32 v23, 19, v6
	v_lshlrev_b64 v[23:24], v23, 1
	v_mov_b32_e32 v5, v51
	v_bfi_b32 v22, v22, 0, 0
	v_bfi_b32 v21, v21, 0, v4
	v_cmp_eq_u64_e64 s[28:29], v[21:22], v[23:24]
	v_lshrrev_b64 v[21:22], v6, v[4:5]
	v_mov_b32_e32 v4, v21
	v_mov_b32_e32 v5, v22
	s_and_saveexec_b64 s[38:39], s[28:29]
; %bb.12447:                            ;   in Loop: Header=BB6_10567 Depth=3
	v_bfe_u32 v4, v21, 20, 1
	v_add_co_u32_e64 v4, s[28:29], v21, v4
	v_add_co_u32_e64 v4, s[28:29], -1, v4
; %bb.12448:                            ;   in Loop: Header=BB6_10567 Depth=3
	s_or_b64 exec, exec, s[38:39]
	v_add_u32_e32 v3, 0xffffff81, v3
	v_mov_b32_e32 v5, 0xffffff82
	v_cndmask_b32_e32 v3, v3, v5, vcc
	v_lshrrev_b32_e32 v5, 23, v21
	v_add3_u32 v6, v6, v3, v5
	v_add_u32_e32 v5, 6, v6
	v_and_b32_e32 v3, 0xfffff, v4
	v_add_u32_e32 v21, v3, v21
	v_mov_b32_e32 v22, v51
	v_cmp_ne_u32_e32 vcc, 0, v5
                                        ; implicit-def: $vgpr3
	s_and_saveexec_b64 s[28:29], vcc
	s_xor_b64 s[28:29], exec, s[28:29]
; %bb.12449:                            ;   in Loop: Header=BB6_10567 Depth=3
	v_cmp_lt_u64_e32 vcc, s[88:89], v[21:22]
	v_add_u32_e32 v3, 7, v6
	v_cndmask_b32_e64 v4, 0, 1, vcc
	v_lshrrev_b64 v[21:22], v4, v[21:22]
	v_cndmask_b32_e32 v3, v5, v3, vcc
; %bb.12450:                            ;   in Loop: Header=BB6_10567 Depth=3
	s_andn2_saveexec_b64 s[28:29], s[28:29]
; %bb.12451:                            ;   in Loop: Header=BB6_10567 Depth=3
	v_bfe_u32 v3, v21, 23, 1
; %bb.12452:                            ;   in Loop: Header=BB6_10567 Depth=3
	s_or_b64 exec, exec, s[28:29]
	v_lshrrev_b64 v[4:5], 20, v[21:22]
	v_cmp_gt_i32_e32 vcc, 16, v3
	v_cndmask_b32_e32 v5, 0, v5, vcc
	v_cndmask_b32_e32 v4, 7, v4, vcc
	v_cmp_eq_u32_e32 vcc, 0, v3
	v_min_i32_e32 v3, 15, v3
	v_cmp_eq_u64_e64 s[28:29], 0, v[4:5]
	v_lshlrev_b32_e32 v3, 3, v3
	v_and_b32_e32 v3, 0xf8, v3
	v_and_or_b32 v3, v4, 7, v3
	s_and_b64 s[28:29], vcc, s[28:29]
	v_cndmask_b32_e64 v3, v3, 0, s[28:29]
	v_or_b32_e32 v37, v3, v1
.LBB6_12453:                            ;   in Loop: Header=BB6_10567 Depth=3
	s_or_b64 exec, exec, s[36:37]
                                        ; implicit-def: $vgpr1
.LBB6_12454:                            ;   in Loop: Header=BB6_10567 Depth=3
	s_andn2_saveexec_b64 s[28:29], s[34:35]
; %bb.12455:                            ;   in Loop: Header=BB6_10567 Depth=3
	v_or_b32_e32 v37, 0x7e, v1
; %bb.12456:                            ;   in Loop: Header=BB6_10567 Depth=3
	s_or_b64 exec, exec, s[28:29]
                                        ; implicit-def: $vgpr3
.LBB6_12457:                            ;   in Loop: Header=BB6_10567 Depth=3
	s_andn2_saveexec_b64 s[28:29], s[30:31]
; %bb.12458:                            ;   in Loop: Header=BB6_10567 Depth=3
	v_or_b32_sdwa v37, v3, s86 dst_sel:DWORD dst_unused:UNUSED_PAD src0_sel:BYTE_3 src1_sel:DWORD
; %bb.12459:                            ;   in Loop: Header=BB6_10567 Depth=3
	s_or_b64 exec, exec, s[28:29]
	v_lshrrev_b16_e32 v21, 8, v0
	v_cmp_ne_u16_e32 vcc, 0, v21
	v_mov_b32_e32 v1, 0
	v_mov_b32_e32 v3, 0
	s_and_saveexec_b64 s[28:29], vcc
	s_cbranch_execz .LBB6_12465
; %bb.12460:                            ;   in Loop: Header=BB6_10567 Depth=3
	v_cmp_ne_u16_e32 vcc, s96, v21
	v_bfrev_b32_e32 v3, 1
	s_and_saveexec_b64 s[30:31], vcc
	s_cbranch_execz .LBB6_12464
; %bb.12461:                            ;   in Loop: Header=BB6_10567 Depth=3
	v_and_b32_e32 v4, 0x7f, v21
	v_cmp_ne_u32_e32 vcc, s86, v4
	v_mov_b32_e32 v3, 0x7f800001
	s_and_saveexec_b64 s[34:35], vcc
	s_cbranch_execz .LBB6_12463
; %bb.12462:                            ;   in Loop: Header=BB6_10567 Depth=3
	v_and_b32_e32 v5, 7, v21
	v_ffbh_u32_e32 v3, v5
	v_min_u32_e32 v22, 32, v3
	v_subrev_u32_e32 v3, 28, v22
	v_lshrrev_b32_e32 v6, 3, v4
	v_cmp_gt_u32_e32 vcc, 8, v4
	v_lshlrev_b64 v[3:4], v3, v[21:22]
	v_sub_u32_e32 v4, 29, v22
	v_and_b32_e32 v3, 7, v3
	v_cndmask_b32_e32 v4, v6, v4, vcc
	v_cndmask_b32_e32 v3, v5, v3, vcc
	v_lshlrev_b32_e32 v0, 16, v0
	v_bfrev_b32_e32 v5, 60
	v_lshlrev_b32_e32 v3, 20, v3
	v_and_b32_e32 v0, 0x80000000, v0
	v_lshl_add_u32 v4, v4, 23, v5
	v_or3_b32 v3, v0, v4, v3
.LBB6_12463:                            ;   in Loop: Header=BB6_10567 Depth=3
	s_or_b64 exec, exec, s[34:35]
.LBB6_12464:                            ;   in Loop: Header=BB6_10567 Depth=3
	s_or_b64 exec, exec, s[30:31]
.LBB6_12465:                            ;   in Loop: Header=BB6_10567 Depth=3
	s_or_b64 exec, exec, s[28:29]
	v_lshrrev_b16_e32 v21, 8, v16
	v_cmp_ne_u16_e32 vcc, 0, v21
	s_and_saveexec_b64 s[28:29], vcc
	s_cbranch_execz .LBB6_12471
; %bb.12466:                            ;   in Loop: Header=BB6_10567 Depth=3
	v_cmp_ne_u16_e32 vcc, s96, v21
	v_bfrev_b32_e32 v1, 1
	s_and_saveexec_b64 s[30:31], vcc
	s_cbranch_execz .LBB6_12470
; %bb.12467:                            ;   in Loop: Header=BB6_10567 Depth=3
	v_and_b32_e32 v0, 0x7f, v21
	v_cmp_ne_u32_e32 vcc, s86, v0
	v_mov_b32_e32 v1, 0x7f800001
	s_and_saveexec_b64 s[34:35], vcc
	s_cbranch_execz .LBB6_12469
; %bb.12468:                            ;   in Loop: Header=BB6_10567 Depth=3
	v_and_b32_e32 v4, 7, v21
	v_lshrrev_b32_e32 v5, 3, v0
	v_cmp_gt_u32_e32 vcc, 8, v0
	v_ffbh_u32_e32 v0, v4
	v_min_u32_e32 v6, 32, v0
	v_subrev_u32_e32 v0, 28, v6
	v_lshlrev_b64 v[0:1], v0, v[21:22]
	v_sub_u32_e32 v1, 29, v6
	v_and_b32_e32 v0, 7, v0
	v_cndmask_b32_e32 v1, v5, v1, vcc
	v_cndmask_b32_e32 v0, v4, v0, vcc
	v_lshlrev_b32_e32 v4, 16, v16
	v_bfrev_b32_e32 v5, 60
	v_lshlrev_b32_e32 v0, 20, v0
	v_and_b32_e32 v4, 0x80000000, v4
	v_lshl_add_u32 v1, v1, 23, v5
	v_or3_b32 v1, v4, v1, v0
.LBB6_12469:                            ;   in Loop: Header=BB6_10567 Depth=3
	s_or_b64 exec, exec, s[34:35]
.LBB6_12470:                            ;   in Loop: Header=BB6_10567 Depth=3
	s_or_b64 exec, exec, s[30:31]
.LBB6_12471:                            ;   in Loop: Header=BB6_10567 Depth=3
	s_or_b64 exec, exec, s[28:29]
	v_add_f32_e32 v1, v3, v1
	v_and_b32_e32 v3, 0x7f800000, v1
	v_mov_b32_e32 v4, v51
	v_cmp_ne_u64_e32 vcc, s[76:77], v[3:4]
                                        ; implicit-def: $vgpr0
                                        ; kill: killed $vgpr0
	s_and_saveexec_b64 s[28:29], vcc
	s_xor_b64 s[30:31], exec, s[28:29]
	s_cbranch_execz .LBB6_12485
; %bb.12472:                            ;   in Loop: Header=BB6_10567 Depth=3
	v_and_b32_e32 v3, 0x7fffffff, v1
	v_mov_b32_e32 v4, v51
	v_cmp_gt_u64_e32 vcc, s[78:79], v[3:4]
	v_and_b32_sdwa v0, v1, s96 dst_sel:DWORD dst_unused:UNUSED_PAD src0_sel:BYTE_3 src1_sel:DWORD
                                        ; implicit-def: $vgpr3
                                        ; kill: killed $vgpr3
	s_and_saveexec_b64 s[28:29], vcc
	s_xor_b64 s[34:35], exec, s[28:29]
	s_cbranch_execz .LBB6_12482
; %bb.12473:                            ;   in Loop: Header=BB6_10567 Depth=3
	v_mov_b32_e32 v3, 0
	v_cmp_ne_u32_e32 vcc, 0, v1
	buffer_store_dword v3, off, s[0:3], s33 offset:256 ; 4-byte Folded Spill
	s_and_saveexec_b64 s[36:37], vcc
	s_cbranch_execz .LBB6_12481
; %bb.12474:                            ;   in Loop: Header=BB6_10567 Depth=3
	v_and_b32_e32 v4, 0x7fffff, v1
	v_bfe_u32 v1, v1, 23, 8
	v_cmp_gt_u32_e64 s[28:29], s97, v1
	v_sub_u32_e32 v3, 0x79, v1
	v_cmp_eq_u32_e32 vcc, 0, v1
	v_cndmask_b32_e64 v3, 0, v3, s[28:29]
	v_mov_b32_e32 v6, 0x78
	v_cndmask_b32_e32 v3, v3, v6, vcc
	v_add_u32_e32 v6, 20, v3
	v_or_b32_e32 v5, 0x800000, v4
	v_lshlrev_b64 v[21:22], v6, -1
	v_add_u32_e32 v6, 19, v3
	v_cndmask_b32_e32 v4, v5, v4, vcc
	v_lshlrev_b64 v[23:24], v6, 1
	v_mov_b32_e32 v5, v51
	v_bfi_b32 v22, v22, 0, 0
	v_bfi_b32 v21, v21, 0, v4
	v_cmp_eq_u64_e64 s[28:29], v[21:22], v[23:24]
	v_lshrrev_b64 v[21:22], v3, v[4:5]
	v_mov_b32_e32 v4, v21
	v_mov_b32_e32 v5, v22
	s_and_saveexec_b64 s[38:39], s[28:29]
; %bb.12475:                            ;   in Loop: Header=BB6_10567 Depth=3
	v_bfe_u32 v4, v21, 20, 1
	v_add_co_u32_e64 v4, s[28:29], v21, v4
	v_add_co_u32_e64 v4, s[28:29], -1, v4
; %bb.12476:                            ;   in Loop: Header=BB6_10567 Depth=3
	s_or_b64 exec, exec, s[38:39]
	v_add_u32_e32 v1, 0xffffff81, v1
	v_mov_b32_e32 v5, 0xffffff82
	v_cndmask_b32_e32 v1, v1, v5, vcc
	v_lshrrev_b32_e32 v5, 23, v21
	v_add3_u32 v5, v3, v1, v5
	v_add_u32_e32 v3, 6, v5
	v_and_b32_e32 v1, 0xfffff, v4
	v_add_u32_e32 v21, v1, v21
	v_mov_b32_e32 v22, v51
	v_cmp_ne_u32_e32 vcc, 0, v3
                                        ; implicit-def: $vgpr1
	s_and_saveexec_b64 s[28:29], vcc
	s_xor_b64 s[28:29], exec, s[28:29]
; %bb.12477:                            ;   in Loop: Header=BB6_10567 Depth=3
	v_cmp_lt_u64_e32 vcc, s[88:89], v[21:22]
	v_add_u32_e32 v1, 7, v5
	v_cndmask_b32_e32 v1, v3, v1, vcc
	v_cndmask_b32_e64 v3, 0, 1, vcc
	v_lshrrev_b64 v[21:22], v3, v[21:22]
; %bb.12478:                            ;   in Loop: Header=BB6_10567 Depth=3
	s_andn2_saveexec_b64 s[28:29], s[28:29]
; %bb.12479:                            ;   in Loop: Header=BB6_10567 Depth=3
	v_bfe_u32 v1, v21, 23, 1
; %bb.12480:                            ;   in Loop: Header=BB6_10567 Depth=3
	s_or_b64 exec, exec, s[28:29]
	v_lshrrev_b64 v[3:4], 20, v[21:22]
	v_cmp_gt_i32_e32 vcc, 16, v1
	v_cndmask_b32_e32 v4, 0, v4, vcc
	v_cndmask_b32_e32 v3, 7, v3, vcc
	v_cmp_eq_u32_e32 vcc, 0, v1
	v_min_i32_e32 v1, 15, v1
	v_cmp_eq_u64_e64 s[28:29], 0, v[3:4]
	v_lshlrev_b32_e32 v1, 3, v1
	v_and_b32_e32 v1, 0xf8, v1
	v_and_or_b32 v1, v3, 7, v1
	s_and_b64 s[28:29], vcc, s[28:29]
	v_cndmask_b32_e64 v1, v1, 0, s[28:29]
	v_or_b32_e32 v0, v1, v0
	buffer_store_dword v0, off, s[0:3], s33 offset:256 ; 4-byte Folded Spill
.LBB6_12481:                            ;   in Loop: Header=BB6_10567 Depth=3
	s_or_b64 exec, exec, s[36:37]
                                        ; implicit-def: $vgpr0
.LBB6_12482:                            ;   in Loop: Header=BB6_10567 Depth=3
	s_andn2_saveexec_b64 s[28:29], s[34:35]
	s_cbranch_execz .LBB6_12484
; %bb.12483:                            ;   in Loop: Header=BB6_10567 Depth=3
	v_or_b32_e32 v0, 0x7e, v0
	buffer_store_dword v0, off, s[0:3], s33 offset:256 ; 4-byte Folded Spill
.LBB6_12484:                            ;   in Loop: Header=BB6_10567 Depth=3
	s_or_b64 exec, exec, s[28:29]
                                        ; implicit-def: $vgpr1
.LBB6_12485:                            ;   in Loop: Header=BB6_10567 Depth=3
	s_andn2_saveexec_b64 s[28:29], s[30:31]
	s_cbranch_execz .LBB6_12487
; %bb.12486:                            ;   in Loop: Header=BB6_10567 Depth=3
	v_or_b32_sdwa v0, v1, s86 dst_sel:DWORD dst_unused:UNUSED_PAD src0_sel:BYTE_3 src1_sel:DWORD
	buffer_store_dword v0, off, s[0:3], s33 offset:256 ; 4-byte Folded Spill
.LBB6_12487:                            ;   in Loop: Header=BB6_10567 Depth=3
	s_or_b64 exec, exec, s[28:29]
	v_lshrrev_b32_e32 v21, 16, v20
	v_cmp_ne_u16_sdwa vcc, v21, v51 src0_sel:BYTE_0 src1_sel:DWORD
	v_mov_b32_e32 v0, 0
	v_mov_b32_e32 v1, 0
	s_and_saveexec_b64 s[28:29], vcc
	s_cbranch_execz .LBB6_12493
; %bb.12488:                            ;   in Loop: Header=BB6_10567 Depth=3
	v_cmp_ne_u16_sdwa vcc, v21, s96 src0_sel:BYTE_0 src1_sel:DWORD
	v_bfrev_b32_e32 v1, 1
	s_and_saveexec_b64 s[30:31], vcc
	s_cbranch_execz .LBB6_12492
; %bb.12489:                            ;   in Loop: Header=BB6_10567 Depth=3
	v_bfe_u32 v3, v20, 16, 7
	v_cmp_ne_u32_e32 vcc, s86, v3
	v_mov_b32_e32 v1, 0x7f800001
	s_and_saveexec_b64 s[34:35], vcc
	s_cbranch_execz .LBB6_12491
; %bb.12490:                            ;   in Loop: Header=BB6_10567 Depth=3
	v_and_b32_e32 v1, 7, v21
	v_lshrrev_b32_e32 v5, 3, v3
	v_cmp_gt_u32_e32 vcc, 8, v3
	v_ffbh_u32_e32 v3, v1
	v_min_u32_e32 v6, 32, v3
	v_subrev_u32_e32 v3, 28, v6
	v_lshlrev_b64 v[3:4], v3, v[21:22]
	v_sub_u32_e32 v4, 29, v6
	v_and_b32_e32 v3, 7, v3
	v_cndmask_b32_e32 v4, v5, v4, vcc
	v_cndmask_b32_e32 v1, v1, v3, vcc
	v_lshlrev_b32_e32 v3, 24, v21
	v_bfrev_b32_e32 v5, 60
	v_lshlrev_b32_e32 v1, 20, v1
	v_and_b32_e32 v3, 0x80000000, v3
	v_lshl_add_u32 v4, v4, 23, v5
	v_or3_b32 v1, v3, v4, v1
.LBB6_12491:                            ;   in Loop: Header=BB6_10567 Depth=3
	s_or_b64 exec, exec, s[34:35]
.LBB6_12492:                            ;   in Loop: Header=BB6_10567 Depth=3
	s_or_b64 exec, exec, s[30:31]
.LBB6_12493:                            ;   in Loop: Header=BB6_10567 Depth=3
	s_or_b64 exec, exec, s[28:29]
	v_lshrrev_b32_e32 v21, 16, v16
	v_cmp_ne_u16_sdwa vcc, v21, v51 src0_sel:BYTE_0 src1_sel:DWORD
	s_and_saveexec_b64 s[28:29], vcc
	s_cbranch_execz .LBB6_12499
; %bb.12494:                            ;   in Loop: Header=BB6_10567 Depth=3
	v_cmp_ne_u16_sdwa vcc, v21, s96 src0_sel:BYTE_0 src1_sel:DWORD
	v_bfrev_b32_e32 v0, 1
	s_and_saveexec_b64 s[30:31], vcc
	s_cbranch_execz .LBB6_12498
; %bb.12495:                            ;   in Loop: Header=BB6_10567 Depth=3
	v_bfe_u32 v3, v16, 16, 7
	v_cmp_ne_u32_e32 vcc, s86, v3
	v_mov_b32_e32 v0, 0x7f800001
	s_and_saveexec_b64 s[34:35], vcc
	s_cbranch_execz .LBB6_12497
; %bb.12496:                            ;   in Loop: Header=BB6_10567 Depth=3
	v_and_b32_e32 v0, 7, v21
	v_lshrrev_b32_e32 v5, 3, v3
	v_cmp_gt_u32_e32 vcc, 8, v3
	v_ffbh_u32_e32 v3, v0
	v_min_u32_e32 v6, 32, v3
	v_subrev_u32_e32 v3, 28, v6
	v_lshlrev_b64 v[3:4], v3, v[21:22]
	v_sub_u32_e32 v4, 29, v6
	v_and_b32_e32 v3, 7, v3
	v_cndmask_b32_e32 v4, v5, v4, vcc
	v_cndmask_b32_e32 v0, v0, v3, vcc
	v_lshlrev_b32_e32 v3, 8, v16
	v_bfrev_b32_e32 v5, 60
	v_lshlrev_b32_e32 v0, 20, v0
	v_and_b32_e32 v3, 0x80000000, v3
	v_lshl_add_u32 v4, v4, 23, v5
	v_or3_b32 v0, v3, v4, v0
.LBB6_12497:                            ;   in Loop: Header=BB6_10567 Depth=3
	s_or_b64 exec, exec, s[34:35]
.LBB6_12498:                            ;   in Loop: Header=BB6_10567 Depth=3
	s_or_b64 exec, exec, s[30:31]
.LBB6_12499:                            ;   in Loop: Header=BB6_10567 Depth=3
	s_or_b64 exec, exec, s[28:29]
	v_add_f32_e32 v1, v1, v0
	v_and_b32_e32 v3, 0x7f800000, v1
	v_mov_b32_e32 v4, v51
	v_cmp_ne_u64_e32 vcc, s[76:77], v[3:4]
                                        ; implicit-def: $vgpr0
                                        ; kill: killed $vgpr0
	s_and_saveexec_b64 s[28:29], vcc
	s_xor_b64 s[30:31], exec, s[28:29]
	s_cbranch_execz .LBB6_12513
; %bb.12500:                            ;   in Loop: Header=BB6_10567 Depth=3
	v_and_b32_e32 v3, 0x7fffffff, v1
	v_mov_b32_e32 v4, v51
	v_cmp_gt_u64_e32 vcc, s[78:79], v[3:4]
	v_and_b32_sdwa v0, v1, s96 dst_sel:DWORD dst_unused:UNUSED_PAD src0_sel:BYTE_3 src1_sel:DWORD
                                        ; implicit-def: $vgpr3
                                        ; kill: killed $vgpr3
	s_and_saveexec_b64 s[28:29], vcc
	s_xor_b64 s[34:35], exec, s[28:29]
	s_cbranch_execz .LBB6_12510
; %bb.12501:                            ;   in Loop: Header=BB6_10567 Depth=3
	v_mov_b32_e32 v3, 0
	v_cmp_ne_u32_e32 vcc, 0, v1
	buffer_store_dword v3, off, s[0:3], s33 offset:296 ; 4-byte Folded Spill
	s_and_saveexec_b64 s[36:37], vcc
	s_cbranch_execz .LBB6_12509
; %bb.12502:                            ;   in Loop: Header=BB6_10567 Depth=3
	v_and_b32_e32 v4, 0x7fffff, v1
	v_bfe_u32 v1, v1, 23, 8
	v_cmp_gt_u32_e64 s[28:29], s97, v1
	v_sub_u32_e32 v3, 0x79, v1
	v_cmp_eq_u32_e32 vcc, 0, v1
	v_cndmask_b32_e64 v3, 0, v3, s[28:29]
	v_mov_b32_e32 v6, 0x78
	v_cndmask_b32_e32 v3, v3, v6, vcc
	v_add_u32_e32 v6, 20, v3
	v_or_b32_e32 v5, 0x800000, v4
	v_lshlrev_b64 v[21:22], v6, -1
	v_add_u32_e32 v6, 19, v3
	v_cndmask_b32_e32 v4, v5, v4, vcc
	v_lshlrev_b64 v[23:24], v6, 1
	v_mov_b32_e32 v5, v51
	v_bfi_b32 v22, v22, 0, 0
	v_bfi_b32 v21, v21, 0, v4
	v_cmp_eq_u64_e64 s[28:29], v[21:22], v[23:24]
	v_lshrrev_b64 v[21:22], v3, v[4:5]
	v_mov_b32_e32 v4, v21
	v_mov_b32_e32 v5, v22
	s_and_saveexec_b64 s[38:39], s[28:29]
; %bb.12503:                            ;   in Loop: Header=BB6_10567 Depth=3
	v_bfe_u32 v4, v21, 20, 1
	v_add_co_u32_e64 v4, s[28:29], v21, v4
	v_add_co_u32_e64 v4, s[28:29], -1, v4
; %bb.12504:                            ;   in Loop: Header=BB6_10567 Depth=3
	s_or_b64 exec, exec, s[38:39]
	v_add_u32_e32 v1, 0xffffff81, v1
	v_mov_b32_e32 v5, 0xffffff82
	v_cndmask_b32_e32 v1, v1, v5, vcc
	v_lshrrev_b32_e32 v5, 23, v21
	v_add3_u32 v5, v3, v1, v5
	v_add_u32_e32 v3, 6, v5
	v_and_b32_e32 v1, 0xfffff, v4
	v_add_u32_e32 v21, v1, v21
	v_mov_b32_e32 v22, v51
	v_cmp_ne_u32_e32 vcc, 0, v3
                                        ; implicit-def: $vgpr1
	s_and_saveexec_b64 s[28:29], vcc
	s_xor_b64 s[28:29], exec, s[28:29]
; %bb.12505:                            ;   in Loop: Header=BB6_10567 Depth=3
	v_cmp_lt_u64_e32 vcc, s[88:89], v[21:22]
	v_add_u32_e32 v1, 7, v5
	v_cndmask_b32_e32 v1, v3, v1, vcc
	v_cndmask_b32_e64 v3, 0, 1, vcc
	v_lshrrev_b64 v[21:22], v3, v[21:22]
; %bb.12506:                            ;   in Loop: Header=BB6_10567 Depth=3
	s_andn2_saveexec_b64 s[28:29], s[28:29]
; %bb.12507:                            ;   in Loop: Header=BB6_10567 Depth=3
	v_bfe_u32 v1, v21, 23, 1
; %bb.12508:                            ;   in Loop: Header=BB6_10567 Depth=3
	s_or_b64 exec, exec, s[28:29]
	v_lshrrev_b64 v[3:4], 20, v[21:22]
	v_cmp_gt_i32_e32 vcc, 16, v1
	v_cndmask_b32_e32 v4, 0, v4, vcc
	v_cndmask_b32_e32 v3, 7, v3, vcc
	v_cmp_eq_u32_e32 vcc, 0, v1
	v_min_i32_e32 v1, 15, v1
	v_cmp_eq_u64_e64 s[28:29], 0, v[3:4]
	v_lshlrev_b32_e32 v1, 3, v1
	v_and_b32_e32 v1, 0xf8, v1
	v_and_or_b32 v1, v3, 7, v1
	s_and_b64 s[28:29], vcc, s[28:29]
	v_cndmask_b32_e64 v1, v1, 0, s[28:29]
	v_or_b32_e32 v0, v1, v0
	buffer_store_dword v0, off, s[0:3], s33 offset:296 ; 4-byte Folded Spill
.LBB6_12509:                            ;   in Loop: Header=BB6_10567 Depth=3
	s_or_b64 exec, exec, s[36:37]
                                        ; implicit-def: $vgpr0
.LBB6_12510:                            ;   in Loop: Header=BB6_10567 Depth=3
	s_andn2_saveexec_b64 s[28:29], s[34:35]
	s_cbranch_execz .LBB6_12512
; %bb.12511:                            ;   in Loop: Header=BB6_10567 Depth=3
	v_or_b32_e32 v0, 0x7e, v0
	buffer_store_dword v0, off, s[0:3], s33 offset:296 ; 4-byte Folded Spill
.LBB6_12512:                            ;   in Loop: Header=BB6_10567 Depth=3
	s_or_b64 exec, exec, s[28:29]
                                        ; implicit-def: $vgpr1
.LBB6_12513:                            ;   in Loop: Header=BB6_10567 Depth=3
	s_andn2_saveexec_b64 s[28:29], s[30:31]
	s_cbranch_execz .LBB6_12515
; %bb.12514:                            ;   in Loop: Header=BB6_10567 Depth=3
	v_or_b32_sdwa v0, v1, s86 dst_sel:DWORD dst_unused:UNUSED_PAD src0_sel:BYTE_3 src1_sel:DWORD
	buffer_store_dword v0, off, s[0:3], s33 offset:296 ; 4-byte Folded Spill
.LBB6_12515:                            ;   in Loop: Header=BB6_10567 Depth=3
	s_or_b64 exec, exec, s[28:29]
	v_cmp_lt_u32_e32 vcc, s57, v20
	v_mov_b32_e32 v0, 0
	v_mov_b32_e32 v1, 0
	s_and_saveexec_b64 s[28:29], vcc
	s_cbranch_execz .LBB6_12521
; %bb.12516:                            ;   in Loop: Header=BB6_10567 Depth=3
	v_lshrrev_b32_e32 v21, 24, v20
	v_cmp_ne_u32_sdwa vcc, v20, s96 src0_sel:BYTE_3 src1_sel:DWORD
	v_bfrev_b32_e32 v1, 1
	s_and_saveexec_b64 s[30:31], vcc
	s_cbranch_execz .LBB6_12520
; %bb.12517:                            ;   in Loop: Header=BB6_10567 Depth=3
	v_bfe_u32 v3, v20, 24, 7
	v_cmp_ne_u32_e32 vcc, s86, v3
	v_mov_b32_e32 v1, 0x7f800001
	s_and_saveexec_b64 s[34:35], vcc
	s_cbranch_execz .LBB6_12519
; %bb.12518:                            ;   in Loop: Header=BB6_10567 Depth=3
	v_and_b32_e32 v1, 7, v21
	v_lshrrev_b32_e32 v5, 3, v3
	v_cmp_gt_u32_e32 vcc, 8, v3
	v_ffbh_u32_e32 v3, v1
	v_min_u32_e32 v6, 32, v3
	v_subrev_u32_e32 v3, 28, v6
	v_lshlrev_b64 v[3:4], v3, v[21:22]
	v_sub_u32_e32 v4, 29, v6
	v_and_b32_e32 v3, 7, v3
	v_cndmask_b32_e32 v1, v1, v3, vcc
	v_mov_b32_e32 v3, 24
	v_cndmask_b32_e32 v4, v5, v4, vcc
	v_lshlrev_b32_sdwa v3, v3, v20 dst_sel:DWORD dst_unused:UNUSED_PAD src0_sel:DWORD src1_sel:BYTE_3
	v_bfrev_b32_e32 v5, 60
	v_lshlrev_b32_e32 v1, 20, v1
	v_and_b32_e32 v3, 0x80000000, v3
	v_lshl_add_u32 v4, v4, 23, v5
	v_or3_b32 v1, v3, v4, v1
.LBB6_12519:                            ;   in Loop: Header=BB6_10567 Depth=3
	s_or_b64 exec, exec, s[34:35]
.LBB6_12520:                            ;   in Loop: Header=BB6_10567 Depth=3
	s_or_b64 exec, exec, s[30:31]
.LBB6_12521:                            ;   in Loop: Header=BB6_10567 Depth=3
	s_or_b64 exec, exec, s[28:29]
	v_cmp_lt_u32_e32 vcc, s57, v16
	s_and_saveexec_b64 s[28:29], vcc
	s_cbranch_execz .LBB6_12527
; %bb.12522:                            ;   in Loop: Header=BB6_10567 Depth=3
	v_lshrrev_b32_e32 v20, 24, v16
	v_cmp_ne_u32_e32 vcc, s96, v20
	v_bfrev_b32_e32 v0, 1
	s_and_saveexec_b64 s[30:31], vcc
	s_cbranch_execz .LBB6_12526
; %bb.12523:                            ;   in Loop: Header=BB6_10567 Depth=3
	v_bfe_u32 v3, v16, 24, 7
	v_cmp_ne_u32_e32 vcc, s86, v3
	v_mov_b32_e32 v0, 0x7f800001
	s_and_saveexec_b64 s[34:35], vcc
	s_cbranch_execz .LBB6_12525
; %bb.12524:                            ;   in Loop: Header=BB6_10567 Depth=3
	v_and_b32_e32 v0, 7, v20
	v_lshrrev_b32_e32 v5, 3, v3
	v_cmp_gt_u32_e32 vcc, 8, v3
	v_ffbh_u32_e32 v3, v0
	v_min_u32_e32 v6, 32, v3
	v_subrev_u32_e32 v3, 28, v6
	v_lshlrev_b64 v[3:4], v3, v[20:21]
	v_sub_u32_e32 v4, 29, v6
	v_and_b32_e32 v3, 7, v3
	v_cndmask_b32_e32 v4, v5, v4, vcc
	v_cndmask_b32_e32 v0, v0, v3, vcc
	v_lshlrev_b32_e32 v3, 24, v20
	v_bfrev_b32_e32 v5, 60
	v_lshlrev_b32_e32 v0, 20, v0
	v_and_b32_e32 v3, 0x80000000, v3
	v_lshl_add_u32 v4, v4, 23, v5
	v_or3_b32 v0, v3, v4, v0
.LBB6_12525:                            ;   in Loop: Header=BB6_10567 Depth=3
	s_or_b64 exec, exec, s[34:35]
.LBB6_12526:                            ;   in Loop: Header=BB6_10567 Depth=3
	s_or_b64 exec, exec, s[30:31]
.LBB6_12527:                            ;   in Loop: Header=BB6_10567 Depth=3
	s_or_b64 exec, exec, s[28:29]
	v_add_f32_e32 v1, v1, v0
	v_and_b32_e32 v3, 0x7f800000, v1
	v_mov_b32_e32 v4, v51
	v_cmp_ne_u64_e32 vcc, s[76:77], v[3:4]
                                        ; implicit-def: $vgpr0
                                        ; kill: killed $vgpr0
	s_and_saveexec_b64 s[28:29], vcc
	s_xor_b64 s[30:31], exec, s[28:29]
	s_cbranch_execz .LBB6_12541
; %bb.12528:                            ;   in Loop: Header=BB6_10567 Depth=3
	v_and_b32_e32 v3, 0x7fffffff, v1
	v_mov_b32_e32 v4, v51
	v_cmp_gt_u64_e32 vcc, s[78:79], v[3:4]
	v_and_b32_sdwa v0, v1, s96 dst_sel:DWORD dst_unused:UNUSED_PAD src0_sel:BYTE_3 src1_sel:DWORD
                                        ; implicit-def: $vgpr3
                                        ; kill: killed $vgpr3
	s_and_saveexec_b64 s[28:29], vcc
	s_xor_b64 s[34:35], exec, s[28:29]
	s_cbranch_execz .LBB6_12538
; %bb.12529:                            ;   in Loop: Header=BB6_10567 Depth=3
	v_mov_b32_e32 v3, 0
	v_cmp_ne_u32_e32 vcc, 0, v1
	buffer_store_dword v3, off, s[0:3], s33 offset:308 ; 4-byte Folded Spill
	s_and_saveexec_b64 s[36:37], vcc
	s_cbranch_execz .LBB6_12537
; %bb.12530:                            ;   in Loop: Header=BB6_10567 Depth=3
	v_and_b32_e32 v4, 0x7fffff, v1
	v_bfe_u32 v1, v1, 23, 8
	v_cmp_gt_u32_e64 s[28:29], s97, v1
	v_sub_u32_e32 v3, 0x79, v1
	v_cmp_eq_u32_e32 vcc, 0, v1
	v_cndmask_b32_e64 v3, 0, v3, s[28:29]
	v_mov_b32_e32 v6, 0x78
	v_cndmask_b32_e32 v3, v3, v6, vcc
	v_add_u32_e32 v6, 20, v3
	v_or_b32_e32 v5, 0x800000, v4
	v_lshlrev_b64 v[20:21], v6, -1
	v_add_u32_e32 v6, 19, v3
	v_cndmask_b32_e32 v4, v5, v4, vcc
	v_lshlrev_b64 v[22:23], v6, 1
	v_mov_b32_e32 v5, v51
	v_bfi_b32 v21, v21, 0, 0
	v_bfi_b32 v20, v20, 0, v4
	v_cmp_eq_u64_e64 s[28:29], v[20:21], v[22:23]
	v_lshrrev_b64 v[20:21], v3, v[4:5]
	v_mov_b32_e32 v4, v20
	v_mov_b32_e32 v5, v21
	s_and_saveexec_b64 s[38:39], s[28:29]
; %bb.12531:                            ;   in Loop: Header=BB6_10567 Depth=3
	v_bfe_u32 v4, v20, 20, 1
	v_add_co_u32_e64 v4, s[28:29], v20, v4
	v_add_co_u32_e64 v4, s[28:29], -1, v4
; %bb.12532:                            ;   in Loop: Header=BB6_10567 Depth=3
	s_or_b64 exec, exec, s[38:39]
	v_add_u32_e32 v1, 0xffffff81, v1
	v_mov_b32_e32 v5, 0xffffff82
	v_cndmask_b32_e32 v1, v1, v5, vcc
	v_lshrrev_b32_e32 v5, 23, v20
	v_add3_u32 v5, v3, v1, v5
	v_add_u32_e32 v3, 6, v5
	v_and_b32_e32 v1, 0xfffff, v4
	v_add_u32_e32 v20, v1, v20
	v_mov_b32_e32 v21, v51
	v_cmp_ne_u32_e32 vcc, 0, v3
                                        ; implicit-def: $vgpr1
	s_and_saveexec_b64 s[28:29], vcc
	s_xor_b64 s[28:29], exec, s[28:29]
; %bb.12533:                            ;   in Loop: Header=BB6_10567 Depth=3
	v_cmp_lt_u64_e32 vcc, s[88:89], v[20:21]
	v_add_u32_e32 v1, 7, v5
	v_cndmask_b32_e32 v1, v3, v1, vcc
	v_cndmask_b32_e64 v3, 0, 1, vcc
	v_lshrrev_b64 v[20:21], v3, v[20:21]
; %bb.12534:                            ;   in Loop: Header=BB6_10567 Depth=3
	s_andn2_saveexec_b64 s[28:29], s[28:29]
; %bb.12535:                            ;   in Loop: Header=BB6_10567 Depth=3
	v_bfe_u32 v1, v20, 23, 1
; %bb.12536:                            ;   in Loop: Header=BB6_10567 Depth=3
	s_or_b64 exec, exec, s[28:29]
	v_lshrrev_b64 v[3:4], 20, v[20:21]
	v_cmp_gt_i32_e32 vcc, 16, v1
	v_cndmask_b32_e32 v4, 0, v4, vcc
	v_cndmask_b32_e32 v3, 7, v3, vcc
	v_cmp_eq_u32_e32 vcc, 0, v1
	v_min_i32_e32 v1, 15, v1
	v_cmp_eq_u64_e64 s[28:29], 0, v[3:4]
	v_lshlrev_b32_e32 v1, 3, v1
	v_and_b32_e32 v1, 0xf8, v1
	v_and_or_b32 v1, v3, 7, v1
	s_and_b64 s[28:29], vcc, s[28:29]
	v_cndmask_b32_e64 v1, v1, 0, s[28:29]
	v_or_b32_e32 v0, v1, v0
	buffer_store_dword v0, off, s[0:3], s33 offset:308 ; 4-byte Folded Spill
.LBB6_12537:                            ;   in Loop: Header=BB6_10567 Depth=3
	s_or_b64 exec, exec, s[36:37]
                                        ; implicit-def: $vgpr0
.LBB6_12538:                            ;   in Loop: Header=BB6_10567 Depth=3
	s_andn2_saveexec_b64 s[28:29], s[34:35]
	s_cbranch_execz .LBB6_12540
; %bb.12539:                            ;   in Loop: Header=BB6_10567 Depth=3
	v_or_b32_e32 v0, 0x7e, v0
	buffer_store_dword v0, off, s[0:3], s33 offset:308 ; 4-byte Folded Spill
.LBB6_12540:                            ;   in Loop: Header=BB6_10567 Depth=3
	s_or_b64 exec, exec, s[28:29]
                                        ; implicit-def: $vgpr1
.LBB6_12541:                            ;   in Loop: Header=BB6_10567 Depth=3
	s_andn2_saveexec_b64 s[28:29], s[30:31]
	s_cbranch_execz .LBB6_12543
; %bb.12542:                            ;   in Loop: Header=BB6_10567 Depth=3
	v_or_b32_sdwa v0, v1, s86 dst_sel:DWORD dst_unused:UNUSED_PAD src0_sel:BYTE_3 src1_sel:DWORD
	buffer_store_dword v0, off, s[0:3], s33 offset:308 ; 4-byte Folded Spill
.LBB6_12543:                            ;   in Loop: Header=BB6_10567 Depth=3
	s_or_b64 exec, exec, s[28:29]
	buffer_load_dword v0, off, s[0:3], s33 offset:240 ; 4-byte Folded Reload
	buffer_load_dword v1, off, s[0:3], s33 offset:260 ; 4-byte Folded Reload
	;; [unrolled: 1-line block ×3, first 2 shown]
	v_mov_b32_e32 v21, v51
	v_cmp_ne_u32_e32 vcc, 0, v43
	s_waitcnt vmcnt(2)
	v_lshl_or_b32 v0, v0, 8, v43
	s_waitcnt vmcnt(1)
	v_lshlrev_b32_e32 v1, 16, v1
	s_waitcnt vmcnt(0)
	v_lshlrev_b32_e32 v3, 24, v3
	v_or3_b32 v20, v1, v3, v0
	v_mov_b32_e32 v3, 0
	v_mov_b32_e32 v1, 0
	s_and_saveexec_b64 s[28:29], vcc
	s_cbranch_execz .LBB6_12549
; %bb.12544:                            ;   in Loop: Header=BB6_10567 Depth=3
	v_cmp_ne_u32_e32 vcc, s96, v43
	v_bfrev_b32_e32 v1, 1
	s_and_saveexec_b64 s[30:31], vcc
	s_cbranch_execz .LBB6_12548
; %bb.12545:                            ;   in Loop: Header=BB6_10567 Depth=3
	v_and_b32_e32 v4, 0x7f, v43
	v_cmp_ne_u32_e32 vcc, s86, v4
	v_mov_b32_e32 v1, 0x7f800001
	s_and_saveexec_b64 s[34:35], vcc
	s_cbranch_execz .LBB6_12547
; %bb.12546:                            ;   in Loop: Header=BB6_10567 Depth=3
	v_and_b32_e32 v1, 7, v43
	v_ffbh_u32_e32 v1, v1
	v_min_u32_e32 v1, 32, v1
	v_lshrrev_b32_e32 v5, 3, v4
	v_cmp_gt_u32_e32 vcc, 8, v4
	v_subrev_u32_e32 v4, 28, v1
	v_sub_u32_e32 v1, 29, v1
	v_cndmask_b32_e32 v4, 0, v4, vcc
	v_cndmask_b32_e32 v1, v5, v1, vcc
	v_lshlrev_b64 v[4:5], v4, v[20:21]
	v_lshlrev_b32_e32 v5, 24, v20
	v_lshlrev_b32_e32 v4, 20, v4
	v_bfrev_b32_e32 v6, 60
	v_and_b32_e32 v4, 0x700000, v4
	v_and_b32_e32 v5, 0x80000000, v5
	v_lshl_add_u32 v1, v1, 23, v6
	v_or3_b32 v1, v5, v1, v4
.LBB6_12547:                            ;   in Loop: Header=BB6_10567 Depth=3
	s_or_b64 exec, exec, s[34:35]
.LBB6_12548:                            ;   in Loop: Header=BB6_10567 Depth=3
	s_or_b64 exec, exec, s[30:31]
.LBB6_12549:                            ;   in Loop: Header=BB6_10567 Depth=3
	s_or_b64 exec, exec, s[28:29]
	v_cmp_ne_u16_sdwa vcc, v17, v51 src0_sel:BYTE_0 src1_sel:DWORD
	s_and_saveexec_b64 s[28:29], vcc
	s_cbranch_execz .LBB6_12555
; %bb.12550:                            ;   in Loop: Header=BB6_10567 Depth=3
	v_cmp_ne_u16_sdwa vcc, v17, s96 src0_sel:BYTE_0 src1_sel:DWORD
	v_bfrev_b32_e32 v3, 1
	s_and_saveexec_b64 s[30:31], vcc
	s_cbranch_execz .LBB6_12554
; %bb.12551:                            ;   in Loop: Header=BB6_10567 Depth=3
	v_and_b32_e32 v4, 0x7f, v17
	v_cmp_ne_u32_e32 vcc, s86, v4
	v_mov_b32_e32 v3, 0x7f800001
	s_and_saveexec_b64 s[34:35], vcc
	s_cbranch_execz .LBB6_12553
; %bb.12552:                            ;   in Loop: Header=BB6_10567 Depth=3
	v_and_b32_e32 v3, 7, v17
	v_ffbh_u32_e32 v3, v3
	v_min_u32_e32 v3, 32, v3
	v_lshrrev_b32_e32 v21, 3, v4
	v_cmp_gt_u32_e32 vcc, 8, v4
	v_subrev_u32_e32 v4, 28, v3
	v_sub_u32_e32 v3, 29, v3
	v_mov_b32_e32 v5, v17
	v_mov_b32_e32 v6, v51
	v_cndmask_b32_e32 v21, v21, v3, vcc
	v_cndmask_b32_e32 v3, 0, v4, vcc
	v_lshlrev_b64 v[3:4], v3, v[5:6]
	v_lshlrev_b32_e32 v4, 24, v5
	v_lshlrev_b32_e32 v3, 20, v3
	v_bfrev_b32_e32 v5, 60
	v_and_b32_e32 v3, 0x700000, v3
	v_and_b32_e32 v4, 0x80000000, v4
	v_lshl_add_u32 v5, v21, 23, v5
	v_or3_b32 v3, v4, v5, v3
.LBB6_12553:                            ;   in Loop: Header=BB6_10567 Depth=3
	s_or_b64 exec, exec, s[34:35]
.LBB6_12554:                            ;   in Loop: Header=BB6_10567 Depth=3
	s_or_b64 exec, exec, s[30:31]
.LBB6_12555:                            ;   in Loop: Header=BB6_10567 Depth=3
	s_or_b64 exec, exec, s[28:29]
	v_add_f32_e32 v3, v1, v3
	v_and_b32_e32 v4, 0x7f800000, v3
	v_mov_b32_e32 v5, v51
	v_cmp_ne_u64_e32 vcc, s[76:77], v[4:5]
                                        ; implicit-def: $vgpr1
                                        ; kill: killed $vgpr1
	s_and_saveexec_b64 s[28:29], vcc
	s_xor_b64 s[30:31], exec, s[28:29]
	s_cbranch_execz .LBB6_12569
; %bb.12556:                            ;   in Loop: Header=BB6_10567 Depth=3
	v_and_b32_e32 v4, 0x7fffffff, v3
	v_mov_b32_e32 v5, v51
	v_cmp_gt_u64_e32 vcc, s[78:79], v[4:5]
	v_and_b32_sdwa v1, v3, s96 dst_sel:DWORD dst_unused:UNUSED_PAD src0_sel:BYTE_3 src1_sel:DWORD
                                        ; implicit-def: $vgpr4
                                        ; kill: killed $vgpr4
	s_and_saveexec_b64 s[28:29], vcc
	s_xor_b64 s[34:35], exec, s[28:29]
	s_cbranch_execz .LBB6_12566
; %bb.12557:                            ;   in Loop: Header=BB6_10567 Depth=3
	v_mov_b32_e32 v4, 0
	v_cmp_ne_u32_e32 vcc, 0, v3
	buffer_store_dword v4, off, s[0:3], s33 offset:240 ; 4-byte Folded Spill
	s_and_saveexec_b64 s[36:37], vcc
	s_cbranch_execz .LBB6_12565
; %bb.12558:                            ;   in Loop: Header=BB6_10567 Depth=3
	v_and_b32_e32 v4, 0x7fffff, v3
	v_bfe_u32 v3, v3, 23, 8
	v_cmp_gt_u32_e64 s[28:29], s97, v3
	v_sub_u32_e32 v5, 0x79, v3
	v_cmp_eq_u32_e32 vcc, 0, v3
	v_cndmask_b32_e64 v5, 0, v5, s[28:29]
	v_mov_b32_e32 v6, 0x78
	v_or_b32_e32 v21, 0x800000, v4
	v_cndmask_b32_e32 v6, v5, v6, vcc
	v_cndmask_b32_e32 v4, v21, v4, vcc
	v_add_u32_e32 v21, 20, v6
	v_lshlrev_b64 v[21:22], v21, -1
	v_add_u32_e32 v23, 19, v6
	v_lshlrev_b64 v[23:24], v23, 1
	v_mov_b32_e32 v5, v51
	v_bfi_b32 v22, v22, 0, 0
	v_bfi_b32 v21, v21, 0, v4
	v_cmp_eq_u64_e64 s[28:29], v[21:22], v[23:24]
	v_lshrrev_b64 v[21:22], v6, v[4:5]
	v_mov_b32_e32 v4, v21
	v_mov_b32_e32 v5, v22
	s_and_saveexec_b64 s[38:39], s[28:29]
; %bb.12559:                            ;   in Loop: Header=BB6_10567 Depth=3
	v_bfe_u32 v4, v21, 20, 1
	v_add_co_u32_e64 v4, s[28:29], v21, v4
	v_add_co_u32_e64 v4, s[28:29], -1, v4
; %bb.12560:                            ;   in Loop: Header=BB6_10567 Depth=3
	s_or_b64 exec, exec, s[38:39]
	v_add_u32_e32 v3, 0xffffff81, v3
	v_mov_b32_e32 v5, 0xffffff82
	v_cndmask_b32_e32 v3, v3, v5, vcc
	v_lshrrev_b32_e32 v5, 23, v21
	v_add3_u32 v6, v6, v3, v5
	v_add_u32_e32 v5, 6, v6
	v_and_b32_e32 v3, 0xfffff, v4
	v_add_u32_e32 v21, v3, v21
	v_mov_b32_e32 v22, v51
	v_cmp_ne_u32_e32 vcc, 0, v5
                                        ; implicit-def: $vgpr3
	s_and_saveexec_b64 s[28:29], vcc
	s_xor_b64 s[28:29], exec, s[28:29]
; %bb.12561:                            ;   in Loop: Header=BB6_10567 Depth=3
	v_cmp_lt_u64_e32 vcc, s[88:89], v[21:22]
	v_add_u32_e32 v3, 7, v6
	v_cndmask_b32_e64 v4, 0, 1, vcc
	v_lshrrev_b64 v[21:22], v4, v[21:22]
	v_cndmask_b32_e32 v3, v5, v3, vcc
; %bb.12562:                            ;   in Loop: Header=BB6_10567 Depth=3
	s_andn2_saveexec_b64 s[28:29], s[28:29]
; %bb.12563:                            ;   in Loop: Header=BB6_10567 Depth=3
	v_bfe_u32 v3, v21, 23, 1
; %bb.12564:                            ;   in Loop: Header=BB6_10567 Depth=3
	s_or_b64 exec, exec, s[28:29]
	v_lshrrev_b64 v[4:5], 20, v[21:22]
	v_cmp_gt_i32_e32 vcc, 16, v3
	v_cndmask_b32_e32 v5, 0, v5, vcc
	v_cndmask_b32_e32 v4, 7, v4, vcc
	v_cmp_eq_u32_e32 vcc, 0, v3
	v_min_i32_e32 v3, 15, v3
	v_cmp_eq_u64_e64 s[28:29], 0, v[4:5]
	v_lshlrev_b32_e32 v3, 3, v3
	v_and_b32_e32 v3, 0xf8, v3
	v_and_or_b32 v3, v4, 7, v3
	s_and_b64 s[28:29], vcc, s[28:29]
	v_cndmask_b32_e64 v3, v3, 0, s[28:29]
	v_or_b32_e32 v1, v3, v1
	buffer_store_dword v1, off, s[0:3], s33 offset:240 ; 4-byte Folded Spill
.LBB6_12565:                            ;   in Loop: Header=BB6_10567 Depth=3
	s_or_b64 exec, exec, s[36:37]
                                        ; implicit-def: $vgpr1
.LBB6_12566:                            ;   in Loop: Header=BB6_10567 Depth=3
	s_andn2_saveexec_b64 s[28:29], s[34:35]
	s_cbranch_execz .LBB6_12568
; %bb.12567:                            ;   in Loop: Header=BB6_10567 Depth=3
	v_or_b32_e32 v1, 0x7e, v1
	buffer_store_dword v1, off, s[0:3], s33 offset:240 ; 4-byte Folded Spill
.LBB6_12568:                            ;   in Loop: Header=BB6_10567 Depth=3
	s_or_b64 exec, exec, s[28:29]
                                        ; implicit-def: $vgpr3
.LBB6_12569:                            ;   in Loop: Header=BB6_10567 Depth=3
	s_andn2_saveexec_b64 s[28:29], s[30:31]
	s_cbranch_execz .LBB6_12571
; %bb.12570:                            ;   in Loop: Header=BB6_10567 Depth=3
	v_or_b32_sdwa v1, v3, s86 dst_sel:DWORD dst_unused:UNUSED_PAD src0_sel:BYTE_3 src1_sel:DWORD
	buffer_store_dword v1, off, s[0:3], s33 offset:240 ; 4-byte Folded Spill
.LBB6_12571:                            ;   in Loop: Header=BB6_10567 Depth=3
	s_or_b64 exec, exec, s[28:29]
	v_lshrrev_b16_e32 v21, 8, v0
	v_cmp_ne_u16_e32 vcc, 0, v21
	v_mov_b32_e32 v1, 0
	v_mov_b32_e32 v3, 0
	s_and_saveexec_b64 s[28:29], vcc
	s_cbranch_execz .LBB6_12577
; %bb.12572:                            ;   in Loop: Header=BB6_10567 Depth=3
	v_cmp_ne_u16_e32 vcc, s96, v21
	v_bfrev_b32_e32 v3, 1
	s_and_saveexec_b64 s[30:31], vcc
	s_cbranch_execz .LBB6_12576
; %bb.12573:                            ;   in Loop: Header=BB6_10567 Depth=3
	v_and_b32_e32 v4, 0x7f, v21
	v_cmp_ne_u32_e32 vcc, s86, v4
	v_mov_b32_e32 v3, 0x7f800001
	s_and_saveexec_b64 s[34:35], vcc
	s_cbranch_execz .LBB6_12575
; %bb.12574:                            ;   in Loop: Header=BB6_10567 Depth=3
	v_and_b32_e32 v5, 7, v21
	v_ffbh_u32_e32 v3, v5
	v_min_u32_e32 v22, 32, v3
	v_subrev_u32_e32 v3, 28, v22
	v_lshrrev_b32_e32 v6, 3, v4
	v_cmp_gt_u32_e32 vcc, 8, v4
	v_lshlrev_b64 v[3:4], v3, v[21:22]
	v_sub_u32_e32 v4, 29, v22
	v_and_b32_e32 v3, 7, v3
	v_cndmask_b32_e32 v4, v6, v4, vcc
	v_cndmask_b32_e32 v3, v5, v3, vcc
	v_lshlrev_b32_e32 v0, 16, v0
	v_bfrev_b32_e32 v5, 60
	v_lshlrev_b32_e32 v3, 20, v3
	v_and_b32_e32 v0, 0x80000000, v0
	v_lshl_add_u32 v4, v4, 23, v5
	v_or3_b32 v3, v0, v4, v3
.LBB6_12575:                            ;   in Loop: Header=BB6_10567 Depth=3
	s_or_b64 exec, exec, s[34:35]
.LBB6_12576:                            ;   in Loop: Header=BB6_10567 Depth=3
	s_or_b64 exec, exec, s[30:31]
.LBB6_12577:                            ;   in Loop: Header=BB6_10567 Depth=3
	s_or_b64 exec, exec, s[28:29]
	v_lshrrev_b16_e32 v21, 8, v17
	v_cmp_ne_u16_e32 vcc, 0, v21
	s_and_saveexec_b64 s[28:29], vcc
	s_cbranch_execz .LBB6_12583
; %bb.12578:                            ;   in Loop: Header=BB6_10567 Depth=3
	v_cmp_ne_u16_e32 vcc, s96, v21
	v_bfrev_b32_e32 v1, 1
	s_and_saveexec_b64 s[30:31], vcc
	s_cbranch_execz .LBB6_12582
; %bb.12579:                            ;   in Loop: Header=BB6_10567 Depth=3
	v_and_b32_e32 v0, 0x7f, v21
	v_cmp_ne_u32_e32 vcc, s86, v0
	v_mov_b32_e32 v1, 0x7f800001
	s_and_saveexec_b64 s[34:35], vcc
	s_cbranch_execz .LBB6_12581
; %bb.12580:                            ;   in Loop: Header=BB6_10567 Depth=3
	v_and_b32_e32 v4, 7, v21
	v_lshrrev_b32_e32 v5, 3, v0
	v_cmp_gt_u32_e32 vcc, 8, v0
	v_ffbh_u32_e32 v0, v4
	v_min_u32_e32 v6, 32, v0
	v_subrev_u32_e32 v0, 28, v6
	v_lshlrev_b64 v[0:1], v0, v[21:22]
	v_sub_u32_e32 v1, 29, v6
	v_and_b32_e32 v0, 7, v0
	v_cndmask_b32_e32 v1, v5, v1, vcc
	v_cndmask_b32_e32 v0, v4, v0, vcc
	v_lshlrev_b32_e32 v4, 16, v17
	v_bfrev_b32_e32 v5, 60
	v_lshlrev_b32_e32 v0, 20, v0
	v_and_b32_e32 v4, 0x80000000, v4
	v_lshl_add_u32 v1, v1, 23, v5
	v_or3_b32 v1, v4, v1, v0
.LBB6_12581:                            ;   in Loop: Header=BB6_10567 Depth=3
	s_or_b64 exec, exec, s[34:35]
.LBB6_12582:                            ;   in Loop: Header=BB6_10567 Depth=3
	s_or_b64 exec, exec, s[30:31]
.LBB6_12583:                            ;   in Loop: Header=BB6_10567 Depth=3
	s_or_b64 exec, exec, s[28:29]
	v_add_f32_e32 v1, v3, v1
	v_and_b32_e32 v3, 0x7f800000, v1
	v_mov_b32_e32 v4, v51
	v_cmp_ne_u64_e32 vcc, s[76:77], v[3:4]
                                        ; implicit-def: $vgpr0
                                        ; kill: killed $vgpr0
	s_and_saveexec_b64 s[28:29], vcc
	s_xor_b64 s[30:31], exec, s[28:29]
	s_cbranch_execz .LBB6_12597
; %bb.12584:                            ;   in Loop: Header=BB6_10567 Depth=3
	v_and_b32_e32 v3, 0x7fffffff, v1
	v_mov_b32_e32 v4, v51
	v_cmp_gt_u64_e32 vcc, s[78:79], v[3:4]
	v_and_b32_sdwa v0, v1, s96 dst_sel:DWORD dst_unused:UNUSED_PAD src0_sel:BYTE_3 src1_sel:DWORD
                                        ; implicit-def: $vgpr3
                                        ; kill: killed $vgpr3
	s_and_saveexec_b64 s[28:29], vcc
	s_xor_b64 s[34:35], exec, s[28:29]
	s_cbranch_execz .LBB6_12594
; %bb.12585:                            ;   in Loop: Header=BB6_10567 Depth=3
	v_mov_b32_e32 v3, 0
	v_cmp_ne_u32_e32 vcc, 0, v1
	buffer_store_dword v3, off, s[0:3], s33 offset:260 ; 4-byte Folded Spill
	s_and_saveexec_b64 s[36:37], vcc
	s_cbranch_execz .LBB6_12593
; %bb.12586:                            ;   in Loop: Header=BB6_10567 Depth=3
	v_and_b32_e32 v4, 0x7fffff, v1
	v_bfe_u32 v1, v1, 23, 8
	v_cmp_gt_u32_e64 s[28:29], s97, v1
	v_sub_u32_e32 v3, 0x79, v1
	v_cmp_eq_u32_e32 vcc, 0, v1
	v_cndmask_b32_e64 v3, 0, v3, s[28:29]
	v_mov_b32_e32 v6, 0x78
	v_cndmask_b32_e32 v3, v3, v6, vcc
	v_add_u32_e32 v6, 20, v3
	v_or_b32_e32 v5, 0x800000, v4
	v_lshlrev_b64 v[21:22], v6, -1
	v_add_u32_e32 v6, 19, v3
	v_cndmask_b32_e32 v4, v5, v4, vcc
	v_lshlrev_b64 v[23:24], v6, 1
	v_mov_b32_e32 v5, v51
	v_bfi_b32 v22, v22, 0, 0
	v_bfi_b32 v21, v21, 0, v4
	v_cmp_eq_u64_e64 s[28:29], v[21:22], v[23:24]
	v_lshrrev_b64 v[21:22], v3, v[4:5]
	v_mov_b32_e32 v4, v21
	v_mov_b32_e32 v5, v22
	s_and_saveexec_b64 s[38:39], s[28:29]
; %bb.12587:                            ;   in Loop: Header=BB6_10567 Depth=3
	v_bfe_u32 v4, v21, 20, 1
	v_add_co_u32_e64 v4, s[28:29], v21, v4
	v_add_co_u32_e64 v4, s[28:29], -1, v4
; %bb.12588:                            ;   in Loop: Header=BB6_10567 Depth=3
	s_or_b64 exec, exec, s[38:39]
	v_add_u32_e32 v1, 0xffffff81, v1
	v_mov_b32_e32 v5, 0xffffff82
	v_cndmask_b32_e32 v1, v1, v5, vcc
	v_lshrrev_b32_e32 v5, 23, v21
	v_add3_u32 v5, v3, v1, v5
	v_add_u32_e32 v3, 6, v5
	v_and_b32_e32 v1, 0xfffff, v4
	v_add_u32_e32 v21, v1, v21
	v_mov_b32_e32 v22, v51
	v_cmp_ne_u32_e32 vcc, 0, v3
                                        ; implicit-def: $vgpr1
	s_and_saveexec_b64 s[28:29], vcc
	s_xor_b64 s[28:29], exec, s[28:29]
; %bb.12589:                            ;   in Loop: Header=BB6_10567 Depth=3
	v_cmp_lt_u64_e32 vcc, s[88:89], v[21:22]
	v_add_u32_e32 v1, 7, v5
	v_cndmask_b32_e32 v1, v3, v1, vcc
	v_cndmask_b32_e64 v3, 0, 1, vcc
	v_lshrrev_b64 v[21:22], v3, v[21:22]
; %bb.12590:                            ;   in Loop: Header=BB6_10567 Depth=3
	s_andn2_saveexec_b64 s[28:29], s[28:29]
; %bb.12591:                            ;   in Loop: Header=BB6_10567 Depth=3
	v_bfe_u32 v1, v21, 23, 1
; %bb.12592:                            ;   in Loop: Header=BB6_10567 Depth=3
	s_or_b64 exec, exec, s[28:29]
	v_lshrrev_b64 v[3:4], 20, v[21:22]
	v_cmp_gt_i32_e32 vcc, 16, v1
	v_cndmask_b32_e32 v4, 0, v4, vcc
	v_cndmask_b32_e32 v3, 7, v3, vcc
	v_cmp_eq_u32_e32 vcc, 0, v1
	v_min_i32_e32 v1, 15, v1
	v_cmp_eq_u64_e64 s[28:29], 0, v[3:4]
	v_lshlrev_b32_e32 v1, 3, v1
	v_and_b32_e32 v1, 0xf8, v1
	v_and_or_b32 v1, v3, 7, v1
	s_and_b64 s[28:29], vcc, s[28:29]
	v_cndmask_b32_e64 v1, v1, 0, s[28:29]
	v_or_b32_e32 v0, v1, v0
	buffer_store_dword v0, off, s[0:3], s33 offset:260 ; 4-byte Folded Spill
.LBB6_12593:                            ;   in Loop: Header=BB6_10567 Depth=3
	s_or_b64 exec, exec, s[36:37]
                                        ; implicit-def: $vgpr0
.LBB6_12594:                            ;   in Loop: Header=BB6_10567 Depth=3
	s_andn2_saveexec_b64 s[28:29], s[34:35]
	s_cbranch_execz .LBB6_12596
; %bb.12595:                            ;   in Loop: Header=BB6_10567 Depth=3
	v_or_b32_e32 v0, 0x7e, v0
	buffer_store_dword v0, off, s[0:3], s33 offset:260 ; 4-byte Folded Spill
.LBB6_12596:                            ;   in Loop: Header=BB6_10567 Depth=3
	s_or_b64 exec, exec, s[28:29]
                                        ; implicit-def: $vgpr1
.LBB6_12597:                            ;   in Loop: Header=BB6_10567 Depth=3
	s_andn2_saveexec_b64 s[28:29], s[30:31]
	s_cbranch_execz .LBB6_12599
; %bb.12598:                            ;   in Loop: Header=BB6_10567 Depth=3
	v_or_b32_sdwa v0, v1, s86 dst_sel:DWORD dst_unused:UNUSED_PAD src0_sel:BYTE_3 src1_sel:DWORD
	buffer_store_dword v0, off, s[0:3], s33 offset:260 ; 4-byte Folded Spill
.LBB6_12599:                            ;   in Loop: Header=BB6_10567 Depth=3
	s_or_b64 exec, exec, s[28:29]
	v_lshrrev_b32_e32 v21, 16, v20
	v_cmp_ne_u16_sdwa vcc, v21, v51 src0_sel:BYTE_0 src1_sel:DWORD
	v_mov_b32_e32 v0, 0
	v_mov_b32_e32 v1, 0
	s_and_saveexec_b64 s[28:29], vcc
	s_cbranch_execz .LBB6_12605
; %bb.12600:                            ;   in Loop: Header=BB6_10567 Depth=3
	v_cmp_ne_u16_sdwa vcc, v21, s96 src0_sel:BYTE_0 src1_sel:DWORD
	v_bfrev_b32_e32 v1, 1
	s_and_saveexec_b64 s[30:31], vcc
	s_cbranch_execz .LBB6_12604
; %bb.12601:                            ;   in Loop: Header=BB6_10567 Depth=3
	v_bfe_u32 v3, v20, 16, 7
	v_cmp_ne_u32_e32 vcc, s86, v3
	v_mov_b32_e32 v1, 0x7f800001
	s_and_saveexec_b64 s[34:35], vcc
	s_cbranch_execz .LBB6_12603
; %bb.12602:                            ;   in Loop: Header=BB6_10567 Depth=3
	v_and_b32_e32 v1, 7, v21
	v_lshrrev_b32_e32 v5, 3, v3
	v_cmp_gt_u32_e32 vcc, 8, v3
	v_ffbh_u32_e32 v3, v1
	v_min_u32_e32 v6, 32, v3
	v_subrev_u32_e32 v3, 28, v6
	v_lshlrev_b64 v[3:4], v3, v[21:22]
	v_sub_u32_e32 v4, 29, v6
	v_and_b32_e32 v3, 7, v3
	v_cndmask_b32_e32 v4, v5, v4, vcc
	v_cndmask_b32_e32 v1, v1, v3, vcc
	v_lshlrev_b32_e32 v3, 24, v21
	v_bfrev_b32_e32 v5, 60
	v_lshlrev_b32_e32 v1, 20, v1
	v_and_b32_e32 v3, 0x80000000, v3
	v_lshl_add_u32 v4, v4, 23, v5
	v_or3_b32 v1, v3, v4, v1
.LBB6_12603:                            ;   in Loop: Header=BB6_10567 Depth=3
	s_or_b64 exec, exec, s[34:35]
.LBB6_12604:                            ;   in Loop: Header=BB6_10567 Depth=3
	s_or_b64 exec, exec, s[30:31]
.LBB6_12605:                            ;   in Loop: Header=BB6_10567 Depth=3
	s_or_b64 exec, exec, s[28:29]
	v_lshrrev_b32_e32 v21, 16, v17
	v_cmp_ne_u16_sdwa vcc, v21, v51 src0_sel:BYTE_0 src1_sel:DWORD
	s_and_saveexec_b64 s[28:29], vcc
	s_cbranch_execz .LBB6_12611
; %bb.12606:                            ;   in Loop: Header=BB6_10567 Depth=3
	v_cmp_ne_u16_sdwa vcc, v21, s96 src0_sel:BYTE_0 src1_sel:DWORD
	v_bfrev_b32_e32 v0, 1
	s_and_saveexec_b64 s[30:31], vcc
	s_cbranch_execz .LBB6_12610
; %bb.12607:                            ;   in Loop: Header=BB6_10567 Depth=3
	v_bfe_u32 v3, v17, 16, 7
	v_cmp_ne_u32_e32 vcc, s86, v3
	v_mov_b32_e32 v0, 0x7f800001
	s_and_saveexec_b64 s[34:35], vcc
	s_cbranch_execz .LBB6_12609
; %bb.12608:                            ;   in Loop: Header=BB6_10567 Depth=3
	v_and_b32_e32 v0, 7, v21
	v_lshrrev_b32_e32 v5, 3, v3
	v_cmp_gt_u32_e32 vcc, 8, v3
	v_ffbh_u32_e32 v3, v0
	v_min_u32_e32 v6, 32, v3
	v_subrev_u32_e32 v3, 28, v6
	v_lshlrev_b64 v[3:4], v3, v[21:22]
	v_sub_u32_e32 v4, 29, v6
	v_and_b32_e32 v3, 7, v3
	v_cndmask_b32_e32 v4, v5, v4, vcc
	v_cndmask_b32_e32 v0, v0, v3, vcc
	v_lshlrev_b32_e32 v3, 8, v17
	v_bfrev_b32_e32 v5, 60
	v_lshlrev_b32_e32 v0, 20, v0
	v_and_b32_e32 v3, 0x80000000, v3
	v_lshl_add_u32 v4, v4, 23, v5
	v_or3_b32 v0, v3, v4, v0
.LBB6_12609:                            ;   in Loop: Header=BB6_10567 Depth=3
	s_or_b64 exec, exec, s[34:35]
.LBB6_12610:                            ;   in Loop: Header=BB6_10567 Depth=3
	s_or_b64 exec, exec, s[30:31]
.LBB6_12611:                            ;   in Loop: Header=BB6_10567 Depth=3
	s_or_b64 exec, exec, s[28:29]
	v_add_f32_e32 v1, v1, v0
	v_and_b32_e32 v3, 0x7f800000, v1
	v_mov_b32_e32 v4, v51
	v_cmp_ne_u64_e32 vcc, s[76:77], v[3:4]
                                        ; implicit-def: $vgpr0
                                        ; kill: killed $vgpr0
	s_and_saveexec_b64 s[28:29], vcc
	s_xor_b64 s[30:31], exec, s[28:29]
	s_cbranch_execz .LBB6_12625
; %bb.12612:                            ;   in Loop: Header=BB6_10567 Depth=3
	v_and_b32_e32 v3, 0x7fffffff, v1
	v_mov_b32_e32 v4, v51
	v_cmp_gt_u64_e32 vcc, s[78:79], v[3:4]
	v_and_b32_sdwa v0, v1, s96 dst_sel:DWORD dst_unused:UNUSED_PAD src0_sel:BYTE_3 src1_sel:DWORD
                                        ; implicit-def: $vgpr3
                                        ; kill: killed $vgpr3
	s_and_saveexec_b64 s[28:29], vcc
	s_xor_b64 s[34:35], exec, s[28:29]
	s_cbranch_execz .LBB6_12622
; %bb.12613:                            ;   in Loop: Header=BB6_10567 Depth=3
	v_mov_b32_e32 v3, 0
	v_cmp_ne_u32_e32 vcc, 0, v1
	buffer_store_dword v3, off, s[0:3], s33 offset:276 ; 4-byte Folded Spill
	s_and_saveexec_b64 s[36:37], vcc
	s_cbranch_execz .LBB6_12621
; %bb.12614:                            ;   in Loop: Header=BB6_10567 Depth=3
	v_and_b32_e32 v4, 0x7fffff, v1
	v_bfe_u32 v1, v1, 23, 8
	v_cmp_gt_u32_e64 s[28:29], s97, v1
	v_sub_u32_e32 v3, 0x79, v1
	v_cmp_eq_u32_e32 vcc, 0, v1
	v_cndmask_b32_e64 v3, 0, v3, s[28:29]
	v_mov_b32_e32 v6, 0x78
	v_cndmask_b32_e32 v3, v3, v6, vcc
	v_add_u32_e32 v6, 20, v3
	v_or_b32_e32 v5, 0x800000, v4
	v_lshlrev_b64 v[21:22], v6, -1
	v_add_u32_e32 v6, 19, v3
	v_cndmask_b32_e32 v4, v5, v4, vcc
	v_lshlrev_b64 v[23:24], v6, 1
	v_mov_b32_e32 v5, v51
	v_bfi_b32 v22, v22, 0, 0
	v_bfi_b32 v21, v21, 0, v4
	v_cmp_eq_u64_e64 s[28:29], v[21:22], v[23:24]
	v_lshrrev_b64 v[21:22], v3, v[4:5]
	v_mov_b32_e32 v4, v21
	v_mov_b32_e32 v5, v22
	s_and_saveexec_b64 s[38:39], s[28:29]
; %bb.12615:                            ;   in Loop: Header=BB6_10567 Depth=3
	v_bfe_u32 v4, v21, 20, 1
	v_add_co_u32_e64 v4, s[28:29], v21, v4
	v_add_co_u32_e64 v4, s[28:29], -1, v4
; %bb.12616:                            ;   in Loop: Header=BB6_10567 Depth=3
	s_or_b64 exec, exec, s[38:39]
	v_add_u32_e32 v1, 0xffffff81, v1
	v_mov_b32_e32 v5, 0xffffff82
	v_cndmask_b32_e32 v1, v1, v5, vcc
	v_lshrrev_b32_e32 v5, 23, v21
	v_add3_u32 v5, v3, v1, v5
	v_add_u32_e32 v3, 6, v5
	v_and_b32_e32 v1, 0xfffff, v4
	v_add_u32_e32 v21, v1, v21
	v_mov_b32_e32 v22, v51
	v_cmp_ne_u32_e32 vcc, 0, v3
                                        ; implicit-def: $vgpr1
	s_and_saveexec_b64 s[28:29], vcc
	s_xor_b64 s[28:29], exec, s[28:29]
; %bb.12617:                            ;   in Loop: Header=BB6_10567 Depth=3
	v_cmp_lt_u64_e32 vcc, s[88:89], v[21:22]
	v_add_u32_e32 v1, 7, v5
	v_cndmask_b32_e32 v1, v3, v1, vcc
	v_cndmask_b32_e64 v3, 0, 1, vcc
	v_lshrrev_b64 v[21:22], v3, v[21:22]
; %bb.12618:                            ;   in Loop: Header=BB6_10567 Depth=3
	s_andn2_saveexec_b64 s[28:29], s[28:29]
; %bb.12619:                            ;   in Loop: Header=BB6_10567 Depth=3
	v_bfe_u32 v1, v21, 23, 1
; %bb.12620:                            ;   in Loop: Header=BB6_10567 Depth=3
	s_or_b64 exec, exec, s[28:29]
	v_lshrrev_b64 v[3:4], 20, v[21:22]
	v_cmp_gt_i32_e32 vcc, 16, v1
	v_cndmask_b32_e32 v4, 0, v4, vcc
	v_cndmask_b32_e32 v3, 7, v3, vcc
	v_cmp_eq_u32_e32 vcc, 0, v1
	v_min_i32_e32 v1, 15, v1
	v_cmp_eq_u64_e64 s[28:29], 0, v[3:4]
	v_lshlrev_b32_e32 v1, 3, v1
	v_and_b32_e32 v1, 0xf8, v1
	v_and_or_b32 v1, v3, 7, v1
	s_and_b64 s[28:29], vcc, s[28:29]
	v_cndmask_b32_e64 v1, v1, 0, s[28:29]
	v_or_b32_e32 v0, v1, v0
	buffer_store_dword v0, off, s[0:3], s33 offset:276 ; 4-byte Folded Spill
.LBB6_12621:                            ;   in Loop: Header=BB6_10567 Depth=3
	s_or_b64 exec, exec, s[36:37]
                                        ; implicit-def: $vgpr0
.LBB6_12622:                            ;   in Loop: Header=BB6_10567 Depth=3
	s_andn2_saveexec_b64 s[28:29], s[34:35]
	s_cbranch_execz .LBB6_12624
; %bb.12623:                            ;   in Loop: Header=BB6_10567 Depth=3
	v_or_b32_e32 v0, 0x7e, v0
	buffer_store_dword v0, off, s[0:3], s33 offset:276 ; 4-byte Folded Spill
.LBB6_12624:                            ;   in Loop: Header=BB6_10567 Depth=3
	s_or_b64 exec, exec, s[28:29]
                                        ; implicit-def: $vgpr1
.LBB6_12625:                            ;   in Loop: Header=BB6_10567 Depth=3
	s_andn2_saveexec_b64 s[28:29], s[30:31]
	s_cbranch_execz .LBB6_12627
; %bb.12626:                            ;   in Loop: Header=BB6_10567 Depth=3
	v_or_b32_sdwa v0, v1, s86 dst_sel:DWORD dst_unused:UNUSED_PAD src0_sel:BYTE_3 src1_sel:DWORD
	buffer_store_dword v0, off, s[0:3], s33 offset:276 ; 4-byte Folded Spill
.LBB6_12627:                            ;   in Loop: Header=BB6_10567 Depth=3
	s_or_b64 exec, exec, s[28:29]
	v_cmp_lt_u32_e32 vcc, s57, v20
	v_mov_b32_e32 v0, 0
	v_mov_b32_e32 v1, 0
	s_and_saveexec_b64 s[28:29], vcc
	s_cbranch_execz .LBB6_12633
; %bb.12628:                            ;   in Loop: Header=BB6_10567 Depth=3
	v_lshrrev_b32_e32 v21, 24, v20
	v_cmp_ne_u32_sdwa vcc, v20, s96 src0_sel:BYTE_3 src1_sel:DWORD
	v_bfrev_b32_e32 v1, 1
	s_and_saveexec_b64 s[30:31], vcc
	s_cbranch_execz .LBB6_12632
; %bb.12629:                            ;   in Loop: Header=BB6_10567 Depth=3
	v_bfe_u32 v3, v20, 24, 7
	v_cmp_ne_u32_e32 vcc, s86, v3
	v_mov_b32_e32 v1, 0x7f800001
	s_and_saveexec_b64 s[34:35], vcc
	s_cbranch_execz .LBB6_12631
; %bb.12630:                            ;   in Loop: Header=BB6_10567 Depth=3
	v_and_b32_e32 v1, 7, v21
	v_lshrrev_b32_e32 v5, 3, v3
	v_cmp_gt_u32_e32 vcc, 8, v3
	v_ffbh_u32_e32 v3, v1
	v_min_u32_e32 v6, 32, v3
	v_subrev_u32_e32 v3, 28, v6
	v_lshlrev_b64 v[3:4], v3, v[21:22]
	v_sub_u32_e32 v4, 29, v6
	v_and_b32_e32 v3, 7, v3
	v_cndmask_b32_e32 v1, v1, v3, vcc
	v_mov_b32_e32 v3, 24
	v_cndmask_b32_e32 v4, v5, v4, vcc
	v_lshlrev_b32_sdwa v3, v3, v20 dst_sel:DWORD dst_unused:UNUSED_PAD src0_sel:DWORD src1_sel:BYTE_3
	v_bfrev_b32_e32 v5, 60
	v_lshlrev_b32_e32 v1, 20, v1
	v_and_b32_e32 v3, 0x80000000, v3
	v_lshl_add_u32 v4, v4, 23, v5
	v_or3_b32 v1, v3, v4, v1
.LBB6_12631:                            ;   in Loop: Header=BB6_10567 Depth=3
	s_or_b64 exec, exec, s[34:35]
.LBB6_12632:                            ;   in Loop: Header=BB6_10567 Depth=3
	s_or_b64 exec, exec, s[30:31]
.LBB6_12633:                            ;   in Loop: Header=BB6_10567 Depth=3
	s_or_b64 exec, exec, s[28:29]
	v_cmp_lt_u64_e32 vcc, s[56:57], v[16:17]
	s_and_saveexec_b64 s[28:29], vcc
	s_cbranch_execz .LBB6_12639
; %bb.12634:                            ;   in Loop: Header=BB6_10567 Depth=3
	v_lshrrev_b32_e32 v16, 24, v17
	v_cmp_ne_u32_e32 vcc, s96, v16
	v_bfrev_b32_e32 v0, 1
	s_and_saveexec_b64 s[30:31], vcc
	s_cbranch_execz .LBB6_12638
; %bb.12635:                            ;   in Loop: Header=BB6_10567 Depth=3
	v_bfe_u32 v3, v17, 24, 7
	v_cmp_ne_u32_e32 vcc, s86, v3
	v_mov_b32_e32 v0, 0x7f800001
	s_and_saveexec_b64 s[34:35], vcc
	s_cbranch_execz .LBB6_12637
; %bb.12636:                            ;   in Loop: Header=BB6_10567 Depth=3
	v_and_b32_e32 v0, 7, v16
	v_lshrrev_b32_e32 v5, 3, v3
	v_cmp_gt_u32_e32 vcc, 8, v3
	v_ffbh_u32_e32 v3, v0
	v_min_u32_e32 v6, 32, v3
	v_subrev_u32_e32 v3, 28, v6
	v_lshlrev_b64 v[3:4], v3, v[16:17]
	v_sub_u32_e32 v4, 29, v6
	v_and_b32_e32 v3, 7, v3
	v_cndmask_b32_e32 v4, v5, v4, vcc
	v_cndmask_b32_e32 v0, v0, v3, vcc
	v_lshlrev_b32_e32 v3, 24, v16
	v_bfrev_b32_e32 v5, 60
	v_lshlrev_b32_e32 v0, 20, v0
	v_and_b32_e32 v3, 0x80000000, v3
	v_lshl_add_u32 v4, v4, 23, v5
	v_or3_b32 v0, v3, v4, v0
.LBB6_12637:                            ;   in Loop: Header=BB6_10567 Depth=3
	s_or_b64 exec, exec, s[34:35]
.LBB6_12638:                            ;   in Loop: Header=BB6_10567 Depth=3
	s_or_b64 exec, exec, s[30:31]
.LBB6_12639:                            ;   in Loop: Header=BB6_10567 Depth=3
	s_or_b64 exec, exec, s[28:29]
	v_add_f32_e32 v1, v1, v0
	v_and_b32_e32 v3, 0x7f800000, v1
	v_mov_b32_e32 v4, v51
	v_cmp_ne_u64_e32 vcc, s[76:77], v[3:4]
                                        ; implicit-def: $vgpr0
                                        ; kill: killed $vgpr0
	s_and_saveexec_b64 s[28:29], vcc
	s_xor_b64 s[30:31], exec, s[28:29]
	s_cbranch_execz .LBB6_12653
; %bb.12640:                            ;   in Loop: Header=BB6_10567 Depth=3
	v_and_b32_e32 v3, 0x7fffffff, v1
	v_mov_b32_e32 v4, v51
	v_cmp_gt_u64_e32 vcc, s[78:79], v[3:4]
	v_and_b32_sdwa v0, v1, s96 dst_sel:DWORD dst_unused:UNUSED_PAD src0_sel:BYTE_3 src1_sel:DWORD
                                        ; implicit-def: $vgpr3
                                        ; kill: killed $vgpr3
	s_and_saveexec_b64 s[28:29], vcc
	s_xor_b64 s[34:35], exec, s[28:29]
	s_cbranch_execz .LBB6_12650
; %bb.12641:                            ;   in Loop: Header=BB6_10567 Depth=3
	v_mov_b32_e32 v3, 0
	v_cmp_ne_u32_e32 vcc, 0, v1
	buffer_store_dword v3, off, s[0:3], s33 offset:312 ; 4-byte Folded Spill
	s_and_saveexec_b64 s[36:37], vcc
	s_cbranch_execz .LBB6_12649
; %bb.12642:                            ;   in Loop: Header=BB6_10567 Depth=3
	v_and_b32_e32 v4, 0x7fffff, v1
	v_bfe_u32 v1, v1, 23, 8
	v_cmp_gt_u32_e64 s[28:29], s97, v1
	v_sub_u32_e32 v3, 0x79, v1
	v_cmp_eq_u32_e32 vcc, 0, v1
	v_cndmask_b32_e64 v3, 0, v3, s[28:29]
	v_mov_b32_e32 v6, 0x78
	v_cndmask_b32_e32 v3, v3, v6, vcc
	v_add_u32_e32 v6, 20, v3
	v_or_b32_e32 v5, 0x800000, v4
	v_lshlrev_b64 v[16:17], v6, -1
	v_add_u32_e32 v6, 19, v3
	v_cndmask_b32_e32 v4, v5, v4, vcc
	v_lshlrev_b64 v[20:21], v6, 1
	v_mov_b32_e32 v5, v51
	v_bfi_b32 v17, v17, 0, 0
	v_bfi_b32 v16, v16, 0, v4
	v_cmp_eq_u64_e64 s[28:29], v[16:17], v[20:21]
	v_lshrrev_b64 v[16:17], v3, v[4:5]
	v_mov_b32_e32 v4, v16
	v_mov_b32_e32 v5, v17
	s_and_saveexec_b64 s[38:39], s[28:29]
; %bb.12643:                            ;   in Loop: Header=BB6_10567 Depth=3
	v_bfe_u32 v4, v16, 20, 1
	v_add_co_u32_e64 v4, s[28:29], v16, v4
	v_add_co_u32_e64 v4, s[28:29], -1, v4
; %bb.12644:                            ;   in Loop: Header=BB6_10567 Depth=3
	s_or_b64 exec, exec, s[38:39]
	v_add_u32_e32 v1, 0xffffff81, v1
	v_mov_b32_e32 v5, 0xffffff82
	v_cndmask_b32_e32 v1, v1, v5, vcc
	v_lshrrev_b32_e32 v5, 23, v16
	v_add3_u32 v5, v3, v1, v5
	v_add_u32_e32 v3, 6, v5
	v_and_b32_e32 v1, 0xfffff, v4
	v_add_u32_e32 v16, v1, v16
	v_mov_b32_e32 v17, v51
	v_cmp_ne_u32_e32 vcc, 0, v3
                                        ; implicit-def: $vgpr1
	s_and_saveexec_b64 s[28:29], vcc
	s_xor_b64 s[28:29], exec, s[28:29]
; %bb.12645:                            ;   in Loop: Header=BB6_10567 Depth=3
	v_cmp_lt_u64_e32 vcc, s[88:89], v[16:17]
	v_add_u32_e32 v1, 7, v5
	v_cndmask_b32_e32 v1, v3, v1, vcc
	v_cndmask_b32_e64 v3, 0, 1, vcc
	v_lshrrev_b64 v[16:17], v3, v[16:17]
; %bb.12646:                            ;   in Loop: Header=BB6_10567 Depth=3
	s_andn2_saveexec_b64 s[28:29], s[28:29]
; %bb.12647:                            ;   in Loop: Header=BB6_10567 Depth=3
	v_bfe_u32 v1, v16, 23, 1
; %bb.12648:                            ;   in Loop: Header=BB6_10567 Depth=3
	s_or_b64 exec, exec, s[28:29]
	v_lshrrev_b64 v[3:4], 20, v[16:17]
	v_cmp_gt_i32_e32 vcc, 16, v1
	v_cndmask_b32_e32 v4, 0, v4, vcc
	v_cndmask_b32_e32 v3, 7, v3, vcc
	v_cmp_eq_u32_e32 vcc, 0, v1
	v_min_i32_e32 v1, 15, v1
	v_cmp_eq_u64_e64 s[28:29], 0, v[3:4]
	v_lshlrev_b32_e32 v1, 3, v1
	v_and_b32_e32 v1, 0xf8, v1
	v_and_or_b32 v1, v3, 7, v1
	s_and_b64 s[28:29], vcc, s[28:29]
	v_cndmask_b32_e64 v1, v1, 0, s[28:29]
	v_or_b32_e32 v0, v1, v0
	buffer_store_dword v0, off, s[0:3], s33 offset:312 ; 4-byte Folded Spill
.LBB6_12649:                            ;   in Loop: Header=BB6_10567 Depth=3
	s_or_b64 exec, exec, s[36:37]
                                        ; implicit-def: $vgpr0
.LBB6_12650:                            ;   in Loop: Header=BB6_10567 Depth=3
	s_andn2_saveexec_b64 s[28:29], s[34:35]
	s_cbranch_execz .LBB6_12652
; %bb.12651:                            ;   in Loop: Header=BB6_10567 Depth=3
	v_or_b32_e32 v0, 0x7e, v0
	buffer_store_dword v0, off, s[0:3], s33 offset:312 ; 4-byte Folded Spill
.LBB6_12652:                            ;   in Loop: Header=BB6_10567 Depth=3
	s_or_b64 exec, exec, s[28:29]
                                        ; implicit-def: $vgpr1
.LBB6_12653:                            ;   in Loop: Header=BB6_10567 Depth=3
	s_andn2_saveexec_b64 s[28:29], s[30:31]
	s_cbranch_execz .LBB6_12655
; %bb.12654:                            ;   in Loop: Header=BB6_10567 Depth=3
	v_or_b32_sdwa v0, v1, s86 dst_sel:DWORD dst_unused:UNUSED_PAD src0_sel:BYTE_3 src1_sel:DWORD
	buffer_store_dword v0, off, s[0:3], s33 offset:312 ; 4-byte Folded Spill
.LBB6_12655:                            ;   in Loop: Header=BB6_10567 Depth=3
	s_or_b64 exec, exec, s[28:29]
	buffer_load_dword v0, off, s[0:3], s33 offset:228 ; 4-byte Folded Reload
	buffer_load_dword v1, off, s[0:3], s33 offset:248 ; 4-byte Folded Reload
	;; [unrolled: 1-line block ×3, first 2 shown]
	v_mov_b32_e32 v17, v51
	v_cmp_ne_u32_e32 vcc, 0, v56
	s_waitcnt vmcnt(2)
	v_lshl_or_b32 v0, v0, 8, v56
	s_waitcnt vmcnt(1)
	v_lshlrev_b32_e32 v1, 16, v1
	s_waitcnt vmcnt(0)
	v_lshlrev_b32_e32 v3, 24, v3
	v_or3_b32 v16, v1, v3, v0
	v_mov_b32_e32 v1, 0
	v_mov_b32_e32 v3, 0
	s_and_saveexec_b64 s[28:29], vcc
	s_cbranch_execz .LBB6_12661
; %bb.12656:                            ;   in Loop: Header=BB6_10567 Depth=3
	v_cmp_ne_u32_e32 vcc, s96, v56
	v_bfrev_b32_e32 v3, 1
	s_and_saveexec_b64 s[30:31], vcc
	s_cbranch_execz .LBB6_12660
; %bb.12657:                            ;   in Loop: Header=BB6_10567 Depth=3
	v_and_b32_e32 v4, 0x7f, v56
	v_cmp_ne_u32_e32 vcc, s86, v4
	v_mov_b32_e32 v3, 0x7f800001
	s_and_saveexec_b64 s[34:35], vcc
	s_cbranch_execz .LBB6_12659
; %bb.12658:                            ;   in Loop: Header=BB6_10567 Depth=3
	v_and_b32_e32 v3, 7, v56
	v_ffbh_u32_e32 v3, v3
	v_min_u32_e32 v3, 32, v3
	v_lshrrev_b32_e32 v5, 3, v4
	v_cmp_gt_u32_e32 vcc, 8, v4
	v_subrev_u32_e32 v4, 28, v3
	v_sub_u32_e32 v3, 29, v3
	v_cndmask_b32_e32 v5, v5, v3, vcc
	v_cndmask_b32_e32 v3, 0, v4, vcc
	v_lshlrev_b64 v[3:4], v3, v[16:17]
	v_lshlrev_b32_e32 v4, 24, v16
	v_lshlrev_b32_e32 v3, 20, v3
	v_bfrev_b32_e32 v6, 60
	v_and_b32_e32 v3, 0x700000, v3
	v_and_b32_e32 v4, 0x80000000, v4
	v_lshl_add_u32 v5, v5, 23, v6
	v_or3_b32 v3, v4, v5, v3
.LBB6_12659:                            ;   in Loop: Header=BB6_10567 Depth=3
	s_or_b64 exec, exec, s[34:35]
.LBB6_12660:                            ;   in Loop: Header=BB6_10567 Depth=3
	s_or_b64 exec, exec, s[30:31]
.LBB6_12661:                            ;   in Loop: Header=BB6_10567 Depth=3
	s_or_b64 exec, exec, s[28:29]
	v_cmp_ne_u16_sdwa vcc, v18, v51 src0_sel:BYTE_0 src1_sel:DWORD
	s_and_saveexec_b64 s[28:29], vcc
	s_cbranch_execz .LBB6_12667
; %bb.12662:                            ;   in Loop: Header=BB6_10567 Depth=3
	v_cmp_ne_u16_sdwa vcc, v18, s96 src0_sel:BYTE_0 src1_sel:DWORD
	v_bfrev_b32_e32 v1, 1
	s_and_saveexec_b64 s[30:31], vcc
	s_cbranch_execz .LBB6_12666
; %bb.12663:                            ;   in Loop: Header=BB6_10567 Depth=3
	v_and_b32_e32 v4, 0x7f, v18
	v_cmp_ne_u32_e32 vcc, s86, v4
	v_mov_b32_e32 v1, 0x7f800001
	s_and_saveexec_b64 s[34:35], vcc
	s_cbranch_execz .LBB6_12665
; %bb.12664:                            ;   in Loop: Header=BB6_10567 Depth=3
	v_and_b32_e32 v1, 7, v18
	v_ffbh_u32_e32 v1, v1
	v_min_u32_e32 v1, 32, v1
	v_lshrrev_b32_e32 v5, 3, v4
	v_cmp_gt_u32_e32 vcc, 8, v4
	v_subrev_u32_e32 v4, 28, v1
	v_sub_u32_e32 v1, 29, v1
	v_cndmask_b32_e32 v4, 0, v4, vcc
	v_cndmask_b32_e32 v1, v5, v1, vcc
	v_lshlrev_b64 v[4:5], v4, v[18:19]
	v_lshlrev_b32_e32 v5, 24, v18
	v_lshlrev_b32_e32 v4, 20, v4
	v_bfrev_b32_e32 v6, 60
	v_and_b32_e32 v4, 0x700000, v4
	v_and_b32_e32 v5, 0x80000000, v5
	v_lshl_add_u32 v1, v1, 23, v6
	v_or3_b32 v1, v5, v1, v4
.LBB6_12665:                            ;   in Loop: Header=BB6_10567 Depth=3
	s_or_b64 exec, exec, s[34:35]
.LBB6_12666:                            ;   in Loop: Header=BB6_10567 Depth=3
	s_or_b64 exec, exec, s[30:31]
.LBB6_12667:                            ;   in Loop: Header=BB6_10567 Depth=3
	s_or_b64 exec, exec, s[28:29]
	v_add_f32_e32 v3, v3, v1
	v_and_b32_e32 v4, 0x7f800000, v3
	v_mov_b32_e32 v5, v51
	v_cmp_ne_u64_e32 vcc, s[76:77], v[4:5]
                                        ; implicit-def: $vgpr38
	s_and_saveexec_b64 s[28:29], vcc
	s_xor_b64 s[30:31], exec, s[28:29]
	s_cbranch_execz .LBB6_12681
; %bb.12668:                            ;   in Loop: Header=BB6_10567 Depth=3
	v_and_b32_e32 v4, 0x7fffffff, v3
	v_mov_b32_e32 v5, v51
	v_cmp_gt_u64_e32 vcc, s[78:79], v[4:5]
	v_and_b32_sdwa v1, v3, s96 dst_sel:DWORD dst_unused:UNUSED_PAD src0_sel:BYTE_3 src1_sel:DWORD
                                        ; implicit-def: $vgpr38
	s_and_saveexec_b64 s[28:29], vcc
	s_xor_b64 s[34:35], exec, s[28:29]
	s_cbranch_execz .LBB6_12678
; %bb.12669:                            ;   in Loop: Header=BB6_10567 Depth=3
	v_mov_b32_e32 v38, 0
	v_cmp_ne_u32_e32 vcc, 0, v3
	s_and_saveexec_b64 s[36:37], vcc
	s_cbranch_execz .LBB6_12677
; %bb.12670:                            ;   in Loop: Header=BB6_10567 Depth=3
	v_and_b32_e32 v4, 0x7fffff, v3
	v_bfe_u32 v3, v3, 23, 8
	v_cmp_gt_u32_e64 s[28:29], s97, v3
	v_sub_u32_e32 v5, 0x79, v3
	v_cmp_eq_u32_e32 vcc, 0, v3
	v_cndmask_b32_e64 v5, 0, v5, s[28:29]
	v_mov_b32_e32 v6, 0x78
	v_or_b32_e32 v17, 0x800000, v4
	v_cndmask_b32_e32 v6, v5, v6, vcc
	v_cndmask_b32_e32 v4, v17, v4, vcc
	v_add_u32_e32 v17, 20, v6
	v_lshlrev_b64 v[20:21], v17, -1
	v_add_u32_e32 v17, 19, v6
	v_lshlrev_b64 v[23:24], v17, 1
	v_mov_b32_e32 v5, v51
	v_bfi_b32 v21, v21, 0, 0
	v_bfi_b32 v20, v20, 0, v4
	v_cmp_eq_u64_e64 s[28:29], v[20:21], v[23:24]
	v_lshrrev_b64 v[20:21], v6, v[4:5]
	v_mov_b32_e32 v4, v20
	v_mov_b32_e32 v5, v21
	s_and_saveexec_b64 s[38:39], s[28:29]
; %bb.12671:                            ;   in Loop: Header=BB6_10567 Depth=3
	v_bfe_u32 v4, v20, 20, 1
	v_add_co_u32_e64 v4, s[28:29], v20, v4
	v_add_co_u32_e64 v4, s[28:29], -1, v4
; %bb.12672:                            ;   in Loop: Header=BB6_10567 Depth=3
	s_or_b64 exec, exec, s[38:39]
	v_add_u32_e32 v3, 0xffffff81, v3
	v_mov_b32_e32 v5, 0xffffff82
	v_cndmask_b32_e32 v3, v3, v5, vcc
	v_lshrrev_b32_e32 v5, 23, v20
	v_add3_u32 v6, v6, v3, v5
	v_add_u32_e32 v5, 6, v6
	v_and_b32_e32 v3, 0xfffff, v4
	v_add_u32_e32 v20, v3, v20
	v_mov_b32_e32 v21, v51
	v_cmp_ne_u32_e32 vcc, 0, v5
                                        ; implicit-def: $vgpr3
	s_and_saveexec_b64 s[28:29], vcc
	s_xor_b64 s[28:29], exec, s[28:29]
; %bb.12673:                            ;   in Loop: Header=BB6_10567 Depth=3
	v_cmp_lt_u64_e32 vcc, s[88:89], v[20:21]
	v_add_u32_e32 v3, 7, v6
	v_cndmask_b32_e64 v4, 0, 1, vcc
	v_lshrrev_b64 v[20:21], v4, v[20:21]
	v_cndmask_b32_e32 v3, v5, v3, vcc
; %bb.12674:                            ;   in Loop: Header=BB6_10567 Depth=3
	s_andn2_saveexec_b64 s[28:29], s[28:29]
; %bb.12675:                            ;   in Loop: Header=BB6_10567 Depth=3
	v_bfe_u32 v3, v20, 23, 1
; %bb.12676:                            ;   in Loop: Header=BB6_10567 Depth=3
	s_or_b64 exec, exec, s[28:29]
	v_lshrrev_b64 v[4:5], 20, v[20:21]
	v_cmp_gt_i32_e32 vcc, 16, v3
	v_cndmask_b32_e32 v5, 0, v5, vcc
	v_cndmask_b32_e32 v4, 7, v4, vcc
	v_cmp_eq_u32_e32 vcc, 0, v3
	v_min_i32_e32 v3, 15, v3
	v_cmp_eq_u64_e64 s[28:29], 0, v[4:5]
	v_lshlrev_b32_e32 v3, 3, v3
	v_and_b32_e32 v3, 0xf8, v3
	v_and_or_b32 v3, v4, 7, v3
	s_and_b64 s[28:29], vcc, s[28:29]
	v_cndmask_b32_e64 v3, v3, 0, s[28:29]
	v_or_b32_e32 v38, v3, v1
.LBB6_12677:                            ;   in Loop: Header=BB6_10567 Depth=3
	s_or_b64 exec, exec, s[36:37]
                                        ; implicit-def: $vgpr1
.LBB6_12678:                            ;   in Loop: Header=BB6_10567 Depth=3
	s_andn2_saveexec_b64 s[28:29], s[34:35]
; %bb.12679:                            ;   in Loop: Header=BB6_10567 Depth=3
	v_or_b32_e32 v38, 0x7e, v1
; %bb.12680:                            ;   in Loop: Header=BB6_10567 Depth=3
	s_or_b64 exec, exec, s[28:29]
                                        ; implicit-def: $vgpr3
.LBB6_12681:                            ;   in Loop: Header=BB6_10567 Depth=3
	s_andn2_saveexec_b64 s[28:29], s[30:31]
; %bb.12682:                            ;   in Loop: Header=BB6_10567 Depth=3
	v_or_b32_sdwa v38, v3, s86 dst_sel:DWORD dst_unused:UNUSED_PAD src0_sel:BYTE_3 src1_sel:DWORD
; %bb.12683:                            ;   in Loop: Header=BB6_10567 Depth=3
	s_or_b64 exec, exec, s[28:29]
	v_lshrrev_b16_e32 v17, 8, v0
	v_cmp_ne_u16_e32 vcc, 0, v17
	v_mov_b32_e32 v1, 0
	v_mov_b32_e32 v3, 0
	s_and_saveexec_b64 s[28:29], vcc
	s_cbranch_execz .LBB6_12689
; %bb.12684:                            ;   in Loop: Header=BB6_10567 Depth=3
	v_cmp_ne_u16_e32 vcc, s96, v17
	v_bfrev_b32_e32 v3, 1
	s_and_saveexec_b64 s[30:31], vcc
	s_cbranch_execz .LBB6_12688
; %bb.12685:                            ;   in Loop: Header=BB6_10567 Depth=3
	v_and_b32_e32 v4, 0x7f, v17
	v_cmp_ne_u32_e32 vcc, s86, v4
	v_mov_b32_e32 v3, 0x7f800001
	s_and_saveexec_b64 s[34:35], vcc
	s_cbranch_execz .LBB6_12687
; %bb.12686:                            ;   in Loop: Header=BB6_10567 Depth=3
	v_and_b32_e32 v5, 7, v17
	v_ffbh_u32_e32 v3, v5
	v_min_u32_e32 v20, 32, v3
	v_subrev_u32_e32 v3, 28, v20
	v_lshrrev_b32_e32 v6, 3, v4
	v_cmp_gt_u32_e32 vcc, 8, v4
	v_lshlrev_b64 v[3:4], v3, v[17:18]
	v_sub_u32_e32 v4, 29, v20
	v_and_b32_e32 v3, 7, v3
	v_cndmask_b32_e32 v4, v6, v4, vcc
	v_cndmask_b32_e32 v3, v5, v3, vcc
	v_lshlrev_b32_e32 v0, 16, v0
	v_bfrev_b32_e32 v5, 60
	v_lshlrev_b32_e32 v3, 20, v3
	v_and_b32_e32 v0, 0x80000000, v0
	v_lshl_add_u32 v4, v4, 23, v5
	v_or3_b32 v3, v0, v4, v3
.LBB6_12687:                            ;   in Loop: Header=BB6_10567 Depth=3
	s_or_b64 exec, exec, s[34:35]
.LBB6_12688:                            ;   in Loop: Header=BB6_10567 Depth=3
	s_or_b64 exec, exec, s[30:31]
.LBB6_12689:                            ;   in Loop: Header=BB6_10567 Depth=3
	s_or_b64 exec, exec, s[28:29]
	v_lshrrev_b16_e32 v17, 8, v18
	v_cmp_ne_u16_e32 vcc, 0, v17
	s_and_saveexec_b64 s[28:29], vcc
	s_cbranch_execz .LBB6_12695
; %bb.12690:                            ;   in Loop: Header=BB6_10567 Depth=3
	v_cmp_ne_u16_e32 vcc, s96, v17
	v_bfrev_b32_e32 v1, 1
	s_and_saveexec_b64 s[30:31], vcc
	s_cbranch_execz .LBB6_12694
; %bb.12691:                            ;   in Loop: Header=BB6_10567 Depth=3
	v_and_b32_e32 v0, 0x7f, v17
	v_cmp_ne_u32_e32 vcc, s86, v0
	v_mov_b32_e32 v1, 0x7f800001
	s_and_saveexec_b64 s[34:35], vcc
	s_cbranch_execz .LBB6_12693
; %bb.12692:                            ;   in Loop: Header=BB6_10567 Depth=3
	v_and_b32_e32 v4, 7, v17
	v_lshrrev_b32_e32 v5, 3, v0
	v_cmp_gt_u32_e32 vcc, 8, v0
	v_ffbh_u32_e32 v0, v4
	v_min_u32_e32 v6, 32, v0
	v_subrev_u32_e32 v0, 28, v6
	v_lshlrev_b64 v[0:1], v0, v[17:18]
	v_sub_u32_e32 v1, 29, v6
	v_and_b32_e32 v0, 7, v0
	v_cndmask_b32_e32 v1, v5, v1, vcc
	v_cndmask_b32_e32 v0, v4, v0, vcc
	v_lshlrev_b32_e32 v4, 16, v18
	v_bfrev_b32_e32 v5, 60
	v_lshlrev_b32_e32 v0, 20, v0
	v_and_b32_e32 v4, 0x80000000, v4
	v_lshl_add_u32 v1, v1, 23, v5
	v_or3_b32 v1, v4, v1, v0
.LBB6_12693:                            ;   in Loop: Header=BB6_10567 Depth=3
	s_or_b64 exec, exec, s[34:35]
.LBB6_12694:                            ;   in Loop: Header=BB6_10567 Depth=3
	s_or_b64 exec, exec, s[30:31]
.LBB6_12695:                            ;   in Loop: Header=BB6_10567 Depth=3
	s_or_b64 exec, exec, s[28:29]
	v_add_f32_e32 v1, v3, v1
	v_and_b32_e32 v3, 0x7f800000, v1
	v_mov_b32_e32 v4, v51
	v_cmp_ne_u64_e32 vcc, s[76:77], v[3:4]
                                        ; implicit-def: $vgpr39
	s_and_saveexec_b64 s[28:29], vcc
	s_xor_b64 s[30:31], exec, s[28:29]
	s_cbranch_execz .LBB6_12709
; %bb.12696:                            ;   in Loop: Header=BB6_10567 Depth=3
	v_and_b32_e32 v3, 0x7fffffff, v1
	v_mov_b32_e32 v4, v51
	v_cmp_gt_u64_e32 vcc, s[78:79], v[3:4]
	v_and_b32_sdwa v0, v1, s96 dst_sel:DWORD dst_unused:UNUSED_PAD src0_sel:BYTE_3 src1_sel:DWORD
                                        ; implicit-def: $vgpr39
	s_and_saveexec_b64 s[28:29], vcc
	s_xor_b64 s[34:35], exec, s[28:29]
	s_cbranch_execz .LBB6_12706
; %bb.12697:                            ;   in Loop: Header=BB6_10567 Depth=3
	v_mov_b32_e32 v39, 0
	v_cmp_ne_u32_e32 vcc, 0, v1
	s_and_saveexec_b64 s[36:37], vcc
	s_cbranch_execz .LBB6_12705
; %bb.12698:                            ;   in Loop: Header=BB6_10567 Depth=3
	v_and_b32_e32 v4, 0x7fffff, v1
	v_bfe_u32 v1, v1, 23, 8
	v_cmp_gt_u32_e64 s[28:29], s97, v1
	v_sub_u32_e32 v3, 0x79, v1
	v_cmp_eq_u32_e32 vcc, 0, v1
	v_cndmask_b32_e64 v3, 0, v3, s[28:29]
	v_mov_b32_e32 v6, 0x78
	v_cndmask_b32_e32 v3, v3, v6, vcc
	v_add_u32_e32 v6, 20, v3
	v_or_b32_e32 v5, 0x800000, v4
	v_lshlrev_b64 v[20:21], v6, -1
	v_add_u32_e32 v6, 19, v3
	v_cndmask_b32_e32 v4, v5, v4, vcc
	v_lshlrev_b64 v[23:24], v6, 1
	v_mov_b32_e32 v5, v51
	v_bfi_b32 v21, v21, 0, 0
	v_bfi_b32 v20, v20, 0, v4
	v_cmp_eq_u64_e64 s[28:29], v[20:21], v[23:24]
	v_lshrrev_b64 v[20:21], v3, v[4:5]
	v_mov_b32_e32 v4, v20
	v_mov_b32_e32 v5, v21
	s_and_saveexec_b64 s[38:39], s[28:29]
; %bb.12699:                            ;   in Loop: Header=BB6_10567 Depth=3
	v_bfe_u32 v4, v20, 20, 1
	v_add_co_u32_e64 v4, s[28:29], v20, v4
	v_add_co_u32_e64 v4, s[28:29], -1, v4
; %bb.12700:                            ;   in Loop: Header=BB6_10567 Depth=3
	s_or_b64 exec, exec, s[38:39]
	v_add_u32_e32 v1, 0xffffff81, v1
	v_mov_b32_e32 v5, 0xffffff82
	v_cndmask_b32_e32 v1, v1, v5, vcc
	v_lshrrev_b32_e32 v5, 23, v20
	v_add3_u32 v5, v3, v1, v5
	v_add_u32_e32 v3, 6, v5
	v_and_b32_e32 v1, 0xfffff, v4
	v_add_u32_e32 v20, v1, v20
	v_mov_b32_e32 v21, v51
	v_cmp_ne_u32_e32 vcc, 0, v3
                                        ; implicit-def: $vgpr1
	s_and_saveexec_b64 s[28:29], vcc
	s_xor_b64 s[28:29], exec, s[28:29]
; %bb.12701:                            ;   in Loop: Header=BB6_10567 Depth=3
	v_cmp_lt_u64_e32 vcc, s[88:89], v[20:21]
	v_add_u32_e32 v1, 7, v5
	v_cndmask_b32_e32 v1, v3, v1, vcc
	v_cndmask_b32_e64 v3, 0, 1, vcc
	v_lshrrev_b64 v[20:21], v3, v[20:21]
; %bb.12702:                            ;   in Loop: Header=BB6_10567 Depth=3
	s_andn2_saveexec_b64 s[28:29], s[28:29]
; %bb.12703:                            ;   in Loop: Header=BB6_10567 Depth=3
	v_bfe_u32 v1, v20, 23, 1
; %bb.12704:                            ;   in Loop: Header=BB6_10567 Depth=3
	s_or_b64 exec, exec, s[28:29]
	v_lshrrev_b64 v[3:4], 20, v[20:21]
	v_cmp_gt_i32_e32 vcc, 16, v1
	v_cndmask_b32_e32 v4, 0, v4, vcc
	v_cndmask_b32_e32 v3, 7, v3, vcc
	v_cmp_eq_u32_e32 vcc, 0, v1
	v_min_i32_e32 v1, 15, v1
	v_cmp_eq_u64_e64 s[28:29], 0, v[3:4]
	v_lshlrev_b32_e32 v1, 3, v1
	v_and_b32_e32 v1, 0xf8, v1
	v_and_or_b32 v1, v3, 7, v1
	s_and_b64 s[28:29], vcc, s[28:29]
	v_cndmask_b32_e64 v1, v1, 0, s[28:29]
	v_or_b32_e32 v39, v1, v0
.LBB6_12705:                            ;   in Loop: Header=BB6_10567 Depth=3
	s_or_b64 exec, exec, s[36:37]
                                        ; implicit-def: $vgpr0
.LBB6_12706:                            ;   in Loop: Header=BB6_10567 Depth=3
	s_andn2_saveexec_b64 s[28:29], s[34:35]
; %bb.12707:                            ;   in Loop: Header=BB6_10567 Depth=3
	v_or_b32_e32 v39, 0x7e, v0
; %bb.12708:                            ;   in Loop: Header=BB6_10567 Depth=3
	s_or_b64 exec, exec, s[28:29]
                                        ; implicit-def: $vgpr1
.LBB6_12709:                            ;   in Loop: Header=BB6_10567 Depth=3
	s_andn2_saveexec_b64 s[28:29], s[30:31]
; %bb.12710:                            ;   in Loop: Header=BB6_10567 Depth=3
	v_or_b32_sdwa v39, v1, s86 dst_sel:DWORD dst_unused:UNUSED_PAD src0_sel:BYTE_3 src1_sel:DWORD
; %bb.12711:                            ;   in Loop: Header=BB6_10567 Depth=3
	s_or_b64 exec, exec, s[28:29]
	v_lshrrev_b32_e32 v17, 16, v16
	v_cmp_ne_u16_sdwa vcc, v17, v51 src0_sel:BYTE_0 src1_sel:DWORD
	v_mov_b32_e32 v0, 0
	v_mov_b32_e32 v1, 0
	s_and_saveexec_b64 s[28:29], vcc
	s_cbranch_execz .LBB6_12717
; %bb.12712:                            ;   in Loop: Header=BB6_10567 Depth=3
	v_cmp_ne_u16_sdwa vcc, v17, s96 src0_sel:BYTE_0 src1_sel:DWORD
	v_bfrev_b32_e32 v1, 1
	s_and_saveexec_b64 s[30:31], vcc
	s_cbranch_execz .LBB6_12716
; %bb.12713:                            ;   in Loop: Header=BB6_10567 Depth=3
	v_bfe_u32 v3, v16, 16, 7
	v_cmp_ne_u32_e32 vcc, s86, v3
	v_mov_b32_e32 v1, 0x7f800001
	s_and_saveexec_b64 s[34:35], vcc
	s_cbranch_execz .LBB6_12715
; %bb.12714:                            ;   in Loop: Header=BB6_10567 Depth=3
	v_and_b32_e32 v1, 7, v17
	v_lshrrev_b32_e32 v5, 3, v3
	v_cmp_gt_u32_e32 vcc, 8, v3
	v_ffbh_u32_e32 v3, v1
	v_min_u32_e32 v6, 32, v3
	v_subrev_u32_e32 v3, 28, v6
	v_lshlrev_b64 v[3:4], v3, v[17:18]
	v_sub_u32_e32 v4, 29, v6
	v_and_b32_e32 v3, 7, v3
	v_cndmask_b32_e32 v4, v5, v4, vcc
	v_cndmask_b32_e32 v1, v1, v3, vcc
	v_lshlrev_b32_e32 v3, 24, v17
	v_bfrev_b32_e32 v5, 60
	v_lshlrev_b32_e32 v1, 20, v1
	v_and_b32_e32 v3, 0x80000000, v3
	v_lshl_add_u32 v4, v4, 23, v5
	v_or3_b32 v1, v3, v4, v1
.LBB6_12715:                            ;   in Loop: Header=BB6_10567 Depth=3
	s_or_b64 exec, exec, s[34:35]
.LBB6_12716:                            ;   in Loop: Header=BB6_10567 Depth=3
	s_or_b64 exec, exec, s[30:31]
.LBB6_12717:                            ;   in Loop: Header=BB6_10567 Depth=3
	s_or_b64 exec, exec, s[28:29]
	v_lshrrev_b32_e32 v17, 16, v18
	v_cmp_ne_u16_sdwa vcc, v17, v51 src0_sel:BYTE_0 src1_sel:DWORD
	s_and_saveexec_b64 s[28:29], vcc
	s_cbranch_execz .LBB6_12723
; %bb.12718:                            ;   in Loop: Header=BB6_10567 Depth=3
	v_cmp_ne_u16_sdwa vcc, v17, s96 src0_sel:BYTE_0 src1_sel:DWORD
	v_bfrev_b32_e32 v0, 1
	s_and_saveexec_b64 s[30:31], vcc
	s_cbranch_execz .LBB6_12722
; %bb.12719:                            ;   in Loop: Header=BB6_10567 Depth=3
	v_bfe_u32 v3, v18, 16, 7
	v_cmp_ne_u32_e32 vcc, s86, v3
	v_mov_b32_e32 v0, 0x7f800001
	s_and_saveexec_b64 s[34:35], vcc
	s_cbranch_execz .LBB6_12721
; %bb.12720:                            ;   in Loop: Header=BB6_10567 Depth=3
	v_and_b32_e32 v0, 7, v17
	v_lshrrev_b32_e32 v5, 3, v3
	v_cmp_gt_u32_e32 vcc, 8, v3
	v_ffbh_u32_e32 v3, v0
	v_min_u32_e32 v6, 32, v3
	v_subrev_u32_e32 v3, 28, v6
	v_lshlrev_b64 v[3:4], v3, v[17:18]
	v_sub_u32_e32 v4, 29, v6
	v_and_b32_e32 v3, 7, v3
	v_cndmask_b32_e32 v4, v5, v4, vcc
	v_cndmask_b32_e32 v0, v0, v3, vcc
	v_lshlrev_b32_e32 v3, 8, v18
	v_bfrev_b32_e32 v5, 60
	v_lshlrev_b32_e32 v0, 20, v0
	v_and_b32_e32 v3, 0x80000000, v3
	v_lshl_add_u32 v4, v4, 23, v5
	v_or3_b32 v0, v3, v4, v0
.LBB6_12721:                            ;   in Loop: Header=BB6_10567 Depth=3
	s_or_b64 exec, exec, s[34:35]
.LBB6_12722:                            ;   in Loop: Header=BB6_10567 Depth=3
	s_or_b64 exec, exec, s[30:31]
.LBB6_12723:                            ;   in Loop: Header=BB6_10567 Depth=3
	s_or_b64 exec, exec, s[28:29]
	v_add_f32_e32 v1, v1, v0
	v_and_b32_e32 v3, 0x7f800000, v1
	v_mov_b32_e32 v4, v51
	v_cmp_ne_u64_e32 vcc, s[76:77], v[3:4]
                                        ; implicit-def: $vgpr48
	s_and_saveexec_b64 s[28:29], vcc
	s_xor_b64 s[30:31], exec, s[28:29]
	s_cbranch_execz .LBB6_12737
; %bb.12724:                            ;   in Loop: Header=BB6_10567 Depth=3
	v_and_b32_e32 v3, 0x7fffffff, v1
	v_mov_b32_e32 v4, v51
	v_cmp_gt_u64_e32 vcc, s[78:79], v[3:4]
	v_and_b32_sdwa v0, v1, s96 dst_sel:DWORD dst_unused:UNUSED_PAD src0_sel:BYTE_3 src1_sel:DWORD
                                        ; implicit-def: $vgpr48
	s_and_saveexec_b64 s[28:29], vcc
	s_xor_b64 s[34:35], exec, s[28:29]
	s_cbranch_execz .LBB6_12734
; %bb.12725:                            ;   in Loop: Header=BB6_10567 Depth=3
	v_mov_b32_e32 v48, 0
	v_cmp_ne_u32_e32 vcc, 0, v1
	s_and_saveexec_b64 s[36:37], vcc
	s_cbranch_execz .LBB6_12733
; %bb.12726:                            ;   in Loop: Header=BB6_10567 Depth=3
	v_and_b32_e32 v4, 0x7fffff, v1
	v_bfe_u32 v1, v1, 23, 8
	v_cmp_gt_u32_e64 s[28:29], s97, v1
	v_sub_u32_e32 v3, 0x79, v1
	v_cmp_eq_u32_e32 vcc, 0, v1
	v_cndmask_b32_e64 v3, 0, v3, s[28:29]
	v_mov_b32_e32 v6, 0x78
	v_cndmask_b32_e32 v3, v3, v6, vcc
	v_add_u32_e32 v6, 20, v3
	v_or_b32_e32 v5, 0x800000, v4
	v_lshlrev_b64 v[20:21], v6, -1
	v_add_u32_e32 v6, 19, v3
	v_cndmask_b32_e32 v4, v5, v4, vcc
	v_lshlrev_b64 v[23:24], v6, 1
	v_mov_b32_e32 v5, v51
	v_bfi_b32 v21, v21, 0, 0
	v_bfi_b32 v20, v20, 0, v4
	v_cmp_eq_u64_e64 s[28:29], v[20:21], v[23:24]
	v_lshrrev_b64 v[20:21], v3, v[4:5]
	v_mov_b32_e32 v4, v20
	v_mov_b32_e32 v5, v21
	s_and_saveexec_b64 s[38:39], s[28:29]
; %bb.12727:                            ;   in Loop: Header=BB6_10567 Depth=3
	v_bfe_u32 v4, v20, 20, 1
	v_add_co_u32_e64 v4, s[28:29], v20, v4
	v_add_co_u32_e64 v4, s[28:29], -1, v4
; %bb.12728:                            ;   in Loop: Header=BB6_10567 Depth=3
	s_or_b64 exec, exec, s[38:39]
	v_add_u32_e32 v1, 0xffffff81, v1
	v_mov_b32_e32 v5, 0xffffff82
	v_cndmask_b32_e32 v1, v1, v5, vcc
	v_lshrrev_b32_e32 v5, 23, v20
	v_add3_u32 v5, v3, v1, v5
	v_add_u32_e32 v3, 6, v5
	v_and_b32_e32 v1, 0xfffff, v4
	v_add_u32_e32 v20, v1, v20
	v_mov_b32_e32 v21, v51
	v_cmp_ne_u32_e32 vcc, 0, v3
                                        ; implicit-def: $vgpr1
	s_and_saveexec_b64 s[28:29], vcc
	s_xor_b64 s[28:29], exec, s[28:29]
; %bb.12729:                            ;   in Loop: Header=BB6_10567 Depth=3
	v_cmp_lt_u64_e32 vcc, s[88:89], v[20:21]
	v_add_u32_e32 v1, 7, v5
	v_cndmask_b32_e32 v1, v3, v1, vcc
	v_cndmask_b32_e64 v3, 0, 1, vcc
	v_lshrrev_b64 v[20:21], v3, v[20:21]
; %bb.12730:                            ;   in Loop: Header=BB6_10567 Depth=3
	s_andn2_saveexec_b64 s[28:29], s[28:29]
; %bb.12731:                            ;   in Loop: Header=BB6_10567 Depth=3
	v_bfe_u32 v1, v20, 23, 1
; %bb.12732:                            ;   in Loop: Header=BB6_10567 Depth=3
	s_or_b64 exec, exec, s[28:29]
	v_lshrrev_b64 v[3:4], 20, v[20:21]
	v_cmp_gt_i32_e32 vcc, 16, v1
	v_cndmask_b32_e32 v4, 0, v4, vcc
	v_cndmask_b32_e32 v3, 7, v3, vcc
	v_cmp_eq_u32_e32 vcc, 0, v1
	v_min_i32_e32 v1, 15, v1
	v_cmp_eq_u64_e64 s[28:29], 0, v[3:4]
	v_lshlrev_b32_e32 v1, 3, v1
	v_and_b32_e32 v1, 0xf8, v1
	v_and_or_b32 v1, v3, 7, v1
	s_and_b64 s[28:29], vcc, s[28:29]
	v_cndmask_b32_e64 v1, v1, 0, s[28:29]
	v_or_b32_e32 v48, v1, v0
.LBB6_12733:                            ;   in Loop: Header=BB6_10567 Depth=3
	s_or_b64 exec, exec, s[36:37]
                                        ; implicit-def: $vgpr0
.LBB6_12734:                            ;   in Loop: Header=BB6_10567 Depth=3
	s_andn2_saveexec_b64 s[28:29], s[34:35]
; %bb.12735:                            ;   in Loop: Header=BB6_10567 Depth=3
	v_or_b32_e32 v48, 0x7e, v0
; %bb.12736:                            ;   in Loop: Header=BB6_10567 Depth=3
	s_or_b64 exec, exec, s[28:29]
                                        ; implicit-def: $vgpr1
.LBB6_12737:                            ;   in Loop: Header=BB6_10567 Depth=3
	s_andn2_saveexec_b64 s[28:29], s[30:31]
; %bb.12738:                            ;   in Loop: Header=BB6_10567 Depth=3
	v_or_b32_sdwa v48, v1, s86 dst_sel:DWORD dst_unused:UNUSED_PAD src0_sel:BYTE_3 src1_sel:DWORD
; %bb.12739:                            ;   in Loop: Header=BB6_10567 Depth=3
	s_or_b64 exec, exec, s[28:29]
	v_cmp_lt_u32_e32 vcc, s57, v16
	v_mov_b32_e32 v0, 0
	v_mov_b32_e32 v1, 0
	s_and_saveexec_b64 s[28:29], vcc
	s_cbranch_execz .LBB6_12745
; %bb.12740:                            ;   in Loop: Header=BB6_10567 Depth=3
	v_lshrrev_b32_e32 v17, 24, v16
	v_cmp_ne_u32_sdwa vcc, v16, s96 src0_sel:BYTE_3 src1_sel:DWORD
	v_bfrev_b32_e32 v1, 1
	s_and_saveexec_b64 s[30:31], vcc
	s_cbranch_execz .LBB6_12744
; %bb.12741:                            ;   in Loop: Header=BB6_10567 Depth=3
	v_bfe_u32 v3, v16, 24, 7
	v_cmp_ne_u32_e32 vcc, s86, v3
	v_mov_b32_e32 v1, 0x7f800001
	s_and_saveexec_b64 s[34:35], vcc
	s_cbranch_execz .LBB6_12743
; %bb.12742:                            ;   in Loop: Header=BB6_10567 Depth=3
	v_and_b32_e32 v1, 7, v17
	v_lshrrev_b32_e32 v5, 3, v3
	v_cmp_gt_u32_e32 vcc, 8, v3
	v_ffbh_u32_e32 v3, v1
	v_min_u32_e32 v6, 32, v3
	v_subrev_u32_e32 v3, 28, v6
	v_lshlrev_b64 v[3:4], v3, v[17:18]
	v_sub_u32_e32 v4, 29, v6
	v_and_b32_e32 v3, 7, v3
	v_cndmask_b32_e32 v1, v1, v3, vcc
	v_mov_b32_e32 v3, 24
	v_cndmask_b32_e32 v4, v5, v4, vcc
	v_lshlrev_b32_sdwa v3, v3, v16 dst_sel:DWORD dst_unused:UNUSED_PAD src0_sel:DWORD src1_sel:BYTE_3
	v_bfrev_b32_e32 v5, 60
	v_lshlrev_b32_e32 v1, 20, v1
	v_and_b32_e32 v3, 0x80000000, v3
	v_lshl_add_u32 v4, v4, 23, v5
	v_or3_b32 v1, v3, v4, v1
.LBB6_12743:                            ;   in Loop: Header=BB6_10567 Depth=3
	s_or_b64 exec, exec, s[34:35]
.LBB6_12744:                            ;   in Loop: Header=BB6_10567 Depth=3
	s_or_b64 exec, exec, s[30:31]
.LBB6_12745:                            ;   in Loop: Header=BB6_10567 Depth=3
	s_or_b64 exec, exec, s[28:29]
	v_cmp_lt_u32_e32 vcc, s57, v18
	s_and_saveexec_b64 s[28:29], vcc
	s_cbranch_execz .LBB6_12751
; %bb.12746:                            ;   in Loop: Header=BB6_10567 Depth=3
	v_lshrrev_b32_e32 v16, 24, v18
	v_cmp_ne_u32_e32 vcc, s96, v16
	v_bfrev_b32_e32 v0, 1
	s_and_saveexec_b64 s[30:31], vcc
	s_cbranch_execz .LBB6_12750
; %bb.12747:                            ;   in Loop: Header=BB6_10567 Depth=3
	v_bfe_u32 v3, v18, 24, 7
	v_cmp_ne_u32_e32 vcc, s86, v3
	v_mov_b32_e32 v0, 0x7f800001
	s_and_saveexec_b64 s[34:35], vcc
	s_cbranch_execz .LBB6_12749
; %bb.12748:                            ;   in Loop: Header=BB6_10567 Depth=3
	v_and_b32_e32 v0, 7, v16
	v_lshrrev_b32_e32 v5, 3, v3
	v_cmp_gt_u32_e32 vcc, 8, v3
	v_ffbh_u32_e32 v3, v0
	v_min_u32_e32 v6, 32, v3
	v_subrev_u32_e32 v3, 28, v6
	v_lshlrev_b64 v[3:4], v3, v[16:17]
	v_sub_u32_e32 v4, 29, v6
	v_and_b32_e32 v3, 7, v3
	v_cndmask_b32_e32 v4, v5, v4, vcc
	v_cndmask_b32_e32 v0, v0, v3, vcc
	v_lshlrev_b32_e32 v3, 24, v16
	v_bfrev_b32_e32 v5, 60
	v_lshlrev_b32_e32 v0, 20, v0
	v_and_b32_e32 v3, 0x80000000, v3
	v_lshl_add_u32 v4, v4, 23, v5
	v_or3_b32 v0, v3, v4, v0
.LBB6_12749:                            ;   in Loop: Header=BB6_10567 Depth=3
	s_or_b64 exec, exec, s[34:35]
.LBB6_12750:                            ;   in Loop: Header=BB6_10567 Depth=3
	s_or_b64 exec, exec, s[30:31]
.LBB6_12751:                            ;   in Loop: Header=BB6_10567 Depth=3
	s_or_b64 exec, exec, s[28:29]
	v_add_f32_e32 v1, v1, v0
	v_and_b32_e32 v3, 0x7f800000, v1
	v_mov_b32_e32 v4, v51
	v_cmp_ne_u64_e32 vcc, s[76:77], v[3:4]
                                        ; implicit-def: $vgpr55
	s_and_saveexec_b64 s[28:29], vcc
	s_xor_b64 s[30:31], exec, s[28:29]
	s_cbranch_execz .LBB6_12765
; %bb.12752:                            ;   in Loop: Header=BB6_10567 Depth=3
	v_and_b32_e32 v3, 0x7fffffff, v1
	v_mov_b32_e32 v4, v51
	v_cmp_gt_u64_e32 vcc, s[78:79], v[3:4]
	v_and_b32_sdwa v0, v1, s96 dst_sel:DWORD dst_unused:UNUSED_PAD src0_sel:BYTE_3 src1_sel:DWORD
                                        ; implicit-def: $vgpr55
	s_and_saveexec_b64 s[28:29], vcc
	s_xor_b64 s[34:35], exec, s[28:29]
	s_cbranch_execz .LBB6_12762
; %bb.12753:                            ;   in Loop: Header=BB6_10567 Depth=3
	v_mov_b32_e32 v55, 0
	v_cmp_ne_u32_e32 vcc, 0, v1
	s_and_saveexec_b64 s[36:37], vcc
	s_cbranch_execz .LBB6_12761
; %bb.12754:                            ;   in Loop: Header=BB6_10567 Depth=3
	v_and_b32_e32 v4, 0x7fffff, v1
	v_bfe_u32 v1, v1, 23, 8
	v_cmp_gt_u32_e64 s[28:29], s97, v1
	v_sub_u32_e32 v3, 0x79, v1
	v_cmp_eq_u32_e32 vcc, 0, v1
	v_cndmask_b32_e64 v3, 0, v3, s[28:29]
	v_mov_b32_e32 v6, 0x78
	v_cndmask_b32_e32 v3, v3, v6, vcc
	v_add_u32_e32 v6, 20, v3
	v_or_b32_e32 v5, 0x800000, v4
	v_lshlrev_b64 v[16:17], v6, -1
	v_add_u32_e32 v6, 19, v3
	v_cndmask_b32_e32 v4, v5, v4, vcc
	v_lshlrev_b64 v[20:21], v6, 1
	v_mov_b32_e32 v5, v51
	v_bfi_b32 v17, v17, 0, 0
	v_bfi_b32 v16, v16, 0, v4
	v_cmp_eq_u64_e64 s[28:29], v[16:17], v[20:21]
	v_lshrrev_b64 v[16:17], v3, v[4:5]
	v_mov_b32_e32 v4, v16
	v_mov_b32_e32 v5, v17
	s_and_saveexec_b64 s[38:39], s[28:29]
; %bb.12755:                            ;   in Loop: Header=BB6_10567 Depth=3
	v_bfe_u32 v4, v16, 20, 1
	v_add_co_u32_e64 v4, s[28:29], v16, v4
	v_add_co_u32_e64 v4, s[28:29], -1, v4
; %bb.12756:                            ;   in Loop: Header=BB6_10567 Depth=3
	s_or_b64 exec, exec, s[38:39]
	v_add_u32_e32 v1, 0xffffff81, v1
	v_mov_b32_e32 v5, 0xffffff82
	v_cndmask_b32_e32 v1, v1, v5, vcc
	v_lshrrev_b32_e32 v5, 23, v16
	v_add3_u32 v5, v3, v1, v5
	v_add_u32_e32 v3, 6, v5
	v_and_b32_e32 v1, 0xfffff, v4
	v_add_u32_e32 v16, v1, v16
	v_mov_b32_e32 v17, v51
	v_cmp_ne_u32_e32 vcc, 0, v3
                                        ; implicit-def: $vgpr1
	s_and_saveexec_b64 s[28:29], vcc
	s_xor_b64 s[28:29], exec, s[28:29]
; %bb.12757:                            ;   in Loop: Header=BB6_10567 Depth=3
	v_cmp_lt_u64_e32 vcc, s[88:89], v[16:17]
	v_add_u32_e32 v1, 7, v5
	v_cndmask_b32_e32 v1, v3, v1, vcc
	v_cndmask_b32_e64 v3, 0, 1, vcc
	v_lshrrev_b64 v[16:17], v3, v[16:17]
; %bb.12758:                            ;   in Loop: Header=BB6_10567 Depth=3
	s_andn2_saveexec_b64 s[28:29], s[28:29]
; %bb.12759:                            ;   in Loop: Header=BB6_10567 Depth=3
	v_bfe_u32 v1, v16, 23, 1
; %bb.12760:                            ;   in Loop: Header=BB6_10567 Depth=3
	s_or_b64 exec, exec, s[28:29]
	v_lshrrev_b64 v[3:4], 20, v[16:17]
	v_cmp_gt_i32_e32 vcc, 16, v1
	v_cndmask_b32_e32 v4, 0, v4, vcc
	v_cndmask_b32_e32 v3, 7, v3, vcc
	v_cmp_eq_u32_e32 vcc, 0, v1
	v_min_i32_e32 v1, 15, v1
	v_cmp_eq_u64_e64 s[28:29], 0, v[3:4]
	v_lshlrev_b32_e32 v1, 3, v1
	v_and_b32_e32 v1, 0xf8, v1
	v_and_or_b32 v1, v3, 7, v1
	s_and_b64 s[28:29], vcc, s[28:29]
	v_cndmask_b32_e64 v1, v1, 0, s[28:29]
	v_or_b32_e32 v55, v1, v0
.LBB6_12761:                            ;   in Loop: Header=BB6_10567 Depth=3
	s_or_b64 exec, exec, s[36:37]
                                        ; implicit-def: $vgpr0
.LBB6_12762:                            ;   in Loop: Header=BB6_10567 Depth=3
	s_andn2_saveexec_b64 s[28:29], s[34:35]
; %bb.12763:                            ;   in Loop: Header=BB6_10567 Depth=3
	v_or_b32_e32 v55, 0x7e, v0
; %bb.12764:                            ;   in Loop: Header=BB6_10567 Depth=3
	s_or_b64 exec, exec, s[28:29]
                                        ; implicit-def: $vgpr1
.LBB6_12765:                            ;   in Loop: Header=BB6_10567 Depth=3
	s_andn2_saveexec_b64 s[28:29], s[30:31]
; %bb.12766:                            ;   in Loop: Header=BB6_10567 Depth=3
	v_or_b32_sdwa v55, v1, s86 dst_sel:DWORD dst_unused:UNUSED_PAD src0_sel:BYTE_3 src1_sel:DWORD
; %bb.12767:                            ;   in Loop: Header=BB6_10567 Depth=3
	s_or_b64 exec, exec, s[28:29]
	buffer_load_dword v0, off, s[0:3], s33 offset:252 ; 4-byte Folded Reload
	v_mov_b32_e32 v17, v51
	v_cmp_ne_u32_e32 vcc, 0, v59
	s_waitcnt vmcnt(0)
	v_lshlrev_b32_e32 v1, 24, v0
	buffer_load_dword v0, off, s[0:3], s33 offset:232 ; 4-byte Folded Reload
	s_waitcnt vmcnt(0)
	v_lshlrev_b32_e32 v3, 16, v0
	buffer_load_dword v0, off, s[0:3], s33 offset:216 ; 4-byte Folded Reload
	s_waitcnt vmcnt(0)
	v_lshl_or_b32 v0, v0, 8, v59
	v_or3_b32 v16, v3, v1, v0
	v_mov_b32_e32 v3, 0
	v_mov_b32_e32 v1, 0
	s_and_saveexec_b64 s[28:29], vcc
	s_cbranch_execz .LBB6_12773
; %bb.12768:                            ;   in Loop: Header=BB6_10567 Depth=3
	v_cmp_ne_u32_e32 vcc, s96, v59
	v_bfrev_b32_e32 v1, 1
	s_and_saveexec_b64 s[30:31], vcc
	s_cbranch_execz .LBB6_12772
; %bb.12769:                            ;   in Loop: Header=BB6_10567 Depth=3
	v_and_b32_e32 v4, 0x7f, v59
	v_cmp_ne_u32_e32 vcc, s86, v4
	v_mov_b32_e32 v1, 0x7f800001
	s_and_saveexec_b64 s[34:35], vcc
	s_cbranch_execz .LBB6_12771
; %bb.12770:                            ;   in Loop: Header=BB6_10567 Depth=3
	v_and_b32_e32 v1, 7, v59
	v_ffbh_u32_e32 v1, v1
	v_min_u32_e32 v1, 32, v1
	v_lshrrev_b32_e32 v5, 3, v4
	v_cmp_gt_u32_e32 vcc, 8, v4
	v_subrev_u32_e32 v4, 28, v1
	v_sub_u32_e32 v1, 29, v1
	v_cndmask_b32_e32 v4, 0, v4, vcc
	v_cndmask_b32_e32 v1, v5, v1, vcc
	v_lshlrev_b64 v[4:5], v4, v[16:17]
	v_lshlrev_b32_e32 v5, 24, v16
	v_lshlrev_b32_e32 v4, 20, v4
	v_bfrev_b32_e32 v6, 60
	v_and_b32_e32 v4, 0x700000, v4
	v_and_b32_e32 v5, 0x80000000, v5
	v_lshl_add_u32 v1, v1, 23, v6
	v_or3_b32 v1, v5, v1, v4
.LBB6_12771:                            ;   in Loop: Header=BB6_10567 Depth=3
	s_or_b64 exec, exec, s[34:35]
.LBB6_12772:                            ;   in Loop: Header=BB6_10567 Depth=3
	s_or_b64 exec, exec, s[30:31]
.LBB6_12773:                            ;   in Loop: Header=BB6_10567 Depth=3
	s_or_b64 exec, exec, s[28:29]
	v_cmp_ne_u16_sdwa vcc, v19, v51 src0_sel:BYTE_0 src1_sel:DWORD
	s_and_saveexec_b64 s[28:29], vcc
	s_cbranch_execz .LBB6_12779
; %bb.12774:                            ;   in Loop: Header=BB6_10567 Depth=3
	v_cmp_ne_u16_sdwa vcc, v19, s96 src0_sel:BYTE_0 src1_sel:DWORD
	v_bfrev_b32_e32 v3, 1
	s_and_saveexec_b64 s[30:31], vcc
	s_cbranch_execz .LBB6_12778
; %bb.12775:                            ;   in Loop: Header=BB6_10567 Depth=3
	v_and_b32_e32 v4, 0x7f, v19
	v_cmp_ne_u32_e32 vcc, s86, v4
	v_mov_b32_e32 v3, 0x7f800001
	s_and_saveexec_b64 s[34:35], vcc
	s_cbranch_execz .LBB6_12777
; %bb.12776:                            ;   in Loop: Header=BB6_10567 Depth=3
	v_and_b32_e32 v3, 7, v19
	v_ffbh_u32_e32 v3, v3
	v_min_u32_e32 v3, 32, v3
	v_lshrrev_b32_e32 v17, 3, v4
	v_cmp_gt_u32_e32 vcc, 8, v4
	v_subrev_u32_e32 v4, 28, v3
	v_sub_u32_e32 v3, 29, v3
	v_mov_b32_e32 v5, v19
	v_mov_b32_e32 v6, v51
	v_cndmask_b32_e32 v17, v17, v3, vcc
	v_cndmask_b32_e32 v3, 0, v4, vcc
	v_lshlrev_b64 v[3:4], v3, v[5:6]
	v_lshlrev_b32_e32 v4, 24, v5
	v_lshlrev_b32_e32 v3, 20, v3
	v_bfrev_b32_e32 v5, 60
	v_and_b32_e32 v3, 0x700000, v3
	v_and_b32_e32 v4, 0x80000000, v4
	v_lshl_add_u32 v5, v17, 23, v5
	v_or3_b32 v3, v4, v5, v3
.LBB6_12777:                            ;   in Loop: Header=BB6_10567 Depth=3
	s_or_b64 exec, exec, s[34:35]
.LBB6_12778:                            ;   in Loop: Header=BB6_10567 Depth=3
	s_or_b64 exec, exec, s[30:31]
.LBB6_12779:                            ;   in Loop: Header=BB6_10567 Depth=3
	s_or_b64 exec, exec, s[28:29]
	v_add_f32_e32 v3, v1, v3
	v_and_b32_e32 v4, 0x7f800000, v3
	v_mov_b32_e32 v5, v51
	v_cmp_ne_u64_e32 vcc, s[76:77], v[4:5]
                                        ; implicit-def: $vgpr40
	s_and_saveexec_b64 s[28:29], vcc
	s_xor_b64 s[30:31], exec, s[28:29]
	s_cbranch_execz .LBB6_12793
; %bb.12780:                            ;   in Loop: Header=BB6_10567 Depth=3
	v_and_b32_e32 v4, 0x7fffffff, v3
	v_mov_b32_e32 v5, v51
	v_cmp_gt_u64_e32 vcc, s[78:79], v[4:5]
	v_and_b32_sdwa v1, v3, s96 dst_sel:DWORD dst_unused:UNUSED_PAD src0_sel:BYTE_3 src1_sel:DWORD
                                        ; implicit-def: $vgpr40
	s_and_saveexec_b64 s[28:29], vcc
	s_xor_b64 s[34:35], exec, s[28:29]
	s_cbranch_execz .LBB6_12790
; %bb.12781:                            ;   in Loop: Header=BB6_10567 Depth=3
	v_mov_b32_e32 v40, 0
	v_cmp_ne_u32_e32 vcc, 0, v3
	s_and_saveexec_b64 s[36:37], vcc
	s_cbranch_execz .LBB6_12789
; %bb.12782:                            ;   in Loop: Header=BB6_10567 Depth=3
	v_and_b32_e32 v4, 0x7fffff, v3
	v_bfe_u32 v3, v3, 23, 8
	v_cmp_gt_u32_e64 s[28:29], s97, v3
	v_sub_u32_e32 v5, 0x79, v3
	v_cmp_eq_u32_e32 vcc, 0, v3
	v_cndmask_b32_e64 v5, 0, v5, s[28:29]
	v_mov_b32_e32 v6, 0x78
	v_or_b32_e32 v17, 0x800000, v4
	v_cndmask_b32_e32 v6, v5, v6, vcc
	v_cndmask_b32_e32 v4, v17, v4, vcc
	v_add_u32_e32 v17, 20, v6
	v_lshlrev_b64 v[20:21], v17, -1
	v_add_u32_e32 v17, 19, v6
	v_lshlrev_b64 v[23:24], v17, 1
	v_mov_b32_e32 v5, v51
	v_bfi_b32 v21, v21, 0, 0
	v_bfi_b32 v20, v20, 0, v4
	v_cmp_eq_u64_e64 s[28:29], v[20:21], v[23:24]
	v_lshrrev_b64 v[20:21], v6, v[4:5]
	v_mov_b32_e32 v4, v20
	v_mov_b32_e32 v5, v21
	s_and_saveexec_b64 s[38:39], s[28:29]
; %bb.12783:                            ;   in Loop: Header=BB6_10567 Depth=3
	v_bfe_u32 v4, v20, 20, 1
	v_add_co_u32_e64 v4, s[28:29], v20, v4
	v_add_co_u32_e64 v4, s[28:29], -1, v4
; %bb.12784:                            ;   in Loop: Header=BB6_10567 Depth=3
	s_or_b64 exec, exec, s[38:39]
	v_add_u32_e32 v3, 0xffffff81, v3
	v_mov_b32_e32 v5, 0xffffff82
	v_cndmask_b32_e32 v3, v3, v5, vcc
	v_lshrrev_b32_e32 v5, 23, v20
	v_add3_u32 v6, v6, v3, v5
	v_add_u32_e32 v5, 6, v6
	v_and_b32_e32 v3, 0xfffff, v4
	v_add_u32_e32 v20, v3, v20
	v_mov_b32_e32 v21, v51
	v_cmp_ne_u32_e32 vcc, 0, v5
                                        ; implicit-def: $vgpr3
	s_and_saveexec_b64 s[28:29], vcc
	s_xor_b64 s[28:29], exec, s[28:29]
; %bb.12785:                            ;   in Loop: Header=BB6_10567 Depth=3
	v_cmp_lt_u64_e32 vcc, s[88:89], v[20:21]
	v_add_u32_e32 v3, 7, v6
	v_cndmask_b32_e64 v4, 0, 1, vcc
	v_lshrrev_b64 v[20:21], v4, v[20:21]
	v_cndmask_b32_e32 v3, v5, v3, vcc
; %bb.12786:                            ;   in Loop: Header=BB6_10567 Depth=3
	s_andn2_saveexec_b64 s[28:29], s[28:29]
; %bb.12787:                            ;   in Loop: Header=BB6_10567 Depth=3
	v_bfe_u32 v3, v20, 23, 1
; %bb.12788:                            ;   in Loop: Header=BB6_10567 Depth=3
	s_or_b64 exec, exec, s[28:29]
	v_lshrrev_b64 v[4:5], 20, v[20:21]
	v_cmp_gt_i32_e32 vcc, 16, v3
	v_cndmask_b32_e32 v5, 0, v5, vcc
	v_cndmask_b32_e32 v4, 7, v4, vcc
	v_cmp_eq_u32_e32 vcc, 0, v3
	v_min_i32_e32 v3, 15, v3
	v_cmp_eq_u64_e64 s[28:29], 0, v[4:5]
	v_lshlrev_b32_e32 v3, 3, v3
	v_and_b32_e32 v3, 0xf8, v3
	v_and_or_b32 v3, v4, 7, v3
	s_and_b64 s[28:29], vcc, s[28:29]
	v_cndmask_b32_e64 v3, v3, 0, s[28:29]
	v_or_b32_e32 v40, v3, v1
.LBB6_12789:                            ;   in Loop: Header=BB6_10567 Depth=3
	s_or_b64 exec, exec, s[36:37]
                                        ; implicit-def: $vgpr1
.LBB6_12790:                            ;   in Loop: Header=BB6_10567 Depth=3
	s_andn2_saveexec_b64 s[28:29], s[34:35]
; %bb.12791:                            ;   in Loop: Header=BB6_10567 Depth=3
	v_or_b32_e32 v40, 0x7e, v1
; %bb.12792:                            ;   in Loop: Header=BB6_10567 Depth=3
	s_or_b64 exec, exec, s[28:29]
                                        ; implicit-def: $vgpr3
.LBB6_12793:                            ;   in Loop: Header=BB6_10567 Depth=3
	s_andn2_saveexec_b64 s[28:29], s[30:31]
; %bb.12794:                            ;   in Loop: Header=BB6_10567 Depth=3
	v_or_b32_sdwa v40, v3, s86 dst_sel:DWORD dst_unused:UNUSED_PAD src0_sel:BYTE_3 src1_sel:DWORD
; %bb.12795:                            ;   in Loop: Header=BB6_10567 Depth=3
	s_or_b64 exec, exec, s[28:29]
	v_lshrrev_b16_e32 v17, 8, v0
	v_cmp_ne_u16_e32 vcc, 0, v17
	v_mov_b32_e32 v1, 0
	v_mov_b32_e32 v3, 0
	s_and_saveexec_b64 s[28:29], vcc
	s_cbranch_execz .LBB6_12801
; %bb.12796:                            ;   in Loop: Header=BB6_10567 Depth=3
	v_cmp_ne_u16_e32 vcc, s96, v17
	v_bfrev_b32_e32 v3, 1
	s_and_saveexec_b64 s[30:31], vcc
	s_cbranch_execz .LBB6_12800
; %bb.12797:                            ;   in Loop: Header=BB6_10567 Depth=3
	v_and_b32_e32 v4, 0x7f, v17
	v_cmp_ne_u32_e32 vcc, s86, v4
	v_mov_b32_e32 v3, 0x7f800001
	s_and_saveexec_b64 s[34:35], vcc
	s_cbranch_execz .LBB6_12799
; %bb.12798:                            ;   in Loop: Header=BB6_10567 Depth=3
	v_and_b32_e32 v5, 7, v17
	v_ffbh_u32_e32 v3, v5
	v_min_u32_e32 v20, 32, v3
	v_subrev_u32_e32 v3, 28, v20
	v_lshrrev_b32_e32 v6, 3, v4
	v_cmp_gt_u32_e32 vcc, 8, v4
	v_lshlrev_b64 v[3:4], v3, v[17:18]
	v_sub_u32_e32 v4, 29, v20
	v_and_b32_e32 v3, 7, v3
	v_cndmask_b32_e32 v4, v6, v4, vcc
	v_cndmask_b32_e32 v3, v5, v3, vcc
	v_lshlrev_b32_e32 v0, 16, v0
	v_bfrev_b32_e32 v5, 60
	v_lshlrev_b32_e32 v3, 20, v3
	v_and_b32_e32 v0, 0x80000000, v0
	v_lshl_add_u32 v4, v4, 23, v5
	v_or3_b32 v3, v0, v4, v3
.LBB6_12799:                            ;   in Loop: Header=BB6_10567 Depth=3
	s_or_b64 exec, exec, s[34:35]
.LBB6_12800:                            ;   in Loop: Header=BB6_10567 Depth=3
	s_or_b64 exec, exec, s[30:31]
.LBB6_12801:                            ;   in Loop: Header=BB6_10567 Depth=3
	s_or_b64 exec, exec, s[28:29]
	v_lshrrev_b16_e32 v17, 8, v19
	v_cmp_ne_u16_e32 vcc, 0, v17
	s_and_saveexec_b64 s[28:29], vcc
	s_cbranch_execz .LBB6_12807
; %bb.12802:                            ;   in Loop: Header=BB6_10567 Depth=3
	v_cmp_ne_u16_e32 vcc, s96, v17
	v_bfrev_b32_e32 v1, 1
	s_and_saveexec_b64 s[30:31], vcc
	s_cbranch_execz .LBB6_12806
; %bb.12803:                            ;   in Loop: Header=BB6_10567 Depth=3
	v_and_b32_e32 v0, 0x7f, v17
	v_cmp_ne_u32_e32 vcc, s86, v0
	v_mov_b32_e32 v1, 0x7f800001
	s_and_saveexec_b64 s[34:35], vcc
	s_cbranch_execz .LBB6_12805
; %bb.12804:                            ;   in Loop: Header=BB6_10567 Depth=3
	v_and_b32_e32 v4, 7, v17
	v_lshrrev_b32_e32 v5, 3, v0
	v_cmp_gt_u32_e32 vcc, 8, v0
	v_ffbh_u32_e32 v0, v4
	v_min_u32_e32 v6, 32, v0
	v_subrev_u32_e32 v0, 28, v6
	v_lshlrev_b64 v[0:1], v0, v[17:18]
	v_sub_u32_e32 v1, 29, v6
	v_and_b32_e32 v0, 7, v0
	v_cndmask_b32_e32 v1, v5, v1, vcc
	v_cndmask_b32_e32 v0, v4, v0, vcc
	v_lshlrev_b32_e32 v4, 16, v19
	v_bfrev_b32_e32 v5, 60
	v_lshlrev_b32_e32 v0, 20, v0
	v_and_b32_e32 v4, 0x80000000, v4
	v_lshl_add_u32 v1, v1, 23, v5
	v_or3_b32 v1, v4, v1, v0
.LBB6_12805:                            ;   in Loop: Header=BB6_10567 Depth=3
	s_or_b64 exec, exec, s[34:35]
.LBB6_12806:                            ;   in Loop: Header=BB6_10567 Depth=3
	s_or_b64 exec, exec, s[30:31]
.LBB6_12807:                            ;   in Loop: Header=BB6_10567 Depth=3
	s_or_b64 exec, exec, s[28:29]
	v_add_f32_e32 v1, v3, v1
	v_and_b32_e32 v3, 0x7f800000, v1
	v_mov_b32_e32 v4, v51
	v_cmp_ne_u64_e32 vcc, s[76:77], v[3:4]
                                        ; implicit-def: $vgpr41
	s_and_saveexec_b64 s[28:29], vcc
	s_xor_b64 s[30:31], exec, s[28:29]
	s_cbranch_execz .LBB6_12821
; %bb.12808:                            ;   in Loop: Header=BB6_10567 Depth=3
	v_and_b32_e32 v3, 0x7fffffff, v1
	v_mov_b32_e32 v4, v51
	v_cmp_gt_u64_e32 vcc, s[78:79], v[3:4]
	v_and_b32_sdwa v0, v1, s96 dst_sel:DWORD dst_unused:UNUSED_PAD src0_sel:BYTE_3 src1_sel:DWORD
                                        ; implicit-def: $vgpr41
	s_and_saveexec_b64 s[28:29], vcc
	s_xor_b64 s[34:35], exec, s[28:29]
	s_cbranch_execz .LBB6_12818
; %bb.12809:                            ;   in Loop: Header=BB6_10567 Depth=3
	v_mov_b32_e32 v41, 0
	v_cmp_ne_u32_e32 vcc, 0, v1
	s_and_saveexec_b64 s[36:37], vcc
	s_cbranch_execz .LBB6_12817
; %bb.12810:                            ;   in Loop: Header=BB6_10567 Depth=3
	v_and_b32_e32 v4, 0x7fffff, v1
	v_bfe_u32 v1, v1, 23, 8
	v_cmp_gt_u32_e64 s[28:29], s97, v1
	v_sub_u32_e32 v3, 0x79, v1
	v_cmp_eq_u32_e32 vcc, 0, v1
	v_cndmask_b32_e64 v3, 0, v3, s[28:29]
	v_mov_b32_e32 v6, 0x78
	v_cndmask_b32_e32 v3, v3, v6, vcc
	v_add_u32_e32 v6, 20, v3
	v_or_b32_e32 v5, 0x800000, v4
	v_lshlrev_b64 v[20:21], v6, -1
	v_add_u32_e32 v6, 19, v3
	v_cndmask_b32_e32 v4, v5, v4, vcc
	v_lshlrev_b64 v[23:24], v6, 1
	v_mov_b32_e32 v5, v51
	v_bfi_b32 v21, v21, 0, 0
	v_bfi_b32 v20, v20, 0, v4
	v_cmp_eq_u64_e64 s[28:29], v[20:21], v[23:24]
	v_lshrrev_b64 v[20:21], v3, v[4:5]
	v_mov_b32_e32 v4, v20
	v_mov_b32_e32 v5, v21
	s_and_saveexec_b64 s[38:39], s[28:29]
; %bb.12811:                            ;   in Loop: Header=BB6_10567 Depth=3
	v_bfe_u32 v4, v20, 20, 1
	v_add_co_u32_e64 v4, s[28:29], v20, v4
	v_add_co_u32_e64 v4, s[28:29], -1, v4
; %bb.12812:                            ;   in Loop: Header=BB6_10567 Depth=3
	s_or_b64 exec, exec, s[38:39]
	v_add_u32_e32 v1, 0xffffff81, v1
	v_mov_b32_e32 v5, 0xffffff82
	v_cndmask_b32_e32 v1, v1, v5, vcc
	v_lshrrev_b32_e32 v5, 23, v20
	v_add3_u32 v5, v3, v1, v5
	v_add_u32_e32 v3, 6, v5
	v_and_b32_e32 v1, 0xfffff, v4
	v_add_u32_e32 v20, v1, v20
	v_mov_b32_e32 v21, v51
	v_cmp_ne_u32_e32 vcc, 0, v3
                                        ; implicit-def: $vgpr1
	s_and_saveexec_b64 s[28:29], vcc
	s_xor_b64 s[28:29], exec, s[28:29]
; %bb.12813:                            ;   in Loop: Header=BB6_10567 Depth=3
	v_cmp_lt_u64_e32 vcc, s[88:89], v[20:21]
	v_add_u32_e32 v1, 7, v5
	v_cndmask_b32_e32 v1, v3, v1, vcc
	v_cndmask_b32_e64 v3, 0, 1, vcc
	v_lshrrev_b64 v[20:21], v3, v[20:21]
; %bb.12814:                            ;   in Loop: Header=BB6_10567 Depth=3
	s_andn2_saveexec_b64 s[28:29], s[28:29]
; %bb.12815:                            ;   in Loop: Header=BB6_10567 Depth=3
	v_bfe_u32 v1, v20, 23, 1
; %bb.12816:                            ;   in Loop: Header=BB6_10567 Depth=3
	s_or_b64 exec, exec, s[28:29]
	v_lshrrev_b64 v[3:4], 20, v[20:21]
	v_cmp_gt_i32_e32 vcc, 16, v1
	v_cndmask_b32_e32 v4, 0, v4, vcc
	v_cndmask_b32_e32 v3, 7, v3, vcc
	v_cmp_eq_u32_e32 vcc, 0, v1
	v_min_i32_e32 v1, 15, v1
	v_cmp_eq_u64_e64 s[28:29], 0, v[3:4]
	v_lshlrev_b32_e32 v1, 3, v1
	v_and_b32_e32 v1, 0xf8, v1
	v_and_or_b32 v1, v3, 7, v1
	s_and_b64 s[28:29], vcc, s[28:29]
	v_cndmask_b32_e64 v1, v1, 0, s[28:29]
	v_or_b32_e32 v41, v1, v0
.LBB6_12817:                            ;   in Loop: Header=BB6_10567 Depth=3
	s_or_b64 exec, exec, s[36:37]
                                        ; implicit-def: $vgpr0
.LBB6_12818:                            ;   in Loop: Header=BB6_10567 Depth=3
	s_andn2_saveexec_b64 s[28:29], s[34:35]
; %bb.12819:                            ;   in Loop: Header=BB6_10567 Depth=3
	v_or_b32_e32 v41, 0x7e, v0
; %bb.12820:                            ;   in Loop: Header=BB6_10567 Depth=3
	s_or_b64 exec, exec, s[28:29]
                                        ; implicit-def: $vgpr1
.LBB6_12821:                            ;   in Loop: Header=BB6_10567 Depth=3
	s_andn2_saveexec_b64 s[28:29], s[30:31]
; %bb.12822:                            ;   in Loop: Header=BB6_10567 Depth=3
	v_or_b32_sdwa v41, v1, s86 dst_sel:DWORD dst_unused:UNUSED_PAD src0_sel:BYTE_3 src1_sel:DWORD
; %bb.12823:                            ;   in Loop: Header=BB6_10567 Depth=3
	s_or_b64 exec, exec, s[28:29]
	v_lshrrev_b32_e32 v17, 16, v16
	v_cmp_ne_u16_sdwa vcc, v17, v51 src0_sel:BYTE_0 src1_sel:DWORD
	v_mov_b32_e32 v0, 0
	v_mov_b32_e32 v1, 0
	s_and_saveexec_b64 s[28:29], vcc
	s_cbranch_execz .LBB6_12829
; %bb.12824:                            ;   in Loop: Header=BB6_10567 Depth=3
	v_cmp_ne_u16_sdwa vcc, v17, s96 src0_sel:BYTE_0 src1_sel:DWORD
	v_bfrev_b32_e32 v1, 1
	s_and_saveexec_b64 s[30:31], vcc
	s_cbranch_execz .LBB6_12828
; %bb.12825:                            ;   in Loop: Header=BB6_10567 Depth=3
	v_bfe_u32 v3, v16, 16, 7
	v_cmp_ne_u32_e32 vcc, s86, v3
	v_mov_b32_e32 v1, 0x7f800001
	s_and_saveexec_b64 s[34:35], vcc
	s_cbranch_execz .LBB6_12827
; %bb.12826:                            ;   in Loop: Header=BB6_10567 Depth=3
	v_and_b32_e32 v1, 7, v17
	v_lshrrev_b32_e32 v5, 3, v3
	v_cmp_gt_u32_e32 vcc, 8, v3
	v_ffbh_u32_e32 v3, v1
	v_min_u32_e32 v6, 32, v3
	v_subrev_u32_e32 v3, 28, v6
	v_lshlrev_b64 v[3:4], v3, v[17:18]
	v_sub_u32_e32 v4, 29, v6
	v_and_b32_e32 v3, 7, v3
	v_cndmask_b32_e32 v4, v5, v4, vcc
	v_cndmask_b32_e32 v1, v1, v3, vcc
	v_lshlrev_b32_e32 v3, 24, v17
	v_bfrev_b32_e32 v5, 60
	v_lshlrev_b32_e32 v1, 20, v1
	v_and_b32_e32 v3, 0x80000000, v3
	v_lshl_add_u32 v4, v4, 23, v5
	v_or3_b32 v1, v3, v4, v1
.LBB6_12827:                            ;   in Loop: Header=BB6_10567 Depth=3
	s_or_b64 exec, exec, s[34:35]
.LBB6_12828:                            ;   in Loop: Header=BB6_10567 Depth=3
	s_or_b64 exec, exec, s[30:31]
.LBB6_12829:                            ;   in Loop: Header=BB6_10567 Depth=3
	s_or_b64 exec, exec, s[28:29]
	v_lshrrev_b32_e32 v17, 16, v19
	v_cmp_ne_u16_sdwa vcc, v17, v51 src0_sel:BYTE_0 src1_sel:DWORD
	s_and_saveexec_b64 s[28:29], vcc
	s_cbranch_execz .LBB6_12835
; %bb.12830:                            ;   in Loop: Header=BB6_10567 Depth=3
	v_cmp_ne_u16_sdwa vcc, v17, s96 src0_sel:BYTE_0 src1_sel:DWORD
	v_bfrev_b32_e32 v0, 1
	s_and_saveexec_b64 s[30:31], vcc
	s_cbranch_execz .LBB6_12834
; %bb.12831:                            ;   in Loop: Header=BB6_10567 Depth=3
	v_bfe_u32 v3, v19, 16, 7
	v_cmp_ne_u32_e32 vcc, s86, v3
	v_mov_b32_e32 v0, 0x7f800001
	s_and_saveexec_b64 s[34:35], vcc
	s_cbranch_execz .LBB6_12833
; %bb.12832:                            ;   in Loop: Header=BB6_10567 Depth=3
	v_and_b32_e32 v0, 7, v17
	v_lshrrev_b32_e32 v5, 3, v3
	v_cmp_gt_u32_e32 vcc, 8, v3
	v_ffbh_u32_e32 v3, v0
	v_min_u32_e32 v6, 32, v3
	v_subrev_u32_e32 v3, 28, v6
	v_lshlrev_b64 v[3:4], v3, v[17:18]
	v_sub_u32_e32 v4, 29, v6
	v_and_b32_e32 v3, 7, v3
	v_cndmask_b32_e32 v4, v5, v4, vcc
	v_cndmask_b32_e32 v0, v0, v3, vcc
	v_lshlrev_b32_e32 v3, 8, v19
	v_bfrev_b32_e32 v5, 60
	v_lshlrev_b32_e32 v0, 20, v0
	v_and_b32_e32 v3, 0x80000000, v3
	v_lshl_add_u32 v4, v4, 23, v5
	v_or3_b32 v0, v3, v4, v0
.LBB6_12833:                            ;   in Loop: Header=BB6_10567 Depth=3
	s_or_b64 exec, exec, s[34:35]
.LBB6_12834:                            ;   in Loop: Header=BB6_10567 Depth=3
	s_or_b64 exec, exec, s[30:31]
.LBB6_12835:                            ;   in Loop: Header=BB6_10567 Depth=3
	s_or_b64 exec, exec, s[28:29]
	v_add_f32_e32 v1, v1, v0
	v_and_b32_e32 v3, 0x7f800000, v1
	v_mov_b32_e32 v4, v51
	v_cmp_ne_u64_e32 vcc, s[76:77], v[3:4]
                                        ; implicit-def: $vgpr20
	s_and_saveexec_b64 s[28:29], vcc
	s_xor_b64 s[30:31], exec, s[28:29]
	s_cbranch_execz .LBB6_12849
; %bb.12836:                            ;   in Loop: Header=BB6_10567 Depth=3
	v_and_b32_e32 v3, 0x7fffffff, v1
	v_mov_b32_e32 v4, v51
	v_cmp_gt_u64_e32 vcc, s[78:79], v[3:4]
	v_and_b32_sdwa v0, v1, s96 dst_sel:DWORD dst_unused:UNUSED_PAD src0_sel:BYTE_3 src1_sel:DWORD
                                        ; implicit-def: $vgpr20
	s_and_saveexec_b64 s[28:29], vcc
	s_xor_b64 s[34:35], exec, s[28:29]
	s_cbranch_execz .LBB6_12846
; %bb.12837:                            ;   in Loop: Header=BB6_10567 Depth=3
	v_mov_b32_e32 v20, 0
	v_cmp_ne_u32_e32 vcc, 0, v1
	s_and_saveexec_b64 s[36:37], vcc
	s_cbranch_execz .LBB6_12845
; %bb.12838:                            ;   in Loop: Header=BB6_10567 Depth=3
	v_and_b32_e32 v4, 0x7fffff, v1
	v_bfe_u32 v1, v1, 23, 8
	v_cmp_gt_u32_e64 s[28:29], s97, v1
	v_sub_u32_e32 v3, 0x79, v1
	v_cmp_eq_u32_e32 vcc, 0, v1
	v_cndmask_b32_e64 v3, 0, v3, s[28:29]
	v_mov_b32_e32 v6, 0x78
	v_cndmask_b32_e32 v3, v3, v6, vcc
	v_add_u32_e32 v6, 20, v3
	v_or_b32_e32 v5, 0x800000, v4
	v_lshlrev_b64 v[20:21], v6, -1
	v_add_u32_e32 v6, 19, v3
	v_cndmask_b32_e32 v4, v5, v4, vcc
	v_lshlrev_b64 v[23:24], v6, 1
	v_mov_b32_e32 v5, v51
	v_bfi_b32 v21, v21, 0, 0
	v_bfi_b32 v20, v20, 0, v4
	v_cmp_eq_u64_e64 s[28:29], v[20:21], v[23:24]
	v_lshrrev_b64 v[20:21], v3, v[4:5]
	v_mov_b32_e32 v4, v20
	v_mov_b32_e32 v5, v21
	s_and_saveexec_b64 s[38:39], s[28:29]
; %bb.12839:                            ;   in Loop: Header=BB6_10567 Depth=3
	v_bfe_u32 v4, v20, 20, 1
	v_add_co_u32_e64 v4, s[28:29], v20, v4
	v_add_co_u32_e64 v4, s[28:29], -1, v4
; %bb.12840:                            ;   in Loop: Header=BB6_10567 Depth=3
	s_or_b64 exec, exec, s[38:39]
	v_add_u32_e32 v1, 0xffffff81, v1
	v_mov_b32_e32 v5, 0xffffff82
	v_cndmask_b32_e32 v1, v1, v5, vcc
	v_lshrrev_b32_e32 v5, 23, v20
	v_add3_u32 v5, v3, v1, v5
	v_add_u32_e32 v3, 6, v5
	v_and_b32_e32 v1, 0xfffff, v4
	v_add_u32_e32 v20, v1, v20
	v_mov_b32_e32 v21, v51
	v_cmp_ne_u32_e32 vcc, 0, v3
                                        ; implicit-def: $vgpr1
	s_and_saveexec_b64 s[28:29], vcc
	s_xor_b64 s[28:29], exec, s[28:29]
; %bb.12841:                            ;   in Loop: Header=BB6_10567 Depth=3
	v_cmp_lt_u64_e32 vcc, s[88:89], v[20:21]
	v_add_u32_e32 v1, 7, v5
	v_cndmask_b32_e32 v1, v3, v1, vcc
	v_cndmask_b32_e64 v3, 0, 1, vcc
	v_lshrrev_b64 v[20:21], v3, v[20:21]
; %bb.12842:                            ;   in Loop: Header=BB6_10567 Depth=3
	s_andn2_saveexec_b64 s[28:29], s[28:29]
; %bb.12843:                            ;   in Loop: Header=BB6_10567 Depth=3
	v_bfe_u32 v1, v20, 23, 1
; %bb.12844:                            ;   in Loop: Header=BB6_10567 Depth=3
	s_or_b64 exec, exec, s[28:29]
	v_lshrrev_b64 v[3:4], 20, v[20:21]
	v_cmp_gt_i32_e32 vcc, 16, v1
	v_cndmask_b32_e32 v4, 0, v4, vcc
	v_cndmask_b32_e32 v3, 7, v3, vcc
	v_cmp_eq_u32_e32 vcc, 0, v1
	v_min_i32_e32 v1, 15, v1
	v_cmp_eq_u64_e64 s[28:29], 0, v[3:4]
	v_lshlrev_b32_e32 v1, 3, v1
	v_and_b32_e32 v1, 0xf8, v1
	v_and_or_b32 v1, v3, 7, v1
	s_and_b64 s[28:29], vcc, s[28:29]
	v_cndmask_b32_e64 v1, v1, 0, s[28:29]
	v_or_b32_e32 v20, v1, v0
.LBB6_12845:                            ;   in Loop: Header=BB6_10567 Depth=3
	s_or_b64 exec, exec, s[36:37]
                                        ; implicit-def: $vgpr0
.LBB6_12846:                            ;   in Loop: Header=BB6_10567 Depth=3
	s_andn2_saveexec_b64 s[28:29], s[34:35]
; %bb.12847:                            ;   in Loop: Header=BB6_10567 Depth=3
	v_or_b32_e32 v20, 0x7e, v0
; %bb.12848:                            ;   in Loop: Header=BB6_10567 Depth=3
	s_or_b64 exec, exec, s[28:29]
                                        ; implicit-def: $vgpr1
.LBB6_12849:                            ;   in Loop: Header=BB6_10567 Depth=3
	s_andn2_saveexec_b64 s[28:29], s[30:31]
; %bb.12850:                            ;   in Loop: Header=BB6_10567 Depth=3
	v_or_b32_sdwa v20, v1, s86 dst_sel:DWORD dst_unused:UNUSED_PAD src0_sel:BYTE_3 src1_sel:DWORD
; %bb.12851:                            ;   in Loop: Header=BB6_10567 Depth=3
	s_or_b64 exec, exec, s[28:29]
	v_cmp_lt_u32_e32 vcc, s57, v16
	v_mov_b32_e32 v0, 0
	v_mov_b32_e32 v1, 0
	s_and_saveexec_b64 s[28:29], vcc
	s_cbranch_execz .LBB6_12857
; %bb.12852:                            ;   in Loop: Header=BB6_10567 Depth=3
	v_lshrrev_b32_e32 v17, 24, v16
	v_cmp_ne_u32_sdwa vcc, v16, s96 src0_sel:BYTE_3 src1_sel:DWORD
	v_bfrev_b32_e32 v1, 1
	s_and_saveexec_b64 s[30:31], vcc
	s_cbranch_execz .LBB6_12856
; %bb.12853:                            ;   in Loop: Header=BB6_10567 Depth=3
	v_bfe_u32 v3, v16, 24, 7
	v_cmp_ne_u32_e32 vcc, s86, v3
	v_mov_b32_e32 v1, 0x7f800001
	s_and_saveexec_b64 s[34:35], vcc
	s_cbranch_execz .LBB6_12855
; %bb.12854:                            ;   in Loop: Header=BB6_10567 Depth=3
	v_and_b32_e32 v1, 7, v17
	v_lshrrev_b32_e32 v5, 3, v3
	v_cmp_gt_u32_e32 vcc, 8, v3
	v_ffbh_u32_e32 v3, v1
	v_min_u32_e32 v6, 32, v3
	v_subrev_u32_e32 v3, 28, v6
	v_lshlrev_b64 v[3:4], v3, v[17:18]
	v_sub_u32_e32 v4, 29, v6
	v_and_b32_e32 v3, 7, v3
	v_cndmask_b32_e32 v1, v1, v3, vcc
	v_mov_b32_e32 v3, 24
	v_cndmask_b32_e32 v4, v5, v4, vcc
	v_lshlrev_b32_sdwa v3, v3, v16 dst_sel:DWORD dst_unused:UNUSED_PAD src0_sel:DWORD src1_sel:BYTE_3
	v_bfrev_b32_e32 v5, 60
	v_lshlrev_b32_e32 v1, 20, v1
	v_and_b32_e32 v3, 0x80000000, v3
	v_lshl_add_u32 v4, v4, 23, v5
	v_or3_b32 v1, v3, v4, v1
.LBB6_12855:                            ;   in Loop: Header=BB6_10567 Depth=3
	s_or_b64 exec, exec, s[34:35]
.LBB6_12856:                            ;   in Loop: Header=BB6_10567 Depth=3
	s_or_b64 exec, exec, s[30:31]
.LBB6_12857:                            ;   in Loop: Header=BB6_10567 Depth=3
	s_or_b64 exec, exec, s[28:29]
	v_cmp_lt_u64_e32 vcc, s[56:57], v[18:19]
	s_and_saveexec_b64 s[28:29], vcc
	s_cbranch_execz .LBB6_12863
; %bb.12858:                            ;   in Loop: Header=BB6_10567 Depth=3
	v_lshrrev_b32_e32 v16, 24, v19
	v_cmp_ne_u32_e32 vcc, s96, v16
	v_bfrev_b32_e32 v0, 1
	s_and_saveexec_b64 s[30:31], vcc
	s_cbranch_execz .LBB6_12862
; %bb.12859:                            ;   in Loop: Header=BB6_10567 Depth=3
	v_bfe_u32 v3, v19, 24, 7
	v_cmp_ne_u32_e32 vcc, s86, v3
	v_mov_b32_e32 v0, 0x7f800001
	s_and_saveexec_b64 s[34:35], vcc
	s_cbranch_execz .LBB6_12861
; %bb.12860:                            ;   in Loop: Header=BB6_10567 Depth=3
	v_and_b32_e32 v0, 7, v16
	v_lshrrev_b32_e32 v5, 3, v3
	v_cmp_gt_u32_e32 vcc, 8, v3
	v_ffbh_u32_e32 v3, v0
	v_min_u32_e32 v6, 32, v3
	v_subrev_u32_e32 v3, 28, v6
	v_lshlrev_b64 v[3:4], v3, v[16:17]
	v_sub_u32_e32 v4, 29, v6
	v_and_b32_e32 v3, 7, v3
	v_cndmask_b32_e32 v4, v5, v4, vcc
	v_cndmask_b32_e32 v0, v0, v3, vcc
	v_lshlrev_b32_e32 v3, 24, v16
	v_bfrev_b32_e32 v5, 60
	v_lshlrev_b32_e32 v0, 20, v0
	v_and_b32_e32 v3, 0x80000000, v3
	v_lshl_add_u32 v4, v4, 23, v5
	v_or3_b32 v0, v3, v4, v0
.LBB6_12861:                            ;   in Loop: Header=BB6_10567 Depth=3
	s_or_b64 exec, exec, s[34:35]
.LBB6_12862:                            ;   in Loop: Header=BB6_10567 Depth=3
	s_or_b64 exec, exec, s[30:31]
.LBB6_12863:                            ;   in Loop: Header=BB6_10567 Depth=3
	s_or_b64 exec, exec, s[28:29]
	v_add_f32_e32 v1, v1, v0
	v_and_b32_e32 v3, 0x7f800000, v1
	v_mov_b32_e32 v4, v51
	v_cmp_ne_u64_e32 vcc, s[76:77], v[3:4]
                                        ; implicit-def: $vgpr19
	s_and_saveexec_b64 s[28:29], vcc
	s_xor_b64 s[30:31], exec, s[28:29]
	s_cbranch_execz .LBB6_12877
; %bb.12864:                            ;   in Loop: Header=BB6_10567 Depth=3
	v_and_b32_e32 v3, 0x7fffffff, v1
	v_mov_b32_e32 v4, v51
	v_cmp_gt_u64_e32 vcc, s[78:79], v[3:4]
	v_and_b32_sdwa v0, v1, s96 dst_sel:DWORD dst_unused:UNUSED_PAD src0_sel:BYTE_3 src1_sel:DWORD
                                        ; implicit-def: $vgpr19
	s_and_saveexec_b64 s[28:29], vcc
	s_xor_b64 s[34:35], exec, s[28:29]
	s_cbranch_execz .LBB6_12874
; %bb.12865:                            ;   in Loop: Header=BB6_10567 Depth=3
	v_mov_b32_e32 v19, 0
	v_cmp_ne_u32_e32 vcc, 0, v1
	s_and_saveexec_b64 s[36:37], vcc
	s_cbranch_execz .LBB6_12873
; %bb.12866:                            ;   in Loop: Header=BB6_10567 Depth=3
	v_and_b32_e32 v4, 0x7fffff, v1
	v_bfe_u32 v1, v1, 23, 8
	v_cmp_gt_u32_e64 s[28:29], s97, v1
	v_sub_u32_e32 v3, 0x79, v1
	v_cmp_eq_u32_e32 vcc, 0, v1
	v_cndmask_b32_e64 v3, 0, v3, s[28:29]
	v_mov_b32_e32 v6, 0x78
	v_cndmask_b32_e32 v3, v3, v6, vcc
	v_add_u32_e32 v6, 20, v3
	v_or_b32_e32 v5, 0x800000, v4
	v_lshlrev_b64 v[16:17], v6, -1
	v_add_u32_e32 v6, 19, v3
	v_cndmask_b32_e32 v4, v5, v4, vcc
	v_lshlrev_b64 v[18:19], v6, 1
	v_mov_b32_e32 v5, v51
	v_bfi_b32 v17, v17, 0, 0
	v_bfi_b32 v16, v16, 0, v4
	v_cmp_eq_u64_e64 s[28:29], v[16:17], v[18:19]
	v_lshrrev_b64 v[16:17], v3, v[4:5]
	v_mov_b32_e32 v4, v16
	v_mov_b32_e32 v5, v17
	s_and_saveexec_b64 s[38:39], s[28:29]
; %bb.12867:                            ;   in Loop: Header=BB6_10567 Depth=3
	v_bfe_u32 v4, v16, 20, 1
	v_add_co_u32_e64 v4, s[28:29], v16, v4
	v_add_co_u32_e64 v4, s[28:29], -1, v4
; %bb.12868:                            ;   in Loop: Header=BB6_10567 Depth=3
	s_or_b64 exec, exec, s[38:39]
	v_add_u32_e32 v1, 0xffffff81, v1
	v_mov_b32_e32 v5, 0xffffff82
	v_cndmask_b32_e32 v1, v1, v5, vcc
	v_lshrrev_b32_e32 v5, 23, v16
	v_add3_u32 v5, v3, v1, v5
	v_add_u32_e32 v3, 6, v5
	v_and_b32_e32 v1, 0xfffff, v4
	v_add_u32_e32 v16, v1, v16
	v_mov_b32_e32 v17, v51
	v_cmp_ne_u32_e32 vcc, 0, v3
                                        ; implicit-def: $vgpr1
	s_and_saveexec_b64 s[28:29], vcc
	s_xor_b64 s[28:29], exec, s[28:29]
; %bb.12869:                            ;   in Loop: Header=BB6_10567 Depth=3
	v_cmp_lt_u64_e32 vcc, s[88:89], v[16:17]
	v_add_u32_e32 v1, 7, v5
	v_cndmask_b32_e32 v1, v3, v1, vcc
	v_cndmask_b32_e64 v3, 0, 1, vcc
	v_lshrrev_b64 v[16:17], v3, v[16:17]
; %bb.12870:                            ;   in Loop: Header=BB6_10567 Depth=3
	s_andn2_saveexec_b64 s[28:29], s[28:29]
; %bb.12871:                            ;   in Loop: Header=BB6_10567 Depth=3
	v_bfe_u32 v1, v16, 23, 1
; %bb.12872:                            ;   in Loop: Header=BB6_10567 Depth=3
	s_or_b64 exec, exec, s[28:29]
	v_lshrrev_b64 v[3:4], 20, v[16:17]
	v_cmp_gt_i32_e32 vcc, 16, v1
	v_cndmask_b32_e32 v4, 0, v4, vcc
	v_cndmask_b32_e32 v3, 7, v3, vcc
	v_cmp_eq_u32_e32 vcc, 0, v1
	v_min_i32_e32 v1, 15, v1
	v_cmp_eq_u64_e64 s[28:29], 0, v[3:4]
	v_lshlrev_b32_e32 v1, 3, v1
	v_and_b32_e32 v1, 0xf8, v1
	v_and_or_b32 v1, v3, 7, v1
	s_and_b64 s[28:29], vcc, s[28:29]
	v_cndmask_b32_e64 v1, v1, 0, s[28:29]
	v_or_b32_e32 v19, v1, v0
.LBB6_12873:                            ;   in Loop: Header=BB6_10567 Depth=3
	s_or_b64 exec, exec, s[36:37]
                                        ; implicit-def: $vgpr0
.LBB6_12874:                            ;   in Loop: Header=BB6_10567 Depth=3
	s_andn2_saveexec_b64 s[28:29], s[34:35]
; %bb.12875:                            ;   in Loop: Header=BB6_10567 Depth=3
	v_or_b32_e32 v19, 0x7e, v0
; %bb.12876:                            ;   in Loop: Header=BB6_10567 Depth=3
	s_or_b64 exec, exec, s[28:29]
                                        ; implicit-def: $vgpr1
.LBB6_12877:                            ;   in Loop: Header=BB6_10567 Depth=3
	s_andn2_saveexec_b64 s[28:29], s[30:31]
; %bb.12878:                            ;   in Loop: Header=BB6_10567 Depth=3
	v_or_b32_sdwa v19, v1, s86 dst_sel:DWORD dst_unused:UNUSED_PAD src0_sel:BYTE_3 src1_sel:DWORD
; %bb.12879:                            ;   in Loop: Header=BB6_10567 Depth=3
	s_or_b64 exec, exec, s[28:29]
	buffer_load_dword v0, off, s[0:3], s33 offset:200 ; 4-byte Folded Reload
	buffer_load_dword v1, off, s[0:3], s33 offset:220 ; 4-byte Folded Reload
	;; [unrolled: 1-line block ×3, first 2 shown]
	v_mov_b32_e32 v17, v51
	v_cmp_ne_u32_e32 vcc, 0, v36
	s_waitcnt vmcnt(2)
	v_lshl_or_b32 v0, v0, 8, v36
	s_waitcnt vmcnt(1)
	v_lshlrev_b32_e32 v1, 16, v1
	s_waitcnt vmcnt(0)
	v_lshlrev_b32_e32 v3, 24, v3
	v_or3_b32 v16, v1, v3, v0
	v_mov_b32_e32 v1, 0
	v_mov_b32_e32 v3, 0
	s_and_saveexec_b64 s[28:29], vcc
	s_cbranch_execz .LBB6_12885
; %bb.12880:                            ;   in Loop: Header=BB6_10567 Depth=3
	v_cmp_ne_u32_e32 vcc, s96, v36
	v_bfrev_b32_e32 v3, 1
	s_and_saveexec_b64 s[30:31], vcc
	s_cbranch_execz .LBB6_12884
; %bb.12881:                            ;   in Loop: Header=BB6_10567 Depth=3
	v_and_b32_e32 v4, 0x7f, v36
	v_cmp_ne_u32_e32 vcc, s86, v4
	v_mov_b32_e32 v3, 0x7f800001
	s_and_saveexec_b64 s[34:35], vcc
	s_cbranch_execz .LBB6_12883
; %bb.12882:                            ;   in Loop: Header=BB6_10567 Depth=3
	v_and_b32_e32 v3, 7, v36
	v_ffbh_u32_e32 v3, v3
	v_min_u32_e32 v3, 32, v3
	v_lshrrev_b32_e32 v5, 3, v4
	v_cmp_gt_u32_e32 vcc, 8, v4
	v_subrev_u32_e32 v4, 28, v3
	v_sub_u32_e32 v3, 29, v3
	v_cndmask_b32_e32 v5, v5, v3, vcc
	v_cndmask_b32_e32 v3, 0, v4, vcc
	v_lshlrev_b64 v[3:4], v3, v[16:17]
	v_lshlrev_b32_e32 v4, 24, v16
	v_lshlrev_b32_e32 v3, 20, v3
	v_bfrev_b32_e32 v6, 60
	v_and_b32_e32 v3, 0x700000, v3
	v_and_b32_e32 v4, 0x80000000, v4
	v_lshl_add_u32 v5, v5, 23, v6
	v_or3_b32 v3, v4, v5, v3
.LBB6_12883:                            ;   in Loop: Header=BB6_10567 Depth=3
	s_or_b64 exec, exec, s[34:35]
.LBB6_12884:                            ;   in Loop: Header=BB6_10567 Depth=3
	s_or_b64 exec, exec, s[30:31]
.LBB6_12885:                            ;   in Loop: Header=BB6_10567 Depth=3
	s_or_b64 exec, exec, s[28:29]
	v_cmp_ne_u16_sdwa vcc, v12, v51 src0_sel:BYTE_0 src1_sel:DWORD
	s_and_saveexec_b64 s[28:29], vcc
	s_cbranch_execz .LBB6_12891
; %bb.12886:                            ;   in Loop: Header=BB6_10567 Depth=3
	v_cmp_ne_u16_sdwa vcc, v12, s96 src0_sel:BYTE_0 src1_sel:DWORD
	v_bfrev_b32_e32 v1, 1
	s_and_saveexec_b64 s[30:31], vcc
	s_cbranch_execz .LBB6_12890
; %bb.12887:                            ;   in Loop: Header=BB6_10567 Depth=3
	v_and_b32_e32 v4, 0x7f, v12
	v_cmp_ne_u32_e32 vcc, s86, v4
	v_mov_b32_e32 v1, 0x7f800001
	s_and_saveexec_b64 s[34:35], vcc
	s_cbranch_execz .LBB6_12889
; %bb.12888:                            ;   in Loop: Header=BB6_10567 Depth=3
	v_and_b32_e32 v1, 7, v12
	v_ffbh_u32_e32 v1, v1
	v_min_u32_e32 v1, 32, v1
	v_lshrrev_b32_e32 v5, 3, v4
	v_cmp_gt_u32_e32 vcc, 8, v4
	v_subrev_u32_e32 v4, 28, v1
	v_sub_u32_e32 v1, 29, v1
	v_cndmask_b32_e32 v4, 0, v4, vcc
	v_cndmask_b32_e32 v1, v5, v1, vcc
	v_lshlrev_b64 v[4:5], v4, v[12:13]
	v_lshlrev_b32_e32 v5, 24, v12
	v_lshlrev_b32_e32 v4, 20, v4
	v_bfrev_b32_e32 v6, 60
	v_and_b32_e32 v4, 0x700000, v4
	v_and_b32_e32 v5, 0x80000000, v5
	v_lshl_add_u32 v1, v1, 23, v6
	v_or3_b32 v1, v5, v1, v4
.LBB6_12889:                            ;   in Loop: Header=BB6_10567 Depth=3
	s_or_b64 exec, exec, s[34:35]
.LBB6_12890:                            ;   in Loop: Header=BB6_10567 Depth=3
	s_or_b64 exec, exec, s[30:31]
.LBB6_12891:                            ;   in Loop: Header=BB6_10567 Depth=3
	s_or_b64 exec, exec, s[28:29]
	v_add_f32_e32 v3, v3, v1
	v_and_b32_e32 v4, 0x7f800000, v3
	v_mov_b32_e32 v5, v51
	v_cmp_ne_u64_e32 vcc, s[76:77], v[4:5]
                                        ; implicit-def: $vgpr21
	s_and_saveexec_b64 s[28:29], vcc
	s_xor_b64 s[30:31], exec, s[28:29]
	s_cbranch_execz .LBB6_12905
; %bb.12892:                            ;   in Loop: Header=BB6_10567 Depth=3
	v_and_b32_e32 v4, 0x7fffffff, v3
	v_mov_b32_e32 v5, v51
	v_cmp_gt_u64_e32 vcc, s[78:79], v[4:5]
	v_and_b32_sdwa v1, v3, s96 dst_sel:DWORD dst_unused:UNUSED_PAD src0_sel:BYTE_3 src1_sel:DWORD
                                        ; implicit-def: $vgpr21
	s_and_saveexec_b64 s[28:29], vcc
	s_xor_b64 s[34:35], exec, s[28:29]
	s_cbranch_execz .LBB6_12902
; %bb.12893:                            ;   in Loop: Header=BB6_10567 Depth=3
	v_mov_b32_e32 v21, 0
	v_cmp_ne_u32_e32 vcc, 0, v3
	s_and_saveexec_b64 s[36:37], vcc
	s_cbranch_execz .LBB6_12901
; %bb.12894:                            ;   in Loop: Header=BB6_10567 Depth=3
	v_and_b32_e32 v4, 0x7fffff, v3
	v_bfe_u32 v3, v3, 23, 8
	v_cmp_gt_u32_e64 s[28:29], s97, v3
	v_sub_u32_e32 v5, 0x79, v3
	v_cmp_eq_u32_e32 vcc, 0, v3
	v_cndmask_b32_e64 v5, 0, v5, s[28:29]
	v_mov_b32_e32 v6, 0x78
	v_or_b32_e32 v17, 0x800000, v4
	v_cndmask_b32_e32 v6, v5, v6, vcc
	v_cndmask_b32_e32 v4, v17, v4, vcc
	v_add_u32_e32 v17, 20, v6
	v_lshlrev_b64 v[17:18], v17, -1
	v_add_u32_e32 v21, 19, v6
	v_lshlrev_b64 v[23:24], v21, 1
	v_mov_b32_e32 v5, v51
	v_bfi_b32 v18, v18, 0, 0
	v_bfi_b32 v17, v17, 0, v4
	v_cmp_eq_u64_e64 s[28:29], v[17:18], v[23:24]
	v_lshrrev_b64 v[17:18], v6, v[4:5]
	v_mov_b32_e32 v4, v17
	v_mov_b32_e32 v5, v18
	s_and_saveexec_b64 s[38:39], s[28:29]
; %bb.12895:                            ;   in Loop: Header=BB6_10567 Depth=3
	v_bfe_u32 v4, v17, 20, 1
	v_add_co_u32_e64 v4, s[28:29], v17, v4
	v_add_co_u32_e64 v4, s[28:29], -1, v4
; %bb.12896:                            ;   in Loop: Header=BB6_10567 Depth=3
	s_or_b64 exec, exec, s[38:39]
	v_add_u32_e32 v3, 0xffffff81, v3
	v_mov_b32_e32 v5, 0xffffff82
	v_cndmask_b32_e32 v3, v3, v5, vcc
	v_lshrrev_b32_e32 v5, 23, v17
	v_add3_u32 v6, v6, v3, v5
	v_add_u32_e32 v5, 6, v6
	v_and_b32_e32 v3, 0xfffff, v4
	v_add_u32_e32 v17, v3, v17
	v_mov_b32_e32 v18, v51
	v_cmp_ne_u32_e32 vcc, 0, v5
                                        ; implicit-def: $vgpr3
	s_and_saveexec_b64 s[28:29], vcc
	s_xor_b64 s[28:29], exec, s[28:29]
; %bb.12897:                            ;   in Loop: Header=BB6_10567 Depth=3
	v_cmp_lt_u64_e32 vcc, s[88:89], v[17:18]
	v_add_u32_e32 v3, 7, v6
	v_cndmask_b32_e64 v4, 0, 1, vcc
	v_lshrrev_b64 v[17:18], v4, v[17:18]
	v_cndmask_b32_e32 v3, v5, v3, vcc
; %bb.12898:                            ;   in Loop: Header=BB6_10567 Depth=3
	s_andn2_saveexec_b64 s[28:29], s[28:29]
; %bb.12899:                            ;   in Loop: Header=BB6_10567 Depth=3
	v_bfe_u32 v3, v17, 23, 1
; %bb.12900:                            ;   in Loop: Header=BB6_10567 Depth=3
	s_or_b64 exec, exec, s[28:29]
	v_lshrrev_b64 v[4:5], 20, v[17:18]
	v_cmp_gt_i32_e32 vcc, 16, v3
	v_cndmask_b32_e32 v5, 0, v5, vcc
	v_cndmask_b32_e32 v4, 7, v4, vcc
	v_cmp_eq_u32_e32 vcc, 0, v3
	v_min_i32_e32 v3, 15, v3
	v_cmp_eq_u64_e64 s[28:29], 0, v[4:5]
	v_lshlrev_b32_e32 v3, 3, v3
	v_and_b32_e32 v3, 0xf8, v3
	v_and_or_b32 v3, v4, 7, v3
	s_and_b64 s[28:29], vcc, s[28:29]
	v_cndmask_b32_e64 v3, v3, 0, s[28:29]
	v_or_b32_e32 v21, v3, v1
.LBB6_12901:                            ;   in Loop: Header=BB6_10567 Depth=3
	s_or_b64 exec, exec, s[36:37]
                                        ; implicit-def: $vgpr1
.LBB6_12902:                            ;   in Loop: Header=BB6_10567 Depth=3
	s_andn2_saveexec_b64 s[28:29], s[34:35]
; %bb.12903:                            ;   in Loop: Header=BB6_10567 Depth=3
	v_or_b32_e32 v21, 0x7e, v1
; %bb.12904:                            ;   in Loop: Header=BB6_10567 Depth=3
	s_or_b64 exec, exec, s[28:29]
                                        ; implicit-def: $vgpr3
.LBB6_12905:                            ;   in Loop: Header=BB6_10567 Depth=3
	s_andn2_saveexec_b64 s[28:29], s[30:31]
; %bb.12906:                            ;   in Loop: Header=BB6_10567 Depth=3
	v_or_b32_sdwa v21, v3, s86 dst_sel:DWORD dst_unused:UNUSED_PAD src0_sel:BYTE_3 src1_sel:DWORD
; %bb.12907:                            ;   in Loop: Header=BB6_10567 Depth=3
	s_or_b64 exec, exec, s[28:29]
	v_lshrrev_b16_e32 v17, 8, v0
	v_cmp_ne_u16_e32 vcc, 0, v17
	v_mov_b32_e32 v1, 0
	v_mov_b32_e32 v3, 0
	s_and_saveexec_b64 s[28:29], vcc
	s_cbranch_execz .LBB6_12913
; %bb.12908:                            ;   in Loop: Header=BB6_10567 Depth=3
	v_cmp_ne_u16_e32 vcc, s96, v17
	v_bfrev_b32_e32 v3, 1
	s_and_saveexec_b64 s[30:31], vcc
	s_cbranch_execz .LBB6_12912
; %bb.12909:                            ;   in Loop: Header=BB6_10567 Depth=3
	v_and_b32_e32 v4, 0x7f, v17
	v_cmp_ne_u32_e32 vcc, s86, v4
	v_mov_b32_e32 v3, 0x7f800001
	s_and_saveexec_b64 s[34:35], vcc
	s_cbranch_execz .LBB6_12911
; %bb.12910:                            ;   in Loop: Header=BB6_10567 Depth=3
	v_and_b32_e32 v5, 7, v17
	v_ffbh_u32_e32 v3, v5
	v_min_u32_e32 v18, 32, v3
	v_subrev_u32_e32 v3, 28, v18
	v_lshrrev_b32_e32 v6, 3, v4
	v_cmp_gt_u32_e32 vcc, 8, v4
	v_lshlrev_b64 v[3:4], v3, v[17:18]
	v_sub_u32_e32 v4, 29, v18
	v_and_b32_e32 v3, 7, v3
	v_cndmask_b32_e32 v4, v6, v4, vcc
	v_cndmask_b32_e32 v3, v5, v3, vcc
	v_lshlrev_b32_e32 v0, 16, v0
	v_bfrev_b32_e32 v5, 60
	v_lshlrev_b32_e32 v3, 20, v3
	v_and_b32_e32 v0, 0x80000000, v0
	v_lshl_add_u32 v4, v4, 23, v5
	v_or3_b32 v3, v0, v4, v3
.LBB6_12911:                            ;   in Loop: Header=BB6_10567 Depth=3
	s_or_b64 exec, exec, s[34:35]
.LBB6_12912:                            ;   in Loop: Header=BB6_10567 Depth=3
	s_or_b64 exec, exec, s[30:31]
.LBB6_12913:                            ;   in Loop: Header=BB6_10567 Depth=3
	s_or_b64 exec, exec, s[28:29]
	v_lshrrev_b16_e32 v17, 8, v12
	v_cmp_ne_u16_e32 vcc, 0, v17
	s_and_saveexec_b64 s[28:29], vcc
	s_cbranch_execz .LBB6_12919
; %bb.12914:                            ;   in Loop: Header=BB6_10567 Depth=3
	v_cmp_ne_u16_e32 vcc, s96, v17
	v_bfrev_b32_e32 v1, 1
	s_and_saveexec_b64 s[30:31], vcc
	s_cbranch_execz .LBB6_12918
; %bb.12915:                            ;   in Loop: Header=BB6_10567 Depth=3
	v_and_b32_e32 v0, 0x7f, v17
	v_cmp_ne_u32_e32 vcc, s86, v0
	v_mov_b32_e32 v1, 0x7f800001
	s_and_saveexec_b64 s[34:35], vcc
	s_cbranch_execz .LBB6_12917
; %bb.12916:                            ;   in Loop: Header=BB6_10567 Depth=3
	v_and_b32_e32 v4, 7, v17
	v_lshrrev_b32_e32 v5, 3, v0
	v_cmp_gt_u32_e32 vcc, 8, v0
	v_ffbh_u32_e32 v0, v4
	v_min_u32_e32 v6, 32, v0
	v_subrev_u32_e32 v0, 28, v6
	v_lshlrev_b64 v[0:1], v0, v[17:18]
	v_sub_u32_e32 v1, 29, v6
	v_and_b32_e32 v0, 7, v0
	v_cndmask_b32_e32 v1, v5, v1, vcc
	v_cndmask_b32_e32 v0, v4, v0, vcc
	v_lshlrev_b32_e32 v4, 16, v12
	v_bfrev_b32_e32 v5, 60
	v_lshlrev_b32_e32 v0, 20, v0
	v_and_b32_e32 v4, 0x80000000, v4
	v_lshl_add_u32 v1, v1, 23, v5
	v_or3_b32 v1, v4, v1, v0
.LBB6_12917:                            ;   in Loop: Header=BB6_10567 Depth=3
	s_or_b64 exec, exec, s[34:35]
.LBB6_12918:                            ;   in Loop: Header=BB6_10567 Depth=3
	s_or_b64 exec, exec, s[30:31]
.LBB6_12919:                            ;   in Loop: Header=BB6_10567 Depth=3
	s_or_b64 exec, exec, s[28:29]
	v_add_f32_e32 v1, v3, v1
	v_and_b32_e32 v3, 0x7f800000, v1
	v_mov_b32_e32 v4, v51
	v_cmp_ne_u64_e32 vcc, s[76:77], v[3:4]
                                        ; implicit-def: $vgpr36
	s_and_saveexec_b64 s[28:29], vcc
	s_xor_b64 s[30:31], exec, s[28:29]
	s_cbranch_execz .LBB6_12933
; %bb.12920:                            ;   in Loop: Header=BB6_10567 Depth=3
	v_and_b32_e32 v3, 0x7fffffff, v1
	v_mov_b32_e32 v4, v51
	v_cmp_gt_u64_e32 vcc, s[78:79], v[3:4]
	v_and_b32_sdwa v0, v1, s96 dst_sel:DWORD dst_unused:UNUSED_PAD src0_sel:BYTE_3 src1_sel:DWORD
                                        ; implicit-def: $vgpr36
	s_and_saveexec_b64 s[28:29], vcc
	s_xor_b64 s[34:35], exec, s[28:29]
	s_cbranch_execz .LBB6_12930
; %bb.12921:                            ;   in Loop: Header=BB6_10567 Depth=3
	v_mov_b32_e32 v36, 0
	v_cmp_ne_u32_e32 vcc, 0, v1
	s_and_saveexec_b64 s[36:37], vcc
	s_cbranch_execz .LBB6_12929
; %bb.12922:                            ;   in Loop: Header=BB6_10567 Depth=3
	v_and_b32_e32 v4, 0x7fffff, v1
	v_bfe_u32 v1, v1, 23, 8
	v_cmp_gt_u32_e64 s[28:29], s97, v1
	v_sub_u32_e32 v3, 0x79, v1
	v_cmp_eq_u32_e32 vcc, 0, v1
	v_cndmask_b32_e64 v3, 0, v3, s[28:29]
	v_mov_b32_e32 v6, 0x78
	v_cndmask_b32_e32 v3, v3, v6, vcc
	v_add_u32_e32 v6, 20, v3
	v_or_b32_e32 v5, 0x800000, v4
	v_lshlrev_b64 v[17:18], v6, -1
	v_add_u32_e32 v6, 19, v3
	v_cndmask_b32_e32 v4, v5, v4, vcc
	v_lshlrev_b64 v[23:24], v6, 1
	v_mov_b32_e32 v5, v51
	v_bfi_b32 v18, v18, 0, 0
	v_bfi_b32 v17, v17, 0, v4
	v_cmp_eq_u64_e64 s[28:29], v[17:18], v[23:24]
	v_lshrrev_b64 v[17:18], v3, v[4:5]
	v_mov_b32_e32 v4, v17
	v_mov_b32_e32 v5, v18
	s_and_saveexec_b64 s[38:39], s[28:29]
; %bb.12923:                            ;   in Loop: Header=BB6_10567 Depth=3
	v_bfe_u32 v4, v17, 20, 1
	v_add_co_u32_e64 v4, s[28:29], v17, v4
	v_add_co_u32_e64 v4, s[28:29], -1, v4
; %bb.12924:                            ;   in Loop: Header=BB6_10567 Depth=3
	s_or_b64 exec, exec, s[38:39]
	v_add_u32_e32 v1, 0xffffff81, v1
	v_mov_b32_e32 v5, 0xffffff82
	v_cndmask_b32_e32 v1, v1, v5, vcc
	v_lshrrev_b32_e32 v5, 23, v17
	v_add3_u32 v5, v3, v1, v5
	v_add_u32_e32 v3, 6, v5
	v_and_b32_e32 v1, 0xfffff, v4
	v_add_u32_e32 v17, v1, v17
	v_mov_b32_e32 v18, v51
	v_cmp_ne_u32_e32 vcc, 0, v3
                                        ; implicit-def: $vgpr1
	s_and_saveexec_b64 s[28:29], vcc
	s_xor_b64 s[28:29], exec, s[28:29]
; %bb.12925:                            ;   in Loop: Header=BB6_10567 Depth=3
	v_cmp_lt_u64_e32 vcc, s[88:89], v[17:18]
	v_add_u32_e32 v1, 7, v5
	v_cndmask_b32_e32 v1, v3, v1, vcc
	v_cndmask_b32_e64 v3, 0, 1, vcc
	v_lshrrev_b64 v[17:18], v3, v[17:18]
; %bb.12926:                            ;   in Loop: Header=BB6_10567 Depth=3
	s_andn2_saveexec_b64 s[28:29], s[28:29]
; %bb.12927:                            ;   in Loop: Header=BB6_10567 Depth=3
	v_bfe_u32 v1, v17, 23, 1
; %bb.12928:                            ;   in Loop: Header=BB6_10567 Depth=3
	s_or_b64 exec, exec, s[28:29]
	v_lshrrev_b64 v[3:4], 20, v[17:18]
	v_cmp_gt_i32_e32 vcc, 16, v1
	v_cndmask_b32_e32 v4, 0, v4, vcc
	v_cndmask_b32_e32 v3, 7, v3, vcc
	v_cmp_eq_u32_e32 vcc, 0, v1
	v_min_i32_e32 v1, 15, v1
	v_cmp_eq_u64_e64 s[28:29], 0, v[3:4]
	v_lshlrev_b32_e32 v1, 3, v1
	v_and_b32_e32 v1, 0xf8, v1
	v_and_or_b32 v1, v3, 7, v1
	s_and_b64 s[28:29], vcc, s[28:29]
	v_cndmask_b32_e64 v1, v1, 0, s[28:29]
	v_or_b32_e32 v36, v1, v0
.LBB6_12929:                            ;   in Loop: Header=BB6_10567 Depth=3
	s_or_b64 exec, exec, s[36:37]
                                        ; implicit-def: $vgpr0
.LBB6_12930:                            ;   in Loop: Header=BB6_10567 Depth=3
	s_andn2_saveexec_b64 s[28:29], s[34:35]
; %bb.12931:                            ;   in Loop: Header=BB6_10567 Depth=3
	v_or_b32_e32 v36, 0x7e, v0
; %bb.12932:                            ;   in Loop: Header=BB6_10567 Depth=3
	s_or_b64 exec, exec, s[28:29]
                                        ; implicit-def: $vgpr1
.LBB6_12933:                            ;   in Loop: Header=BB6_10567 Depth=3
	s_andn2_saveexec_b64 s[28:29], s[30:31]
; %bb.12934:                            ;   in Loop: Header=BB6_10567 Depth=3
	v_or_b32_sdwa v36, v1, s86 dst_sel:DWORD dst_unused:UNUSED_PAD src0_sel:BYTE_3 src1_sel:DWORD
; %bb.12935:                            ;   in Loop: Header=BB6_10567 Depth=3
	s_or_b64 exec, exec, s[28:29]
	v_lshrrev_b32_e32 v17, 16, v16
	v_cmp_ne_u16_sdwa vcc, v17, v51 src0_sel:BYTE_0 src1_sel:DWORD
	v_mov_b32_e32 v0, 0
	v_mov_b32_e32 v1, 0
	s_and_saveexec_b64 s[28:29], vcc
	s_cbranch_execz .LBB6_12941
; %bb.12936:                            ;   in Loop: Header=BB6_10567 Depth=3
	v_cmp_ne_u16_sdwa vcc, v17, s96 src0_sel:BYTE_0 src1_sel:DWORD
	v_bfrev_b32_e32 v1, 1
	s_and_saveexec_b64 s[30:31], vcc
	s_cbranch_execz .LBB6_12940
; %bb.12937:                            ;   in Loop: Header=BB6_10567 Depth=3
	v_bfe_u32 v3, v16, 16, 7
	v_cmp_ne_u32_e32 vcc, s86, v3
	v_mov_b32_e32 v1, 0x7f800001
	s_and_saveexec_b64 s[34:35], vcc
	s_cbranch_execz .LBB6_12939
; %bb.12938:                            ;   in Loop: Header=BB6_10567 Depth=3
	v_and_b32_e32 v1, 7, v17
	v_lshrrev_b32_e32 v5, 3, v3
	v_cmp_gt_u32_e32 vcc, 8, v3
	v_ffbh_u32_e32 v3, v1
	v_min_u32_e32 v6, 32, v3
	v_subrev_u32_e32 v3, 28, v6
	v_lshlrev_b64 v[3:4], v3, v[17:18]
	v_sub_u32_e32 v4, 29, v6
	v_and_b32_e32 v3, 7, v3
	v_cndmask_b32_e32 v4, v5, v4, vcc
	v_cndmask_b32_e32 v1, v1, v3, vcc
	v_lshlrev_b32_e32 v3, 24, v17
	v_bfrev_b32_e32 v5, 60
	v_lshlrev_b32_e32 v1, 20, v1
	v_and_b32_e32 v3, 0x80000000, v3
	v_lshl_add_u32 v4, v4, 23, v5
	v_or3_b32 v1, v3, v4, v1
.LBB6_12939:                            ;   in Loop: Header=BB6_10567 Depth=3
	s_or_b64 exec, exec, s[34:35]
.LBB6_12940:                            ;   in Loop: Header=BB6_10567 Depth=3
	s_or_b64 exec, exec, s[30:31]
.LBB6_12941:                            ;   in Loop: Header=BB6_10567 Depth=3
	s_or_b64 exec, exec, s[28:29]
	v_lshrrev_b32_e32 v17, 16, v12
	v_cmp_ne_u16_sdwa vcc, v17, v51 src0_sel:BYTE_0 src1_sel:DWORD
	s_and_saveexec_b64 s[28:29], vcc
	s_cbranch_execz .LBB6_12947
; %bb.12942:                            ;   in Loop: Header=BB6_10567 Depth=3
	v_cmp_ne_u16_sdwa vcc, v17, s96 src0_sel:BYTE_0 src1_sel:DWORD
	v_bfrev_b32_e32 v0, 1
	s_and_saveexec_b64 s[30:31], vcc
	s_cbranch_execz .LBB6_12946
; %bb.12943:                            ;   in Loop: Header=BB6_10567 Depth=3
	v_bfe_u32 v3, v12, 16, 7
	v_cmp_ne_u32_e32 vcc, s86, v3
	v_mov_b32_e32 v0, 0x7f800001
	s_and_saveexec_b64 s[34:35], vcc
	s_cbranch_execz .LBB6_12945
; %bb.12944:                            ;   in Loop: Header=BB6_10567 Depth=3
	v_and_b32_e32 v0, 7, v17
	v_lshrrev_b32_e32 v5, 3, v3
	v_cmp_gt_u32_e32 vcc, 8, v3
	v_ffbh_u32_e32 v3, v0
	v_min_u32_e32 v6, 32, v3
	v_subrev_u32_e32 v3, 28, v6
	v_lshlrev_b64 v[3:4], v3, v[17:18]
	v_sub_u32_e32 v4, 29, v6
	v_and_b32_e32 v3, 7, v3
	v_cndmask_b32_e32 v4, v5, v4, vcc
	v_cndmask_b32_e32 v0, v0, v3, vcc
	v_lshlrev_b32_e32 v3, 8, v12
	v_bfrev_b32_e32 v5, 60
	v_lshlrev_b32_e32 v0, 20, v0
	v_and_b32_e32 v3, 0x80000000, v3
	v_lshl_add_u32 v4, v4, 23, v5
	v_or3_b32 v0, v3, v4, v0
.LBB6_12945:                            ;   in Loop: Header=BB6_10567 Depth=3
	s_or_b64 exec, exec, s[34:35]
.LBB6_12946:                            ;   in Loop: Header=BB6_10567 Depth=3
	s_or_b64 exec, exec, s[30:31]
.LBB6_12947:                            ;   in Loop: Header=BB6_10567 Depth=3
	s_or_b64 exec, exec, s[28:29]
	v_add_f32_e32 v1, v1, v0
	v_and_b32_e32 v3, 0x7f800000, v1
	v_mov_b32_e32 v4, v51
	v_cmp_ne_u64_e32 vcc, s[76:77], v[3:4]
                                        ; implicit-def: $vgpr43
	s_and_saveexec_b64 s[28:29], vcc
	s_xor_b64 s[30:31], exec, s[28:29]
	s_cbranch_execz .LBB6_12961
; %bb.12948:                            ;   in Loop: Header=BB6_10567 Depth=3
	v_and_b32_e32 v3, 0x7fffffff, v1
	v_mov_b32_e32 v4, v51
	v_cmp_gt_u64_e32 vcc, s[78:79], v[3:4]
	v_and_b32_sdwa v0, v1, s96 dst_sel:DWORD dst_unused:UNUSED_PAD src0_sel:BYTE_3 src1_sel:DWORD
                                        ; implicit-def: $vgpr43
	s_and_saveexec_b64 s[28:29], vcc
	s_xor_b64 s[34:35], exec, s[28:29]
	s_cbranch_execz .LBB6_12958
; %bb.12949:                            ;   in Loop: Header=BB6_10567 Depth=3
	v_mov_b32_e32 v43, 0
	v_cmp_ne_u32_e32 vcc, 0, v1
	s_and_saveexec_b64 s[36:37], vcc
	s_cbranch_execz .LBB6_12957
; %bb.12950:                            ;   in Loop: Header=BB6_10567 Depth=3
	v_and_b32_e32 v4, 0x7fffff, v1
	v_bfe_u32 v1, v1, 23, 8
	v_cmp_gt_u32_e64 s[28:29], s97, v1
	v_sub_u32_e32 v3, 0x79, v1
	v_cmp_eq_u32_e32 vcc, 0, v1
	v_cndmask_b32_e64 v3, 0, v3, s[28:29]
	v_mov_b32_e32 v6, 0x78
	v_cndmask_b32_e32 v3, v3, v6, vcc
	v_add_u32_e32 v6, 20, v3
	v_or_b32_e32 v5, 0x800000, v4
	v_lshlrev_b64 v[17:18], v6, -1
	v_add_u32_e32 v6, 19, v3
	v_cndmask_b32_e32 v4, v5, v4, vcc
	v_lshlrev_b64 v[23:24], v6, 1
	v_mov_b32_e32 v5, v51
	v_bfi_b32 v18, v18, 0, 0
	v_bfi_b32 v17, v17, 0, v4
	v_cmp_eq_u64_e64 s[28:29], v[17:18], v[23:24]
	v_lshrrev_b64 v[17:18], v3, v[4:5]
	v_mov_b32_e32 v4, v17
	v_mov_b32_e32 v5, v18
	s_and_saveexec_b64 s[38:39], s[28:29]
; %bb.12951:                            ;   in Loop: Header=BB6_10567 Depth=3
	v_bfe_u32 v4, v17, 20, 1
	v_add_co_u32_e64 v4, s[28:29], v17, v4
	v_add_co_u32_e64 v4, s[28:29], -1, v4
; %bb.12952:                            ;   in Loop: Header=BB6_10567 Depth=3
	s_or_b64 exec, exec, s[38:39]
	v_add_u32_e32 v1, 0xffffff81, v1
	v_mov_b32_e32 v5, 0xffffff82
	v_cndmask_b32_e32 v1, v1, v5, vcc
	v_lshrrev_b32_e32 v5, 23, v17
	v_add3_u32 v5, v3, v1, v5
	v_add_u32_e32 v3, 6, v5
	v_and_b32_e32 v1, 0xfffff, v4
	v_add_u32_e32 v17, v1, v17
	v_mov_b32_e32 v18, v51
	v_cmp_ne_u32_e32 vcc, 0, v3
                                        ; implicit-def: $vgpr1
	s_and_saveexec_b64 s[28:29], vcc
	s_xor_b64 s[28:29], exec, s[28:29]
; %bb.12953:                            ;   in Loop: Header=BB6_10567 Depth=3
	v_cmp_lt_u64_e32 vcc, s[88:89], v[17:18]
	v_add_u32_e32 v1, 7, v5
	v_cndmask_b32_e32 v1, v3, v1, vcc
	v_cndmask_b32_e64 v3, 0, 1, vcc
	v_lshrrev_b64 v[17:18], v3, v[17:18]
; %bb.12954:                            ;   in Loop: Header=BB6_10567 Depth=3
	s_andn2_saveexec_b64 s[28:29], s[28:29]
; %bb.12955:                            ;   in Loop: Header=BB6_10567 Depth=3
	v_bfe_u32 v1, v17, 23, 1
; %bb.12956:                            ;   in Loop: Header=BB6_10567 Depth=3
	s_or_b64 exec, exec, s[28:29]
	v_lshrrev_b64 v[3:4], 20, v[17:18]
	v_cmp_gt_i32_e32 vcc, 16, v1
	v_cndmask_b32_e32 v4, 0, v4, vcc
	v_cndmask_b32_e32 v3, 7, v3, vcc
	v_cmp_eq_u32_e32 vcc, 0, v1
	v_min_i32_e32 v1, 15, v1
	v_cmp_eq_u64_e64 s[28:29], 0, v[3:4]
	v_lshlrev_b32_e32 v1, 3, v1
	v_and_b32_e32 v1, 0xf8, v1
	v_and_or_b32 v1, v3, 7, v1
	s_and_b64 s[28:29], vcc, s[28:29]
	v_cndmask_b32_e64 v1, v1, 0, s[28:29]
	v_or_b32_e32 v43, v1, v0
.LBB6_12957:                            ;   in Loop: Header=BB6_10567 Depth=3
	s_or_b64 exec, exec, s[36:37]
                                        ; implicit-def: $vgpr0
.LBB6_12958:                            ;   in Loop: Header=BB6_10567 Depth=3
	s_andn2_saveexec_b64 s[28:29], s[34:35]
; %bb.12959:                            ;   in Loop: Header=BB6_10567 Depth=3
	v_or_b32_e32 v43, 0x7e, v0
; %bb.12960:                            ;   in Loop: Header=BB6_10567 Depth=3
	s_or_b64 exec, exec, s[28:29]
                                        ; implicit-def: $vgpr1
.LBB6_12961:                            ;   in Loop: Header=BB6_10567 Depth=3
	s_andn2_saveexec_b64 s[28:29], s[30:31]
; %bb.12962:                            ;   in Loop: Header=BB6_10567 Depth=3
	v_or_b32_sdwa v43, v1, s86 dst_sel:DWORD dst_unused:UNUSED_PAD src0_sel:BYTE_3 src1_sel:DWORD
; %bb.12963:                            ;   in Loop: Header=BB6_10567 Depth=3
	s_or_b64 exec, exec, s[28:29]
	v_cmp_lt_u32_e32 vcc, s57, v16
	v_mov_b32_e32 v0, 0
	v_mov_b32_e32 v1, 0
	s_and_saveexec_b64 s[28:29], vcc
	s_cbranch_execz .LBB6_12969
; %bb.12964:                            ;   in Loop: Header=BB6_10567 Depth=3
	v_lshrrev_b32_e32 v17, 24, v16
	v_cmp_ne_u32_sdwa vcc, v16, s96 src0_sel:BYTE_3 src1_sel:DWORD
	v_bfrev_b32_e32 v1, 1
	s_and_saveexec_b64 s[30:31], vcc
	s_cbranch_execz .LBB6_12968
; %bb.12965:                            ;   in Loop: Header=BB6_10567 Depth=3
	v_bfe_u32 v3, v16, 24, 7
	v_cmp_ne_u32_e32 vcc, s86, v3
	v_mov_b32_e32 v1, 0x7f800001
	s_and_saveexec_b64 s[34:35], vcc
	s_cbranch_execz .LBB6_12967
; %bb.12966:                            ;   in Loop: Header=BB6_10567 Depth=3
	v_and_b32_e32 v1, 7, v17
	v_lshrrev_b32_e32 v5, 3, v3
	v_cmp_gt_u32_e32 vcc, 8, v3
	v_ffbh_u32_e32 v3, v1
	v_min_u32_e32 v6, 32, v3
	v_subrev_u32_e32 v3, 28, v6
	v_lshlrev_b64 v[3:4], v3, v[17:18]
	v_sub_u32_e32 v4, 29, v6
	v_and_b32_e32 v3, 7, v3
	v_cndmask_b32_e32 v1, v1, v3, vcc
	v_mov_b32_e32 v3, 24
	v_cndmask_b32_e32 v4, v5, v4, vcc
	v_lshlrev_b32_sdwa v3, v3, v16 dst_sel:DWORD dst_unused:UNUSED_PAD src0_sel:DWORD src1_sel:BYTE_3
	v_bfrev_b32_e32 v5, 60
	v_lshlrev_b32_e32 v1, 20, v1
	v_and_b32_e32 v3, 0x80000000, v3
	v_lshl_add_u32 v4, v4, 23, v5
	v_or3_b32 v1, v3, v4, v1
.LBB6_12967:                            ;   in Loop: Header=BB6_10567 Depth=3
	s_or_b64 exec, exec, s[34:35]
.LBB6_12968:                            ;   in Loop: Header=BB6_10567 Depth=3
	s_or_b64 exec, exec, s[30:31]
.LBB6_12969:                            ;   in Loop: Header=BB6_10567 Depth=3
	s_or_b64 exec, exec, s[28:29]
	v_cmp_lt_u32_e32 vcc, s57, v12
	s_and_saveexec_b64 s[28:29], vcc
	s_cbranch_execz .LBB6_12975
; %bb.12970:                            ;   in Loop: Header=BB6_10567 Depth=3
	v_lshrrev_b32_e32 v16, 24, v12
	v_cmp_ne_u32_e32 vcc, s96, v16
	v_bfrev_b32_e32 v0, 1
	s_and_saveexec_b64 s[30:31], vcc
	s_cbranch_execz .LBB6_12974
; %bb.12971:                            ;   in Loop: Header=BB6_10567 Depth=3
	v_bfe_u32 v3, v12, 24, 7
	v_cmp_ne_u32_e32 vcc, s86, v3
	v_mov_b32_e32 v0, 0x7f800001
	s_and_saveexec_b64 s[34:35], vcc
	s_cbranch_execz .LBB6_12973
; %bb.12972:                            ;   in Loop: Header=BB6_10567 Depth=3
	v_and_b32_e32 v0, 7, v16
	v_lshrrev_b32_e32 v5, 3, v3
	v_cmp_gt_u32_e32 vcc, 8, v3
	v_ffbh_u32_e32 v3, v0
	v_min_u32_e32 v6, 32, v3
	v_subrev_u32_e32 v3, 28, v6
	v_lshlrev_b64 v[3:4], v3, v[16:17]
	v_sub_u32_e32 v4, 29, v6
	v_and_b32_e32 v3, 7, v3
	v_cndmask_b32_e32 v4, v5, v4, vcc
	v_cndmask_b32_e32 v0, v0, v3, vcc
	v_lshlrev_b32_e32 v3, 24, v16
	v_bfrev_b32_e32 v5, 60
	v_lshlrev_b32_e32 v0, 20, v0
	v_and_b32_e32 v3, 0x80000000, v3
	v_lshl_add_u32 v4, v4, 23, v5
	v_or3_b32 v0, v3, v4, v0
.LBB6_12973:                            ;   in Loop: Header=BB6_10567 Depth=3
	s_or_b64 exec, exec, s[34:35]
.LBB6_12974:                            ;   in Loop: Header=BB6_10567 Depth=3
	s_or_b64 exec, exec, s[30:31]
.LBB6_12975:                            ;   in Loop: Header=BB6_10567 Depth=3
	s_or_b64 exec, exec, s[28:29]
	v_add_f32_e32 v1, v1, v0
	v_and_b32_e32 v3, 0x7f800000, v1
	v_mov_b32_e32 v4, v51
	v_cmp_ne_u64_e32 vcc, s[76:77], v[3:4]
                                        ; implicit-def: $vgpr44
	s_and_saveexec_b64 s[28:29], vcc
	s_xor_b64 s[30:31], exec, s[28:29]
	s_cbranch_execz .LBB6_12989
; %bb.12976:                            ;   in Loop: Header=BB6_10567 Depth=3
	v_and_b32_e32 v3, 0x7fffffff, v1
	v_mov_b32_e32 v4, v51
	v_cmp_gt_u64_e32 vcc, s[78:79], v[3:4]
	v_and_b32_sdwa v0, v1, s96 dst_sel:DWORD dst_unused:UNUSED_PAD src0_sel:BYTE_3 src1_sel:DWORD
                                        ; implicit-def: $vgpr44
	s_and_saveexec_b64 s[28:29], vcc
	s_xor_b64 s[34:35], exec, s[28:29]
	s_cbranch_execz .LBB6_12986
; %bb.12977:                            ;   in Loop: Header=BB6_10567 Depth=3
	v_mov_b32_e32 v44, 0
	v_cmp_ne_u32_e32 vcc, 0, v1
	s_and_saveexec_b64 s[36:37], vcc
	s_cbranch_execz .LBB6_12985
; %bb.12978:                            ;   in Loop: Header=BB6_10567 Depth=3
	v_and_b32_e32 v4, 0x7fffff, v1
	v_bfe_u32 v1, v1, 23, 8
	v_cmp_gt_u32_e64 s[28:29], s97, v1
	v_sub_u32_e32 v3, 0x79, v1
	v_cmp_eq_u32_e32 vcc, 0, v1
	v_cndmask_b32_e64 v3, 0, v3, s[28:29]
	v_mov_b32_e32 v6, 0x78
	v_cndmask_b32_e32 v3, v3, v6, vcc
	v_add_u32_e32 v6, 20, v3
	v_or_b32_e32 v5, 0x800000, v4
	v_lshlrev_b64 v[16:17], v6, -1
	v_add_u32_e32 v6, 19, v3
	v_cndmask_b32_e32 v4, v5, v4, vcc
	v_lshlrev_b64 v[23:24], v6, 1
	v_mov_b32_e32 v5, v51
	v_bfi_b32 v17, v17, 0, 0
	v_bfi_b32 v16, v16, 0, v4
	v_cmp_eq_u64_e64 s[28:29], v[16:17], v[23:24]
	v_lshrrev_b64 v[16:17], v3, v[4:5]
	v_mov_b32_e32 v4, v16
	v_mov_b32_e32 v5, v17
	s_and_saveexec_b64 s[38:39], s[28:29]
; %bb.12979:                            ;   in Loop: Header=BB6_10567 Depth=3
	v_bfe_u32 v4, v16, 20, 1
	v_add_co_u32_e64 v4, s[28:29], v16, v4
	v_add_co_u32_e64 v4, s[28:29], -1, v4
; %bb.12980:                            ;   in Loop: Header=BB6_10567 Depth=3
	s_or_b64 exec, exec, s[38:39]
	v_add_u32_e32 v1, 0xffffff81, v1
	v_mov_b32_e32 v5, 0xffffff82
	v_cndmask_b32_e32 v1, v1, v5, vcc
	v_lshrrev_b32_e32 v5, 23, v16
	v_add3_u32 v5, v3, v1, v5
	v_add_u32_e32 v3, 6, v5
	v_and_b32_e32 v1, 0xfffff, v4
	v_add_u32_e32 v16, v1, v16
	v_mov_b32_e32 v17, v51
	v_cmp_ne_u32_e32 vcc, 0, v3
                                        ; implicit-def: $vgpr1
	s_and_saveexec_b64 s[28:29], vcc
	s_xor_b64 s[28:29], exec, s[28:29]
; %bb.12981:                            ;   in Loop: Header=BB6_10567 Depth=3
	v_cmp_lt_u64_e32 vcc, s[88:89], v[16:17]
	v_add_u32_e32 v1, 7, v5
	v_cndmask_b32_e32 v1, v3, v1, vcc
	v_cndmask_b32_e64 v3, 0, 1, vcc
	v_lshrrev_b64 v[16:17], v3, v[16:17]
; %bb.12982:                            ;   in Loop: Header=BB6_10567 Depth=3
	s_andn2_saveexec_b64 s[28:29], s[28:29]
; %bb.12983:                            ;   in Loop: Header=BB6_10567 Depth=3
	v_bfe_u32 v1, v16, 23, 1
; %bb.12984:                            ;   in Loop: Header=BB6_10567 Depth=3
	s_or_b64 exec, exec, s[28:29]
	v_lshrrev_b64 v[3:4], 20, v[16:17]
	v_cmp_gt_i32_e32 vcc, 16, v1
	v_cndmask_b32_e32 v4, 0, v4, vcc
	v_cndmask_b32_e32 v3, 7, v3, vcc
	v_cmp_eq_u32_e32 vcc, 0, v1
	v_min_i32_e32 v1, 15, v1
	v_cmp_eq_u64_e64 s[28:29], 0, v[3:4]
	v_lshlrev_b32_e32 v1, 3, v1
	v_and_b32_e32 v1, 0xf8, v1
	v_and_or_b32 v1, v3, 7, v1
	s_and_b64 s[28:29], vcc, s[28:29]
	v_cndmask_b32_e64 v1, v1, 0, s[28:29]
	v_or_b32_e32 v44, v1, v0
.LBB6_12985:                            ;   in Loop: Header=BB6_10567 Depth=3
	s_or_b64 exec, exec, s[36:37]
                                        ; implicit-def: $vgpr0
.LBB6_12986:                            ;   in Loop: Header=BB6_10567 Depth=3
	s_andn2_saveexec_b64 s[28:29], s[34:35]
; %bb.12987:                            ;   in Loop: Header=BB6_10567 Depth=3
	v_or_b32_e32 v44, 0x7e, v0
; %bb.12988:                            ;   in Loop: Header=BB6_10567 Depth=3
	s_or_b64 exec, exec, s[28:29]
                                        ; implicit-def: $vgpr1
.LBB6_12989:                            ;   in Loop: Header=BB6_10567 Depth=3
	s_andn2_saveexec_b64 s[28:29], s[30:31]
; %bb.12990:                            ;   in Loop: Header=BB6_10567 Depth=3
	v_or_b32_sdwa v44, v1, s86 dst_sel:DWORD dst_unused:UNUSED_PAD src0_sel:BYTE_3 src1_sel:DWORD
; %bb.12991:                            ;   in Loop: Header=BB6_10567 Depth=3
	s_or_b64 exec, exec, s[28:29]
	buffer_load_dword v0, off, s[0:3], s33 offset:184 ; 4-byte Folded Reload
	buffer_load_dword v1, off, s[0:3], s33 offset:204 ; 4-byte Folded Reload
	;; [unrolled: 1-line block ×3, first 2 shown]
	v_mov_b32_e32 v17, v51
	v_cmp_ne_u32_e32 vcc, 0, v30
	s_waitcnt vmcnt(2)
	v_lshl_or_b32 v0, v0, 8, v30
	s_waitcnt vmcnt(1)
	v_lshlrev_b32_e32 v1, 16, v1
	s_waitcnt vmcnt(0)
	v_lshlrev_b32_e32 v3, 24, v3
	v_or3_b32 v16, v1, v3, v0
	v_mov_b32_e32 v3, 0
	v_mov_b32_e32 v1, 0
	s_and_saveexec_b64 s[28:29], vcc
	s_cbranch_execz .LBB6_12997
; %bb.12992:                            ;   in Loop: Header=BB6_10567 Depth=3
	v_cmp_ne_u32_e32 vcc, s96, v30
	v_bfrev_b32_e32 v1, 1
	s_and_saveexec_b64 s[30:31], vcc
	s_cbranch_execz .LBB6_12996
; %bb.12993:                            ;   in Loop: Header=BB6_10567 Depth=3
	v_and_b32_e32 v4, 0x7f, v30
	v_cmp_ne_u32_e32 vcc, s86, v4
	v_mov_b32_e32 v1, 0x7f800001
	s_and_saveexec_b64 s[34:35], vcc
	s_cbranch_execz .LBB6_12995
; %bb.12994:                            ;   in Loop: Header=BB6_10567 Depth=3
	v_and_b32_e32 v1, 7, v30
	v_ffbh_u32_e32 v1, v1
	v_min_u32_e32 v1, 32, v1
	v_lshrrev_b32_e32 v5, 3, v4
	v_cmp_gt_u32_e32 vcc, 8, v4
	v_subrev_u32_e32 v4, 28, v1
	v_sub_u32_e32 v1, 29, v1
	v_cndmask_b32_e32 v4, 0, v4, vcc
	v_cndmask_b32_e32 v1, v5, v1, vcc
	v_lshlrev_b64 v[4:5], v4, v[16:17]
	v_lshlrev_b32_e32 v5, 24, v16
	v_lshlrev_b32_e32 v4, 20, v4
	v_bfrev_b32_e32 v6, 60
	v_and_b32_e32 v4, 0x700000, v4
	v_and_b32_e32 v5, 0x80000000, v5
	v_lshl_add_u32 v1, v1, 23, v6
	v_or3_b32 v1, v5, v1, v4
.LBB6_12995:                            ;   in Loop: Header=BB6_10567 Depth=3
	s_or_b64 exec, exec, s[34:35]
.LBB6_12996:                            ;   in Loop: Header=BB6_10567 Depth=3
	s_or_b64 exec, exec, s[30:31]
.LBB6_12997:                            ;   in Loop: Header=BB6_10567 Depth=3
	s_or_b64 exec, exec, s[28:29]
	v_cmp_ne_u16_sdwa vcc, v13, v51 src0_sel:BYTE_0 src1_sel:DWORD
	s_and_saveexec_b64 s[28:29], vcc
	s_cbranch_execz .LBB6_13003
; %bb.12998:                            ;   in Loop: Header=BB6_10567 Depth=3
	v_cmp_ne_u16_sdwa vcc, v13, s96 src0_sel:BYTE_0 src1_sel:DWORD
	v_bfrev_b32_e32 v3, 1
	s_and_saveexec_b64 s[30:31], vcc
	s_cbranch_execz .LBB6_13002
; %bb.12999:                            ;   in Loop: Header=BB6_10567 Depth=3
	v_and_b32_e32 v4, 0x7f, v13
	v_cmp_ne_u32_e32 vcc, s86, v4
	v_mov_b32_e32 v3, 0x7f800001
	s_and_saveexec_b64 s[34:35], vcc
	s_cbranch_execz .LBB6_13001
; %bb.13000:                            ;   in Loop: Header=BB6_10567 Depth=3
	v_and_b32_e32 v3, 7, v13
	v_ffbh_u32_e32 v3, v3
	v_min_u32_e32 v3, 32, v3
	v_lshrrev_b32_e32 v17, 3, v4
	v_cmp_gt_u32_e32 vcc, 8, v4
	v_subrev_u32_e32 v4, 28, v3
	v_sub_u32_e32 v3, 29, v3
	v_mov_b32_e32 v5, v13
	v_mov_b32_e32 v6, v51
	v_cndmask_b32_e32 v17, v17, v3, vcc
	v_cndmask_b32_e32 v3, 0, v4, vcc
	v_lshlrev_b64 v[3:4], v3, v[5:6]
	v_lshlrev_b32_e32 v4, 24, v5
	v_lshlrev_b32_e32 v3, 20, v3
	v_bfrev_b32_e32 v5, 60
	v_and_b32_e32 v3, 0x700000, v3
	v_and_b32_e32 v4, 0x80000000, v4
	v_lshl_add_u32 v5, v17, 23, v5
	v_or3_b32 v3, v4, v5, v3
.LBB6_13001:                            ;   in Loop: Header=BB6_10567 Depth=3
	s_or_b64 exec, exec, s[34:35]
.LBB6_13002:                            ;   in Loop: Header=BB6_10567 Depth=3
	s_or_b64 exec, exec, s[30:31]
.LBB6_13003:                            ;   in Loop: Header=BB6_10567 Depth=3
	s_or_b64 exec, exec, s[28:29]
	v_add_f32_e32 v3, v1, v3
	v_and_b32_e32 v4, 0x7f800000, v3
	v_mov_b32_e32 v5, v51
	v_cmp_ne_u64_e32 vcc, s[76:77], v[4:5]
                                        ; implicit-def: $vgpr30
	s_and_saveexec_b64 s[28:29], vcc
	s_xor_b64 s[30:31], exec, s[28:29]
	s_cbranch_execz .LBB6_13017
; %bb.13004:                            ;   in Loop: Header=BB6_10567 Depth=3
	v_and_b32_e32 v4, 0x7fffffff, v3
	v_mov_b32_e32 v5, v51
	v_cmp_gt_u64_e32 vcc, s[78:79], v[4:5]
	v_and_b32_sdwa v1, v3, s96 dst_sel:DWORD dst_unused:UNUSED_PAD src0_sel:BYTE_3 src1_sel:DWORD
                                        ; implicit-def: $vgpr30
	s_and_saveexec_b64 s[28:29], vcc
	s_xor_b64 s[34:35], exec, s[28:29]
	s_cbranch_execz .LBB6_13014
; %bb.13005:                            ;   in Loop: Header=BB6_10567 Depth=3
	v_mov_b32_e32 v30, 0
	v_cmp_ne_u32_e32 vcc, 0, v3
	s_and_saveexec_b64 s[36:37], vcc
	s_cbranch_execz .LBB6_13013
; %bb.13006:                            ;   in Loop: Header=BB6_10567 Depth=3
	v_and_b32_e32 v4, 0x7fffff, v3
	v_bfe_u32 v3, v3, 23, 8
	v_cmp_gt_u32_e64 s[28:29], s97, v3
	v_sub_u32_e32 v5, 0x79, v3
	v_cmp_eq_u32_e32 vcc, 0, v3
	v_cndmask_b32_e64 v5, 0, v5, s[28:29]
	v_mov_b32_e32 v6, 0x78
	v_or_b32_e32 v17, 0x800000, v4
	v_cndmask_b32_e32 v6, v5, v6, vcc
	v_cndmask_b32_e32 v4, v17, v4, vcc
	v_add_u32_e32 v17, 20, v6
	v_lshlrev_b64 v[17:18], v17, -1
	v_add_u32_e32 v23, 19, v6
	v_lshlrev_b64 v[23:24], v23, 1
	v_mov_b32_e32 v5, v51
	v_bfi_b32 v18, v18, 0, 0
	v_bfi_b32 v17, v17, 0, v4
	v_cmp_eq_u64_e64 s[28:29], v[17:18], v[23:24]
	v_lshrrev_b64 v[17:18], v6, v[4:5]
	v_mov_b32_e32 v4, v17
	v_mov_b32_e32 v5, v18
	s_and_saveexec_b64 s[38:39], s[28:29]
; %bb.13007:                            ;   in Loop: Header=BB6_10567 Depth=3
	v_bfe_u32 v4, v17, 20, 1
	v_add_co_u32_e64 v4, s[28:29], v17, v4
	v_add_co_u32_e64 v4, s[28:29], -1, v4
; %bb.13008:                            ;   in Loop: Header=BB6_10567 Depth=3
	s_or_b64 exec, exec, s[38:39]
	v_add_u32_e32 v3, 0xffffff81, v3
	v_mov_b32_e32 v5, 0xffffff82
	v_cndmask_b32_e32 v3, v3, v5, vcc
	v_lshrrev_b32_e32 v5, 23, v17
	v_add3_u32 v6, v6, v3, v5
	v_add_u32_e32 v5, 6, v6
	v_and_b32_e32 v3, 0xfffff, v4
	v_add_u32_e32 v17, v3, v17
	v_mov_b32_e32 v18, v51
	v_cmp_ne_u32_e32 vcc, 0, v5
                                        ; implicit-def: $vgpr3
	s_and_saveexec_b64 s[28:29], vcc
	s_xor_b64 s[28:29], exec, s[28:29]
; %bb.13009:                            ;   in Loop: Header=BB6_10567 Depth=3
	v_cmp_lt_u64_e32 vcc, s[88:89], v[17:18]
	v_add_u32_e32 v3, 7, v6
	v_cndmask_b32_e64 v4, 0, 1, vcc
	v_lshrrev_b64 v[17:18], v4, v[17:18]
	v_cndmask_b32_e32 v3, v5, v3, vcc
; %bb.13010:                            ;   in Loop: Header=BB6_10567 Depth=3
	s_andn2_saveexec_b64 s[28:29], s[28:29]
; %bb.13011:                            ;   in Loop: Header=BB6_10567 Depth=3
	v_bfe_u32 v3, v17, 23, 1
; %bb.13012:                            ;   in Loop: Header=BB6_10567 Depth=3
	s_or_b64 exec, exec, s[28:29]
	v_lshrrev_b64 v[4:5], 20, v[17:18]
	v_cmp_gt_i32_e32 vcc, 16, v3
	v_cndmask_b32_e32 v5, 0, v5, vcc
	v_cndmask_b32_e32 v4, 7, v4, vcc
	v_cmp_eq_u32_e32 vcc, 0, v3
	v_min_i32_e32 v3, 15, v3
	v_cmp_eq_u64_e64 s[28:29], 0, v[4:5]
	v_lshlrev_b32_e32 v3, 3, v3
	v_and_b32_e32 v3, 0xf8, v3
	v_and_or_b32 v3, v4, 7, v3
	s_and_b64 s[28:29], vcc, s[28:29]
	v_cndmask_b32_e64 v3, v3, 0, s[28:29]
	v_or_b32_e32 v30, v3, v1
.LBB6_13013:                            ;   in Loop: Header=BB6_10567 Depth=3
	s_or_b64 exec, exec, s[36:37]
                                        ; implicit-def: $vgpr1
.LBB6_13014:                            ;   in Loop: Header=BB6_10567 Depth=3
	s_andn2_saveexec_b64 s[28:29], s[34:35]
; %bb.13015:                            ;   in Loop: Header=BB6_10567 Depth=3
	v_or_b32_e32 v30, 0x7e, v1
; %bb.13016:                            ;   in Loop: Header=BB6_10567 Depth=3
	s_or_b64 exec, exec, s[28:29]
                                        ; implicit-def: $vgpr3
.LBB6_13017:                            ;   in Loop: Header=BB6_10567 Depth=3
	s_andn2_saveexec_b64 s[28:29], s[30:31]
; %bb.13018:                            ;   in Loop: Header=BB6_10567 Depth=3
	v_or_b32_sdwa v30, v3, s86 dst_sel:DWORD dst_unused:UNUSED_PAD src0_sel:BYTE_3 src1_sel:DWORD
; %bb.13019:                            ;   in Loop: Header=BB6_10567 Depth=3
	s_or_b64 exec, exec, s[28:29]
	v_lshrrev_b16_e32 v17, 8, v0
	v_cmp_ne_u16_e32 vcc, 0, v17
	v_mov_b32_e32 v1, 0
	v_mov_b32_e32 v3, 0
	s_and_saveexec_b64 s[28:29], vcc
	s_cbranch_execz .LBB6_13025
; %bb.13020:                            ;   in Loop: Header=BB6_10567 Depth=3
	v_cmp_ne_u16_e32 vcc, s96, v17
	v_bfrev_b32_e32 v3, 1
	s_and_saveexec_b64 s[30:31], vcc
	s_cbranch_execz .LBB6_13024
; %bb.13021:                            ;   in Loop: Header=BB6_10567 Depth=3
	v_and_b32_e32 v4, 0x7f, v17
	v_cmp_ne_u32_e32 vcc, s86, v4
	v_mov_b32_e32 v3, 0x7f800001
	s_and_saveexec_b64 s[34:35], vcc
	s_cbranch_execz .LBB6_13023
; %bb.13022:                            ;   in Loop: Header=BB6_10567 Depth=3
	v_and_b32_e32 v5, 7, v17
	v_ffbh_u32_e32 v3, v5
	v_min_u32_e32 v18, 32, v3
	v_subrev_u32_e32 v3, 28, v18
	v_lshrrev_b32_e32 v6, 3, v4
	v_cmp_gt_u32_e32 vcc, 8, v4
	v_lshlrev_b64 v[3:4], v3, v[17:18]
	v_sub_u32_e32 v4, 29, v18
	v_and_b32_e32 v3, 7, v3
	v_cndmask_b32_e32 v4, v6, v4, vcc
	v_cndmask_b32_e32 v3, v5, v3, vcc
	v_lshlrev_b32_e32 v0, 16, v0
	v_bfrev_b32_e32 v5, 60
	v_lshlrev_b32_e32 v3, 20, v3
	v_and_b32_e32 v0, 0x80000000, v0
	v_lshl_add_u32 v4, v4, 23, v5
	v_or3_b32 v3, v0, v4, v3
.LBB6_13023:                            ;   in Loop: Header=BB6_10567 Depth=3
	s_or_b64 exec, exec, s[34:35]
.LBB6_13024:                            ;   in Loop: Header=BB6_10567 Depth=3
	s_or_b64 exec, exec, s[30:31]
.LBB6_13025:                            ;   in Loop: Header=BB6_10567 Depth=3
	s_or_b64 exec, exec, s[28:29]
	v_lshrrev_b16_e32 v17, 8, v13
	v_cmp_ne_u16_e32 vcc, 0, v17
	s_and_saveexec_b64 s[28:29], vcc
	s_cbranch_execz .LBB6_13031
; %bb.13026:                            ;   in Loop: Header=BB6_10567 Depth=3
	v_cmp_ne_u16_e32 vcc, s96, v17
	v_bfrev_b32_e32 v1, 1
	s_and_saveexec_b64 s[30:31], vcc
	s_cbranch_execz .LBB6_13030
; %bb.13027:                            ;   in Loop: Header=BB6_10567 Depth=3
	v_and_b32_e32 v0, 0x7f, v17
	v_cmp_ne_u32_e32 vcc, s86, v0
	v_mov_b32_e32 v1, 0x7f800001
	s_and_saveexec_b64 s[34:35], vcc
	s_cbranch_execz .LBB6_13029
; %bb.13028:                            ;   in Loop: Header=BB6_10567 Depth=3
	v_and_b32_e32 v4, 7, v17
	v_lshrrev_b32_e32 v5, 3, v0
	v_cmp_gt_u32_e32 vcc, 8, v0
	v_ffbh_u32_e32 v0, v4
	v_min_u32_e32 v6, 32, v0
	v_subrev_u32_e32 v0, 28, v6
	v_lshlrev_b64 v[0:1], v0, v[17:18]
	v_sub_u32_e32 v1, 29, v6
	v_and_b32_e32 v0, 7, v0
	v_cndmask_b32_e32 v1, v5, v1, vcc
	v_cndmask_b32_e32 v0, v4, v0, vcc
	v_lshlrev_b32_e32 v4, 16, v13
	v_bfrev_b32_e32 v5, 60
	v_lshlrev_b32_e32 v0, 20, v0
	v_and_b32_e32 v4, 0x80000000, v4
	v_lshl_add_u32 v1, v1, 23, v5
	v_or3_b32 v1, v4, v1, v0
.LBB6_13029:                            ;   in Loop: Header=BB6_10567 Depth=3
	s_or_b64 exec, exec, s[34:35]
.LBB6_13030:                            ;   in Loop: Header=BB6_10567 Depth=3
	s_or_b64 exec, exec, s[30:31]
.LBB6_13031:                            ;   in Loop: Header=BB6_10567 Depth=3
	s_or_b64 exec, exec, s[28:29]
	v_add_f32_e32 v1, v3, v1
	v_and_b32_e32 v3, 0x7f800000, v1
	v_mov_b32_e32 v4, v51
	v_cmp_ne_u64_e32 vcc, s[76:77], v[3:4]
                                        ; implicit-def: $vgpr47
	s_and_saveexec_b64 s[28:29], vcc
	s_xor_b64 s[30:31], exec, s[28:29]
	s_cbranch_execz .LBB6_13045
; %bb.13032:                            ;   in Loop: Header=BB6_10567 Depth=3
	v_and_b32_e32 v3, 0x7fffffff, v1
	v_mov_b32_e32 v4, v51
	v_cmp_gt_u64_e32 vcc, s[78:79], v[3:4]
	v_and_b32_sdwa v0, v1, s96 dst_sel:DWORD dst_unused:UNUSED_PAD src0_sel:BYTE_3 src1_sel:DWORD
                                        ; implicit-def: $vgpr47
	s_and_saveexec_b64 s[28:29], vcc
	s_xor_b64 s[34:35], exec, s[28:29]
	s_cbranch_execz .LBB6_13042
; %bb.13033:                            ;   in Loop: Header=BB6_10567 Depth=3
	v_mov_b32_e32 v47, 0
	v_cmp_ne_u32_e32 vcc, 0, v1
	s_and_saveexec_b64 s[36:37], vcc
	s_cbranch_execz .LBB6_13041
; %bb.13034:                            ;   in Loop: Header=BB6_10567 Depth=3
	v_and_b32_e32 v4, 0x7fffff, v1
	v_bfe_u32 v1, v1, 23, 8
	v_cmp_gt_u32_e64 s[28:29], s97, v1
	v_sub_u32_e32 v3, 0x79, v1
	v_cmp_eq_u32_e32 vcc, 0, v1
	v_cndmask_b32_e64 v3, 0, v3, s[28:29]
	v_mov_b32_e32 v6, 0x78
	v_cndmask_b32_e32 v3, v3, v6, vcc
	v_add_u32_e32 v6, 20, v3
	v_or_b32_e32 v5, 0x800000, v4
	v_lshlrev_b64 v[17:18], v6, -1
	v_add_u32_e32 v6, 19, v3
	v_cndmask_b32_e32 v4, v5, v4, vcc
	v_lshlrev_b64 v[23:24], v6, 1
	v_mov_b32_e32 v5, v51
	v_bfi_b32 v18, v18, 0, 0
	v_bfi_b32 v17, v17, 0, v4
	v_cmp_eq_u64_e64 s[28:29], v[17:18], v[23:24]
	v_lshrrev_b64 v[17:18], v3, v[4:5]
	v_mov_b32_e32 v4, v17
	v_mov_b32_e32 v5, v18
	s_and_saveexec_b64 s[38:39], s[28:29]
; %bb.13035:                            ;   in Loop: Header=BB6_10567 Depth=3
	v_bfe_u32 v4, v17, 20, 1
	v_add_co_u32_e64 v4, s[28:29], v17, v4
	v_add_co_u32_e64 v4, s[28:29], -1, v4
; %bb.13036:                            ;   in Loop: Header=BB6_10567 Depth=3
	s_or_b64 exec, exec, s[38:39]
	v_add_u32_e32 v1, 0xffffff81, v1
	v_mov_b32_e32 v5, 0xffffff82
	v_cndmask_b32_e32 v1, v1, v5, vcc
	v_lshrrev_b32_e32 v5, 23, v17
	v_add3_u32 v5, v3, v1, v5
	v_add_u32_e32 v3, 6, v5
	v_and_b32_e32 v1, 0xfffff, v4
	v_add_u32_e32 v17, v1, v17
	v_mov_b32_e32 v18, v51
	v_cmp_ne_u32_e32 vcc, 0, v3
                                        ; implicit-def: $vgpr1
	s_and_saveexec_b64 s[28:29], vcc
	s_xor_b64 s[28:29], exec, s[28:29]
; %bb.13037:                            ;   in Loop: Header=BB6_10567 Depth=3
	v_cmp_lt_u64_e32 vcc, s[88:89], v[17:18]
	v_add_u32_e32 v1, 7, v5
	v_cndmask_b32_e32 v1, v3, v1, vcc
	v_cndmask_b32_e64 v3, 0, 1, vcc
	v_lshrrev_b64 v[17:18], v3, v[17:18]
; %bb.13038:                            ;   in Loop: Header=BB6_10567 Depth=3
	s_andn2_saveexec_b64 s[28:29], s[28:29]
; %bb.13039:                            ;   in Loop: Header=BB6_10567 Depth=3
	v_bfe_u32 v1, v17, 23, 1
; %bb.13040:                            ;   in Loop: Header=BB6_10567 Depth=3
	s_or_b64 exec, exec, s[28:29]
	v_lshrrev_b64 v[3:4], 20, v[17:18]
	v_cmp_gt_i32_e32 vcc, 16, v1
	v_cndmask_b32_e32 v4, 0, v4, vcc
	v_cndmask_b32_e32 v3, 7, v3, vcc
	v_cmp_eq_u32_e32 vcc, 0, v1
	v_min_i32_e32 v1, 15, v1
	v_cmp_eq_u64_e64 s[28:29], 0, v[3:4]
	v_lshlrev_b32_e32 v1, 3, v1
	v_and_b32_e32 v1, 0xf8, v1
	v_and_or_b32 v1, v3, 7, v1
	s_and_b64 s[28:29], vcc, s[28:29]
	v_cndmask_b32_e64 v1, v1, 0, s[28:29]
	v_or_b32_e32 v47, v1, v0
.LBB6_13041:                            ;   in Loop: Header=BB6_10567 Depth=3
	s_or_b64 exec, exec, s[36:37]
                                        ; implicit-def: $vgpr0
.LBB6_13042:                            ;   in Loop: Header=BB6_10567 Depth=3
	s_andn2_saveexec_b64 s[28:29], s[34:35]
; %bb.13043:                            ;   in Loop: Header=BB6_10567 Depth=3
	v_or_b32_e32 v47, 0x7e, v0
; %bb.13044:                            ;   in Loop: Header=BB6_10567 Depth=3
	s_or_b64 exec, exec, s[28:29]
                                        ; implicit-def: $vgpr1
.LBB6_13045:                            ;   in Loop: Header=BB6_10567 Depth=3
	s_andn2_saveexec_b64 s[28:29], s[30:31]
; %bb.13046:                            ;   in Loop: Header=BB6_10567 Depth=3
	v_or_b32_sdwa v47, v1, s86 dst_sel:DWORD dst_unused:UNUSED_PAD src0_sel:BYTE_3 src1_sel:DWORD
; %bb.13047:                            ;   in Loop: Header=BB6_10567 Depth=3
	s_or_b64 exec, exec, s[28:29]
	v_lshrrev_b32_e32 v17, 16, v16
	v_cmp_ne_u16_sdwa vcc, v17, v51 src0_sel:BYTE_0 src1_sel:DWORD
	v_mov_b32_e32 v0, 0
	v_mov_b32_e32 v1, 0
	s_and_saveexec_b64 s[28:29], vcc
	s_cbranch_execz .LBB6_13053
; %bb.13048:                            ;   in Loop: Header=BB6_10567 Depth=3
	v_cmp_ne_u16_sdwa vcc, v17, s96 src0_sel:BYTE_0 src1_sel:DWORD
	v_bfrev_b32_e32 v1, 1
	s_and_saveexec_b64 s[30:31], vcc
	s_cbranch_execz .LBB6_13052
; %bb.13049:                            ;   in Loop: Header=BB6_10567 Depth=3
	v_bfe_u32 v3, v16, 16, 7
	v_cmp_ne_u32_e32 vcc, s86, v3
	v_mov_b32_e32 v1, 0x7f800001
	s_and_saveexec_b64 s[34:35], vcc
	s_cbranch_execz .LBB6_13051
; %bb.13050:                            ;   in Loop: Header=BB6_10567 Depth=3
	v_and_b32_e32 v1, 7, v17
	v_lshrrev_b32_e32 v5, 3, v3
	v_cmp_gt_u32_e32 vcc, 8, v3
	v_ffbh_u32_e32 v3, v1
	v_min_u32_e32 v6, 32, v3
	v_subrev_u32_e32 v3, 28, v6
	v_lshlrev_b64 v[3:4], v3, v[17:18]
	v_sub_u32_e32 v4, 29, v6
	v_and_b32_e32 v3, 7, v3
	v_cndmask_b32_e32 v4, v5, v4, vcc
	v_cndmask_b32_e32 v1, v1, v3, vcc
	v_lshlrev_b32_e32 v3, 24, v17
	v_bfrev_b32_e32 v5, 60
	v_lshlrev_b32_e32 v1, 20, v1
	v_and_b32_e32 v3, 0x80000000, v3
	v_lshl_add_u32 v4, v4, 23, v5
	v_or3_b32 v1, v3, v4, v1
.LBB6_13051:                            ;   in Loop: Header=BB6_10567 Depth=3
	s_or_b64 exec, exec, s[34:35]
.LBB6_13052:                            ;   in Loop: Header=BB6_10567 Depth=3
	s_or_b64 exec, exec, s[30:31]
.LBB6_13053:                            ;   in Loop: Header=BB6_10567 Depth=3
	s_or_b64 exec, exec, s[28:29]
	v_lshrrev_b32_e32 v17, 16, v13
	v_cmp_ne_u16_sdwa vcc, v17, v51 src0_sel:BYTE_0 src1_sel:DWORD
	s_and_saveexec_b64 s[28:29], vcc
	s_cbranch_execz .LBB6_13059
; %bb.13054:                            ;   in Loop: Header=BB6_10567 Depth=3
	v_cmp_ne_u16_sdwa vcc, v17, s96 src0_sel:BYTE_0 src1_sel:DWORD
	v_bfrev_b32_e32 v0, 1
	s_and_saveexec_b64 s[30:31], vcc
	s_cbranch_execz .LBB6_13058
; %bb.13055:                            ;   in Loop: Header=BB6_10567 Depth=3
	v_bfe_u32 v3, v13, 16, 7
	v_cmp_ne_u32_e32 vcc, s86, v3
	v_mov_b32_e32 v0, 0x7f800001
	s_and_saveexec_b64 s[34:35], vcc
	s_cbranch_execz .LBB6_13057
; %bb.13056:                            ;   in Loop: Header=BB6_10567 Depth=3
	v_and_b32_e32 v0, 7, v17
	v_lshrrev_b32_e32 v5, 3, v3
	v_cmp_gt_u32_e32 vcc, 8, v3
	v_ffbh_u32_e32 v3, v0
	v_min_u32_e32 v6, 32, v3
	v_subrev_u32_e32 v3, 28, v6
	v_lshlrev_b64 v[3:4], v3, v[17:18]
	v_sub_u32_e32 v4, 29, v6
	v_and_b32_e32 v3, 7, v3
	v_cndmask_b32_e32 v4, v5, v4, vcc
	v_cndmask_b32_e32 v0, v0, v3, vcc
	v_lshlrev_b32_e32 v3, 8, v13
	v_bfrev_b32_e32 v5, 60
	v_lshlrev_b32_e32 v0, 20, v0
	v_and_b32_e32 v3, 0x80000000, v3
	v_lshl_add_u32 v4, v4, 23, v5
	v_or3_b32 v0, v3, v4, v0
.LBB6_13057:                            ;   in Loop: Header=BB6_10567 Depth=3
	s_or_b64 exec, exec, s[34:35]
.LBB6_13058:                            ;   in Loop: Header=BB6_10567 Depth=3
	s_or_b64 exec, exec, s[30:31]
.LBB6_13059:                            ;   in Loop: Header=BB6_10567 Depth=3
	s_or_b64 exec, exec, s[28:29]
	v_add_f32_e32 v1, v1, v0
	v_and_b32_e32 v3, 0x7f800000, v1
	v_mov_b32_e32 v4, v51
	v_cmp_ne_u64_e32 vcc, s[76:77], v[3:4]
                                        ; implicit-def: $vgpr18
	s_and_saveexec_b64 s[28:29], vcc
	s_xor_b64 s[30:31], exec, s[28:29]
	s_cbranch_execz .LBB6_13073
; %bb.13060:                            ;   in Loop: Header=BB6_10567 Depth=3
	v_and_b32_e32 v3, 0x7fffffff, v1
	v_mov_b32_e32 v4, v51
	v_cmp_gt_u64_e32 vcc, s[78:79], v[3:4]
	v_and_b32_sdwa v0, v1, s96 dst_sel:DWORD dst_unused:UNUSED_PAD src0_sel:BYTE_3 src1_sel:DWORD
                                        ; implicit-def: $vgpr18
	s_and_saveexec_b64 s[28:29], vcc
	s_xor_b64 s[34:35], exec, s[28:29]
	s_cbranch_execz .LBB6_13070
; %bb.13061:                            ;   in Loop: Header=BB6_10567 Depth=3
	v_mov_b32_e32 v18, 0
	v_cmp_ne_u32_e32 vcc, 0, v1
	s_and_saveexec_b64 s[36:37], vcc
	s_cbranch_execz .LBB6_13069
; %bb.13062:                            ;   in Loop: Header=BB6_10567 Depth=3
	v_and_b32_e32 v4, 0x7fffff, v1
	v_bfe_u32 v1, v1, 23, 8
	v_cmp_gt_u32_e64 s[28:29], s97, v1
	v_sub_u32_e32 v3, 0x79, v1
	v_cmp_eq_u32_e32 vcc, 0, v1
	v_cndmask_b32_e64 v3, 0, v3, s[28:29]
	v_mov_b32_e32 v6, 0x78
	v_cndmask_b32_e32 v3, v3, v6, vcc
	v_add_u32_e32 v6, 20, v3
	v_or_b32_e32 v5, 0x800000, v4
	v_lshlrev_b64 v[17:18], v6, -1
	v_add_u32_e32 v6, 19, v3
	v_cndmask_b32_e32 v4, v5, v4, vcc
	v_lshlrev_b64 v[23:24], v6, 1
	v_mov_b32_e32 v5, v51
	v_bfi_b32 v18, v18, 0, 0
	v_bfi_b32 v17, v17, 0, v4
	v_cmp_eq_u64_e64 s[28:29], v[17:18], v[23:24]
	v_lshrrev_b64 v[17:18], v3, v[4:5]
	v_mov_b32_e32 v4, v17
	v_mov_b32_e32 v5, v18
	s_and_saveexec_b64 s[38:39], s[28:29]
; %bb.13063:                            ;   in Loop: Header=BB6_10567 Depth=3
	v_bfe_u32 v4, v17, 20, 1
	v_add_co_u32_e64 v4, s[28:29], v17, v4
	v_add_co_u32_e64 v4, s[28:29], -1, v4
; %bb.13064:                            ;   in Loop: Header=BB6_10567 Depth=3
	s_or_b64 exec, exec, s[38:39]
	v_add_u32_e32 v1, 0xffffff81, v1
	v_mov_b32_e32 v5, 0xffffff82
	v_cndmask_b32_e32 v1, v1, v5, vcc
	v_lshrrev_b32_e32 v5, 23, v17
	v_add3_u32 v5, v3, v1, v5
	v_add_u32_e32 v3, 6, v5
	v_and_b32_e32 v1, 0xfffff, v4
	v_add_u32_e32 v17, v1, v17
	v_mov_b32_e32 v18, v51
	v_cmp_ne_u32_e32 vcc, 0, v3
                                        ; implicit-def: $vgpr1
	s_and_saveexec_b64 s[28:29], vcc
	s_xor_b64 s[28:29], exec, s[28:29]
; %bb.13065:                            ;   in Loop: Header=BB6_10567 Depth=3
	v_cmp_lt_u64_e32 vcc, s[88:89], v[17:18]
	v_add_u32_e32 v1, 7, v5
	v_cndmask_b32_e32 v1, v3, v1, vcc
	v_cndmask_b32_e64 v3, 0, 1, vcc
	v_lshrrev_b64 v[17:18], v3, v[17:18]
; %bb.13066:                            ;   in Loop: Header=BB6_10567 Depth=3
	s_andn2_saveexec_b64 s[28:29], s[28:29]
; %bb.13067:                            ;   in Loop: Header=BB6_10567 Depth=3
	v_bfe_u32 v1, v17, 23, 1
; %bb.13068:                            ;   in Loop: Header=BB6_10567 Depth=3
	s_or_b64 exec, exec, s[28:29]
	v_lshrrev_b64 v[3:4], 20, v[17:18]
	v_cmp_gt_i32_e32 vcc, 16, v1
	v_cndmask_b32_e32 v4, 0, v4, vcc
	v_cndmask_b32_e32 v3, 7, v3, vcc
	v_cmp_eq_u32_e32 vcc, 0, v1
	v_min_i32_e32 v1, 15, v1
	v_cmp_eq_u64_e64 s[28:29], 0, v[3:4]
	v_lshlrev_b32_e32 v1, 3, v1
	v_and_b32_e32 v1, 0xf8, v1
	v_and_or_b32 v1, v3, 7, v1
	s_and_b64 s[28:29], vcc, s[28:29]
	v_cndmask_b32_e64 v1, v1, 0, s[28:29]
	v_or_b32_e32 v18, v1, v0
.LBB6_13069:                            ;   in Loop: Header=BB6_10567 Depth=3
	s_or_b64 exec, exec, s[36:37]
                                        ; implicit-def: $vgpr0
.LBB6_13070:                            ;   in Loop: Header=BB6_10567 Depth=3
	s_andn2_saveexec_b64 s[28:29], s[34:35]
; %bb.13071:                            ;   in Loop: Header=BB6_10567 Depth=3
	v_or_b32_e32 v18, 0x7e, v0
; %bb.13072:                            ;   in Loop: Header=BB6_10567 Depth=3
	s_or_b64 exec, exec, s[28:29]
                                        ; implicit-def: $vgpr1
.LBB6_13073:                            ;   in Loop: Header=BB6_10567 Depth=3
	s_andn2_saveexec_b64 s[28:29], s[30:31]
; %bb.13074:                            ;   in Loop: Header=BB6_10567 Depth=3
	v_or_b32_sdwa v18, v1, s86 dst_sel:DWORD dst_unused:UNUSED_PAD src0_sel:BYTE_3 src1_sel:DWORD
; %bb.13075:                            ;   in Loop: Header=BB6_10567 Depth=3
	s_or_b64 exec, exec, s[28:29]
	v_cmp_lt_u32_e32 vcc, s57, v16
	v_mov_b32_e32 v0, 0
	v_mov_b32_e32 v1, 0
	s_and_saveexec_b64 s[28:29], vcc
	s_cbranch_execz .LBB6_13081
; %bb.13076:                            ;   in Loop: Header=BB6_10567 Depth=3
	v_lshrrev_b32_e32 v17, 24, v16
	v_cmp_ne_u32_sdwa vcc, v16, s96 src0_sel:BYTE_3 src1_sel:DWORD
	v_bfrev_b32_e32 v1, 1
	s_and_saveexec_b64 s[30:31], vcc
	s_cbranch_execz .LBB6_13080
; %bb.13077:                            ;   in Loop: Header=BB6_10567 Depth=3
	v_bfe_u32 v3, v16, 24, 7
	v_cmp_ne_u32_e32 vcc, s86, v3
	v_mov_b32_e32 v1, 0x7f800001
	s_and_saveexec_b64 s[34:35], vcc
	s_cbranch_execz .LBB6_13079
; %bb.13078:                            ;   in Loop: Header=BB6_10567 Depth=3
	v_and_b32_e32 v1, 7, v17
	v_lshrrev_b32_e32 v5, 3, v3
	v_cmp_gt_u32_e32 vcc, 8, v3
	v_ffbh_u32_e32 v3, v1
	v_min_u32_e32 v6, 32, v3
	v_subrev_u32_e32 v3, 28, v6
	v_lshlrev_b64 v[3:4], v3, v[17:18]
	v_sub_u32_e32 v4, 29, v6
	v_and_b32_e32 v3, 7, v3
	v_cndmask_b32_e32 v1, v1, v3, vcc
	v_mov_b32_e32 v3, 24
	v_cndmask_b32_e32 v4, v5, v4, vcc
	v_lshlrev_b32_sdwa v3, v3, v16 dst_sel:DWORD dst_unused:UNUSED_PAD src0_sel:DWORD src1_sel:BYTE_3
	v_bfrev_b32_e32 v5, 60
	v_lshlrev_b32_e32 v1, 20, v1
	v_and_b32_e32 v3, 0x80000000, v3
	v_lshl_add_u32 v4, v4, 23, v5
	v_or3_b32 v1, v3, v4, v1
.LBB6_13079:                            ;   in Loop: Header=BB6_10567 Depth=3
	s_or_b64 exec, exec, s[34:35]
.LBB6_13080:                            ;   in Loop: Header=BB6_10567 Depth=3
	s_or_b64 exec, exec, s[30:31]
.LBB6_13081:                            ;   in Loop: Header=BB6_10567 Depth=3
	s_or_b64 exec, exec, s[28:29]
	v_cmp_lt_u64_e32 vcc, s[56:57], v[12:13]
	s_and_saveexec_b64 s[28:29], vcc
	s_cbranch_execz .LBB6_13087
; %bb.13082:                            ;   in Loop: Header=BB6_10567 Depth=3
	v_lshrrev_b32_e32 v12, 24, v13
	v_cmp_ne_u32_e32 vcc, s96, v12
	v_bfrev_b32_e32 v0, 1
	s_and_saveexec_b64 s[30:31], vcc
	s_cbranch_execz .LBB6_13086
; %bb.13083:                            ;   in Loop: Header=BB6_10567 Depth=3
	v_bfe_u32 v3, v13, 24, 7
	v_cmp_ne_u32_e32 vcc, s86, v3
	v_mov_b32_e32 v0, 0x7f800001
	s_and_saveexec_b64 s[34:35], vcc
	s_cbranch_execz .LBB6_13085
; %bb.13084:                            ;   in Loop: Header=BB6_10567 Depth=3
	v_and_b32_e32 v0, 7, v12
	v_lshrrev_b32_e32 v5, 3, v3
	v_cmp_gt_u32_e32 vcc, 8, v3
	v_ffbh_u32_e32 v3, v0
	v_min_u32_e32 v6, 32, v3
	v_subrev_u32_e32 v3, 28, v6
	v_lshlrev_b64 v[3:4], v3, v[12:13]
	v_sub_u32_e32 v4, 29, v6
	v_and_b32_e32 v3, 7, v3
	v_cndmask_b32_e32 v4, v5, v4, vcc
	v_cndmask_b32_e32 v0, v0, v3, vcc
	v_lshlrev_b32_e32 v3, 24, v12
	v_bfrev_b32_e32 v5, 60
	v_lshlrev_b32_e32 v0, 20, v0
	v_and_b32_e32 v3, 0x80000000, v3
	v_lshl_add_u32 v4, v4, 23, v5
	v_or3_b32 v0, v3, v4, v0
.LBB6_13085:                            ;   in Loop: Header=BB6_10567 Depth=3
	s_or_b64 exec, exec, s[34:35]
.LBB6_13086:                            ;   in Loop: Header=BB6_10567 Depth=3
	s_or_b64 exec, exec, s[30:31]
.LBB6_13087:                            ;   in Loop: Header=BB6_10567 Depth=3
	s_or_b64 exec, exec, s[28:29]
	v_add_f32_e32 v1, v1, v0
	v_and_b32_e32 v3, 0x7f800000, v1
	v_mov_b32_e32 v4, v51
	v_cmp_ne_u64_e32 vcc, s[76:77], v[3:4]
                                        ; implicit-def: $vgpr56
	s_and_saveexec_b64 s[28:29], vcc
	s_xor_b64 s[30:31], exec, s[28:29]
	s_cbranch_execz .LBB6_13101
; %bb.13088:                            ;   in Loop: Header=BB6_10567 Depth=3
	v_and_b32_e32 v3, 0x7fffffff, v1
	v_mov_b32_e32 v4, v51
	v_cmp_gt_u64_e32 vcc, s[78:79], v[3:4]
	v_and_b32_sdwa v0, v1, s96 dst_sel:DWORD dst_unused:UNUSED_PAD src0_sel:BYTE_3 src1_sel:DWORD
                                        ; implicit-def: $vgpr56
	s_and_saveexec_b64 s[28:29], vcc
	s_xor_b64 s[34:35], exec, s[28:29]
	s_cbranch_execz .LBB6_13098
; %bb.13089:                            ;   in Loop: Header=BB6_10567 Depth=3
	v_mov_b32_e32 v56, 0
	v_cmp_ne_u32_e32 vcc, 0, v1
	s_and_saveexec_b64 s[36:37], vcc
	s_cbranch_execz .LBB6_13097
; %bb.13090:                            ;   in Loop: Header=BB6_10567 Depth=3
	v_and_b32_e32 v4, 0x7fffff, v1
	v_bfe_u32 v1, v1, 23, 8
	v_cmp_gt_u32_e64 s[28:29], s97, v1
	v_sub_u32_e32 v3, 0x79, v1
	v_cmp_eq_u32_e32 vcc, 0, v1
	v_cndmask_b32_e64 v3, 0, v3, s[28:29]
	v_mov_b32_e32 v6, 0x78
	v_cndmask_b32_e32 v3, v3, v6, vcc
	v_add_u32_e32 v6, 20, v3
	v_or_b32_e32 v5, 0x800000, v4
	v_lshlrev_b64 v[12:13], v6, -1
	v_add_u32_e32 v6, 19, v3
	v_cndmask_b32_e32 v4, v5, v4, vcc
	v_lshlrev_b64 v[16:17], v6, 1
	v_mov_b32_e32 v5, v51
	v_bfi_b32 v13, v13, 0, 0
	v_bfi_b32 v12, v12, 0, v4
	v_cmp_eq_u64_e64 s[28:29], v[12:13], v[16:17]
	v_lshrrev_b64 v[12:13], v3, v[4:5]
	v_mov_b32_e32 v4, v12
	v_mov_b32_e32 v5, v13
	s_and_saveexec_b64 s[38:39], s[28:29]
; %bb.13091:                            ;   in Loop: Header=BB6_10567 Depth=3
	v_bfe_u32 v4, v12, 20, 1
	v_add_co_u32_e64 v4, s[28:29], v12, v4
	v_add_co_u32_e64 v4, s[28:29], -1, v4
; %bb.13092:                            ;   in Loop: Header=BB6_10567 Depth=3
	s_or_b64 exec, exec, s[38:39]
	v_add_u32_e32 v1, 0xffffff81, v1
	v_mov_b32_e32 v5, 0xffffff82
	v_cndmask_b32_e32 v1, v1, v5, vcc
	v_lshrrev_b32_e32 v5, 23, v12
	v_add3_u32 v5, v3, v1, v5
	v_add_u32_e32 v3, 6, v5
	v_and_b32_e32 v1, 0xfffff, v4
	v_add_u32_e32 v12, v1, v12
	v_mov_b32_e32 v13, v51
	v_cmp_ne_u32_e32 vcc, 0, v3
                                        ; implicit-def: $vgpr1
	s_and_saveexec_b64 s[28:29], vcc
	s_xor_b64 s[28:29], exec, s[28:29]
; %bb.13093:                            ;   in Loop: Header=BB6_10567 Depth=3
	v_cmp_lt_u64_e32 vcc, s[88:89], v[12:13]
	v_add_u32_e32 v1, 7, v5
	v_cndmask_b32_e32 v1, v3, v1, vcc
	v_cndmask_b32_e64 v3, 0, 1, vcc
	v_lshrrev_b64 v[12:13], v3, v[12:13]
; %bb.13094:                            ;   in Loop: Header=BB6_10567 Depth=3
	s_andn2_saveexec_b64 s[28:29], s[28:29]
; %bb.13095:                            ;   in Loop: Header=BB6_10567 Depth=3
	v_bfe_u32 v1, v12, 23, 1
; %bb.13096:                            ;   in Loop: Header=BB6_10567 Depth=3
	s_or_b64 exec, exec, s[28:29]
	v_lshrrev_b64 v[3:4], 20, v[12:13]
	v_cmp_gt_i32_e32 vcc, 16, v1
	v_cndmask_b32_e32 v4, 0, v4, vcc
	v_cndmask_b32_e32 v3, 7, v3, vcc
	v_cmp_eq_u32_e32 vcc, 0, v1
	v_min_i32_e32 v1, 15, v1
	v_cmp_eq_u64_e64 s[28:29], 0, v[3:4]
	v_lshlrev_b32_e32 v1, 3, v1
	v_and_b32_e32 v1, 0xf8, v1
	v_and_or_b32 v1, v3, 7, v1
	s_and_b64 s[28:29], vcc, s[28:29]
	v_cndmask_b32_e64 v1, v1, 0, s[28:29]
	v_or_b32_e32 v56, v1, v0
.LBB6_13097:                            ;   in Loop: Header=BB6_10567 Depth=3
	s_or_b64 exec, exec, s[36:37]
                                        ; implicit-def: $vgpr0
.LBB6_13098:                            ;   in Loop: Header=BB6_10567 Depth=3
	s_andn2_saveexec_b64 s[28:29], s[34:35]
; %bb.13099:                            ;   in Loop: Header=BB6_10567 Depth=3
	v_or_b32_e32 v56, 0x7e, v0
; %bb.13100:                            ;   in Loop: Header=BB6_10567 Depth=3
	s_or_b64 exec, exec, s[28:29]
                                        ; implicit-def: $vgpr1
.LBB6_13101:                            ;   in Loop: Header=BB6_10567 Depth=3
	s_andn2_saveexec_b64 s[28:29], s[30:31]
; %bb.13102:                            ;   in Loop: Header=BB6_10567 Depth=3
	v_or_b32_sdwa v56, v1, s86 dst_sel:DWORD dst_unused:UNUSED_PAD src0_sel:BYTE_3 src1_sel:DWORD
; %bb.13103:                            ;   in Loop: Header=BB6_10567 Depth=3
	s_or_b64 exec, exec, s[28:29]
	buffer_load_dword v0, off, s[0:3], s33 offset:168 ; 4-byte Folded Reload
	buffer_load_dword v1, off, s[0:3], s33 offset:192 ; 4-byte Folded Reload
	;; [unrolled: 1-line block ×3, first 2 shown]
	v_mov_b32_e32 v13, v51
	v_cmp_ne_u32_e32 vcc, 0, v31
	s_waitcnt vmcnt(2)
	v_lshl_or_b32 v0, v0, 8, v31
	s_waitcnt vmcnt(1)
	v_lshlrev_b32_e32 v1, 16, v1
	s_waitcnt vmcnt(0)
	v_lshlrev_b32_e32 v3, 24, v3
	v_or3_b32 v12, v1, v3, v0
	v_mov_b32_e32 v1, 0
	v_mov_b32_e32 v3, 0
	s_and_saveexec_b64 s[28:29], vcc
	s_cbranch_execz .LBB6_13109
; %bb.13104:                            ;   in Loop: Header=BB6_10567 Depth=3
	v_cmp_ne_u32_e32 vcc, s96, v31
	v_bfrev_b32_e32 v3, 1
	s_and_saveexec_b64 s[30:31], vcc
	s_cbranch_execz .LBB6_13108
; %bb.13105:                            ;   in Loop: Header=BB6_10567 Depth=3
	v_and_b32_e32 v4, 0x7f, v31
	v_cmp_ne_u32_e32 vcc, s86, v4
	v_mov_b32_e32 v3, 0x7f800001
	s_and_saveexec_b64 s[34:35], vcc
	s_cbranch_execz .LBB6_13107
; %bb.13106:                            ;   in Loop: Header=BB6_10567 Depth=3
	v_and_b32_e32 v3, 7, v31
	v_ffbh_u32_e32 v3, v3
	v_min_u32_e32 v3, 32, v3
	v_lshrrev_b32_e32 v5, 3, v4
	v_cmp_gt_u32_e32 vcc, 8, v4
	v_subrev_u32_e32 v4, 28, v3
	v_sub_u32_e32 v3, 29, v3
	v_cndmask_b32_e32 v5, v5, v3, vcc
	v_cndmask_b32_e32 v3, 0, v4, vcc
	v_lshlrev_b64 v[3:4], v3, v[12:13]
	v_lshlrev_b32_e32 v4, 24, v12
	v_lshlrev_b32_e32 v3, 20, v3
	v_bfrev_b32_e32 v6, 60
	v_and_b32_e32 v3, 0x700000, v3
	v_and_b32_e32 v4, 0x80000000, v4
	v_lshl_add_u32 v5, v5, 23, v6
	v_or3_b32 v3, v4, v5, v3
.LBB6_13107:                            ;   in Loop: Header=BB6_10567 Depth=3
	s_or_b64 exec, exec, s[34:35]
.LBB6_13108:                            ;   in Loop: Header=BB6_10567 Depth=3
	s_or_b64 exec, exec, s[30:31]
.LBB6_13109:                            ;   in Loop: Header=BB6_10567 Depth=3
	s_or_b64 exec, exec, s[28:29]
	v_cmp_ne_u16_sdwa vcc, v14, v51 src0_sel:BYTE_0 src1_sel:DWORD
	s_and_saveexec_b64 s[28:29], vcc
	s_cbranch_execz .LBB6_13115
; %bb.13110:                            ;   in Loop: Header=BB6_10567 Depth=3
	v_cmp_ne_u16_sdwa vcc, v14, s96 src0_sel:BYTE_0 src1_sel:DWORD
	v_bfrev_b32_e32 v1, 1
	s_and_saveexec_b64 s[30:31], vcc
	s_cbranch_execz .LBB6_13114
; %bb.13111:                            ;   in Loop: Header=BB6_10567 Depth=3
	v_and_b32_e32 v4, 0x7f, v14
	v_cmp_ne_u32_e32 vcc, s86, v4
	v_mov_b32_e32 v1, 0x7f800001
	s_and_saveexec_b64 s[34:35], vcc
	s_cbranch_execz .LBB6_13113
; %bb.13112:                            ;   in Loop: Header=BB6_10567 Depth=3
	v_and_b32_e32 v1, 7, v14
	v_ffbh_u32_e32 v1, v1
	v_min_u32_e32 v1, 32, v1
	v_lshrrev_b32_e32 v5, 3, v4
	v_cmp_gt_u32_e32 vcc, 8, v4
	v_subrev_u32_e32 v4, 28, v1
	v_sub_u32_e32 v1, 29, v1
	v_cndmask_b32_e32 v4, 0, v4, vcc
	v_cndmask_b32_e32 v1, v5, v1, vcc
	v_lshlrev_b64 v[4:5], v4, v[14:15]
	v_lshlrev_b32_e32 v5, 24, v14
	v_lshlrev_b32_e32 v4, 20, v4
	v_bfrev_b32_e32 v6, 60
	v_and_b32_e32 v4, 0x700000, v4
	v_and_b32_e32 v5, 0x80000000, v5
	v_lshl_add_u32 v1, v1, 23, v6
	v_or3_b32 v1, v5, v1, v4
.LBB6_13113:                            ;   in Loop: Header=BB6_10567 Depth=3
	s_or_b64 exec, exec, s[34:35]
.LBB6_13114:                            ;   in Loop: Header=BB6_10567 Depth=3
	s_or_b64 exec, exec, s[30:31]
.LBB6_13115:                            ;   in Loop: Header=BB6_10567 Depth=3
	s_or_b64 exec, exec, s[28:29]
	v_add_f32_e32 v3, v3, v1
	v_and_b32_e32 v4, 0x7f800000, v3
	v_mov_b32_e32 v5, v51
	v_cmp_ne_u64_e32 vcc, s[76:77], v[4:5]
                                        ; implicit-def: $vgpr31
	s_and_saveexec_b64 s[28:29], vcc
	s_xor_b64 s[30:31], exec, s[28:29]
	s_cbranch_execz .LBB6_13129
; %bb.13116:                            ;   in Loop: Header=BB6_10567 Depth=3
	v_and_b32_e32 v4, 0x7fffffff, v3
	v_mov_b32_e32 v5, v51
	v_cmp_gt_u64_e32 vcc, s[78:79], v[4:5]
	v_and_b32_sdwa v1, v3, s96 dst_sel:DWORD dst_unused:UNUSED_PAD src0_sel:BYTE_3 src1_sel:DWORD
                                        ; implicit-def: $vgpr31
	s_and_saveexec_b64 s[28:29], vcc
	s_xor_b64 s[34:35], exec, s[28:29]
	s_cbranch_execz .LBB6_13126
; %bb.13117:                            ;   in Loop: Header=BB6_10567 Depth=3
	v_mov_b32_e32 v31, 0
	v_cmp_ne_u32_e32 vcc, 0, v3
	s_and_saveexec_b64 s[36:37], vcc
	s_cbranch_execz .LBB6_13125
; %bb.13118:                            ;   in Loop: Header=BB6_10567 Depth=3
	v_and_b32_e32 v4, 0x7fffff, v3
	v_bfe_u32 v3, v3, 23, 8
	v_cmp_gt_u32_e64 s[28:29], s97, v3
	v_sub_u32_e32 v5, 0x79, v3
	v_cmp_eq_u32_e32 vcc, 0, v3
	v_cndmask_b32_e64 v5, 0, v5, s[28:29]
	v_mov_b32_e32 v6, 0x78
	v_or_b32_e32 v13, 0x800000, v4
	v_cndmask_b32_e32 v6, v5, v6, vcc
	v_cndmask_b32_e32 v4, v13, v4, vcc
	v_add_u32_e32 v13, 20, v6
	v_lshlrev_b64 v[16:17], v13, -1
	v_add_u32_e32 v13, 19, v6
	v_lshlrev_b64 v[23:24], v13, 1
	v_mov_b32_e32 v5, v51
	v_bfi_b32 v17, v17, 0, 0
	v_bfi_b32 v16, v16, 0, v4
	v_cmp_eq_u64_e64 s[28:29], v[16:17], v[23:24]
	v_lshrrev_b64 v[16:17], v6, v[4:5]
	v_mov_b32_e32 v4, v16
	v_mov_b32_e32 v5, v17
	s_and_saveexec_b64 s[38:39], s[28:29]
; %bb.13119:                            ;   in Loop: Header=BB6_10567 Depth=3
	v_bfe_u32 v4, v16, 20, 1
	v_add_co_u32_e64 v4, s[28:29], v16, v4
	v_add_co_u32_e64 v4, s[28:29], -1, v4
; %bb.13120:                            ;   in Loop: Header=BB6_10567 Depth=3
	s_or_b64 exec, exec, s[38:39]
	v_add_u32_e32 v3, 0xffffff81, v3
	v_mov_b32_e32 v5, 0xffffff82
	v_cndmask_b32_e32 v3, v3, v5, vcc
	v_lshrrev_b32_e32 v5, 23, v16
	v_add3_u32 v6, v6, v3, v5
	v_add_u32_e32 v5, 6, v6
	v_and_b32_e32 v3, 0xfffff, v4
	v_add_u32_e32 v16, v3, v16
	v_mov_b32_e32 v17, v51
	v_cmp_ne_u32_e32 vcc, 0, v5
                                        ; implicit-def: $vgpr3
	s_and_saveexec_b64 s[28:29], vcc
	s_xor_b64 s[28:29], exec, s[28:29]
; %bb.13121:                            ;   in Loop: Header=BB6_10567 Depth=3
	v_cmp_lt_u64_e32 vcc, s[88:89], v[16:17]
	v_add_u32_e32 v3, 7, v6
	v_cndmask_b32_e64 v4, 0, 1, vcc
	v_lshrrev_b64 v[16:17], v4, v[16:17]
	v_cndmask_b32_e32 v3, v5, v3, vcc
; %bb.13122:                            ;   in Loop: Header=BB6_10567 Depth=3
	s_andn2_saveexec_b64 s[28:29], s[28:29]
; %bb.13123:                            ;   in Loop: Header=BB6_10567 Depth=3
	v_bfe_u32 v3, v16, 23, 1
; %bb.13124:                            ;   in Loop: Header=BB6_10567 Depth=3
	s_or_b64 exec, exec, s[28:29]
	v_lshrrev_b64 v[4:5], 20, v[16:17]
	v_cmp_gt_i32_e32 vcc, 16, v3
	v_cndmask_b32_e32 v5, 0, v5, vcc
	v_cndmask_b32_e32 v4, 7, v4, vcc
	v_cmp_eq_u32_e32 vcc, 0, v3
	v_min_i32_e32 v3, 15, v3
	v_cmp_eq_u64_e64 s[28:29], 0, v[4:5]
	v_lshlrev_b32_e32 v3, 3, v3
	v_and_b32_e32 v3, 0xf8, v3
	v_and_or_b32 v3, v4, 7, v3
	s_and_b64 s[28:29], vcc, s[28:29]
	v_cndmask_b32_e64 v3, v3, 0, s[28:29]
	v_or_b32_e32 v31, v3, v1
.LBB6_13125:                            ;   in Loop: Header=BB6_10567 Depth=3
	s_or_b64 exec, exec, s[36:37]
                                        ; implicit-def: $vgpr1
.LBB6_13126:                            ;   in Loop: Header=BB6_10567 Depth=3
	s_andn2_saveexec_b64 s[28:29], s[34:35]
; %bb.13127:                            ;   in Loop: Header=BB6_10567 Depth=3
	v_or_b32_e32 v31, 0x7e, v1
; %bb.13128:                            ;   in Loop: Header=BB6_10567 Depth=3
	s_or_b64 exec, exec, s[28:29]
                                        ; implicit-def: $vgpr3
.LBB6_13129:                            ;   in Loop: Header=BB6_10567 Depth=3
	s_andn2_saveexec_b64 s[28:29], s[30:31]
; %bb.13130:                            ;   in Loop: Header=BB6_10567 Depth=3
	v_or_b32_sdwa v31, v3, s86 dst_sel:DWORD dst_unused:UNUSED_PAD src0_sel:BYTE_3 src1_sel:DWORD
; %bb.13131:                            ;   in Loop: Header=BB6_10567 Depth=3
	s_or_b64 exec, exec, s[28:29]
	v_lshrrev_b16_e32 v13, 8, v0
	v_cmp_ne_u16_e32 vcc, 0, v13
	v_mov_b32_e32 v1, 0
	v_mov_b32_e32 v3, 0
	s_and_saveexec_b64 s[28:29], vcc
	s_cbranch_execz .LBB6_13137
; %bb.13132:                            ;   in Loop: Header=BB6_10567 Depth=3
	v_cmp_ne_u16_e32 vcc, s96, v13
	v_bfrev_b32_e32 v3, 1
	s_and_saveexec_b64 s[30:31], vcc
	s_cbranch_execz .LBB6_13136
; %bb.13133:                            ;   in Loop: Header=BB6_10567 Depth=3
	v_and_b32_e32 v4, 0x7f, v13
	v_cmp_ne_u32_e32 vcc, s86, v4
	v_mov_b32_e32 v3, 0x7f800001
	s_and_saveexec_b64 s[34:35], vcc
	s_cbranch_execz .LBB6_13135
; %bb.13134:                            ;   in Loop: Header=BB6_10567 Depth=3
	v_and_b32_e32 v5, 7, v13
	v_ffbh_u32_e32 v3, v5
	v_min_u32_e32 v16, 32, v3
	v_subrev_u32_e32 v3, 28, v16
	v_lshrrev_b32_e32 v6, 3, v4
	v_cmp_gt_u32_e32 vcc, 8, v4
	v_lshlrev_b64 v[3:4], v3, v[13:14]
	v_sub_u32_e32 v4, 29, v16
	v_and_b32_e32 v3, 7, v3
	v_cndmask_b32_e32 v4, v6, v4, vcc
	v_cndmask_b32_e32 v3, v5, v3, vcc
	v_lshlrev_b32_e32 v0, 16, v0
	v_bfrev_b32_e32 v5, 60
	v_lshlrev_b32_e32 v3, 20, v3
	v_and_b32_e32 v0, 0x80000000, v0
	v_lshl_add_u32 v4, v4, 23, v5
	v_or3_b32 v3, v0, v4, v3
.LBB6_13135:                            ;   in Loop: Header=BB6_10567 Depth=3
	s_or_b64 exec, exec, s[34:35]
.LBB6_13136:                            ;   in Loop: Header=BB6_10567 Depth=3
	s_or_b64 exec, exec, s[30:31]
.LBB6_13137:                            ;   in Loop: Header=BB6_10567 Depth=3
	s_or_b64 exec, exec, s[28:29]
	v_lshrrev_b16_e32 v13, 8, v14
	v_cmp_ne_u16_e32 vcc, 0, v13
	s_and_saveexec_b64 s[28:29], vcc
	s_cbranch_execz .LBB6_13143
; %bb.13138:                            ;   in Loop: Header=BB6_10567 Depth=3
	v_cmp_ne_u16_e32 vcc, s96, v13
	v_bfrev_b32_e32 v1, 1
	s_and_saveexec_b64 s[30:31], vcc
	s_cbranch_execz .LBB6_13142
; %bb.13139:                            ;   in Loop: Header=BB6_10567 Depth=3
	v_and_b32_e32 v0, 0x7f, v13
	v_cmp_ne_u32_e32 vcc, s86, v0
	v_mov_b32_e32 v1, 0x7f800001
	s_and_saveexec_b64 s[34:35], vcc
	s_cbranch_execz .LBB6_13141
; %bb.13140:                            ;   in Loop: Header=BB6_10567 Depth=3
	v_and_b32_e32 v4, 7, v13
	v_lshrrev_b32_e32 v5, 3, v0
	v_cmp_gt_u32_e32 vcc, 8, v0
	v_ffbh_u32_e32 v0, v4
	v_min_u32_e32 v6, 32, v0
	v_subrev_u32_e32 v0, 28, v6
	v_lshlrev_b64 v[0:1], v0, v[13:14]
	v_sub_u32_e32 v1, 29, v6
	v_and_b32_e32 v0, 7, v0
	v_cndmask_b32_e32 v1, v5, v1, vcc
	v_cndmask_b32_e32 v0, v4, v0, vcc
	v_lshlrev_b32_e32 v4, 16, v14
	v_bfrev_b32_e32 v5, 60
	v_lshlrev_b32_e32 v0, 20, v0
	v_and_b32_e32 v4, 0x80000000, v4
	v_lshl_add_u32 v1, v1, 23, v5
	v_or3_b32 v1, v4, v1, v0
.LBB6_13141:                            ;   in Loop: Header=BB6_10567 Depth=3
	s_or_b64 exec, exec, s[34:35]
.LBB6_13142:                            ;   in Loop: Header=BB6_10567 Depth=3
	s_or_b64 exec, exec, s[30:31]
.LBB6_13143:                            ;   in Loop: Header=BB6_10567 Depth=3
	s_or_b64 exec, exec, s[28:29]
	v_add_f32_e32 v1, v3, v1
	v_and_b32_e32 v3, 0x7f800000, v1
	v_mov_b32_e32 v4, v51
	v_cmp_ne_u64_e32 vcc, s[76:77], v[3:4]
                                        ; implicit-def: $vgpr57
	s_and_saveexec_b64 s[28:29], vcc
	s_xor_b64 s[30:31], exec, s[28:29]
	s_cbranch_execz .LBB6_13157
; %bb.13144:                            ;   in Loop: Header=BB6_10567 Depth=3
	v_and_b32_e32 v3, 0x7fffffff, v1
	v_mov_b32_e32 v4, v51
	v_cmp_gt_u64_e32 vcc, s[78:79], v[3:4]
	v_and_b32_sdwa v0, v1, s96 dst_sel:DWORD dst_unused:UNUSED_PAD src0_sel:BYTE_3 src1_sel:DWORD
                                        ; implicit-def: $vgpr57
	s_and_saveexec_b64 s[28:29], vcc
	s_xor_b64 s[34:35], exec, s[28:29]
	s_cbranch_execz .LBB6_13154
; %bb.13145:                            ;   in Loop: Header=BB6_10567 Depth=3
	v_mov_b32_e32 v57, 0
	v_cmp_ne_u32_e32 vcc, 0, v1
	s_and_saveexec_b64 s[36:37], vcc
	s_cbranch_execz .LBB6_13153
; %bb.13146:                            ;   in Loop: Header=BB6_10567 Depth=3
	v_and_b32_e32 v4, 0x7fffff, v1
	v_bfe_u32 v1, v1, 23, 8
	v_cmp_gt_u32_e64 s[28:29], s97, v1
	v_sub_u32_e32 v3, 0x79, v1
	v_cmp_eq_u32_e32 vcc, 0, v1
	v_cndmask_b32_e64 v3, 0, v3, s[28:29]
	v_mov_b32_e32 v6, 0x78
	v_cndmask_b32_e32 v3, v3, v6, vcc
	v_add_u32_e32 v6, 20, v3
	v_or_b32_e32 v5, 0x800000, v4
	v_lshlrev_b64 v[16:17], v6, -1
	v_add_u32_e32 v6, 19, v3
	v_cndmask_b32_e32 v4, v5, v4, vcc
	v_lshlrev_b64 v[23:24], v6, 1
	v_mov_b32_e32 v5, v51
	v_bfi_b32 v17, v17, 0, 0
	v_bfi_b32 v16, v16, 0, v4
	v_cmp_eq_u64_e64 s[28:29], v[16:17], v[23:24]
	v_lshrrev_b64 v[16:17], v3, v[4:5]
	v_mov_b32_e32 v4, v16
	v_mov_b32_e32 v5, v17
	s_and_saveexec_b64 s[38:39], s[28:29]
; %bb.13147:                            ;   in Loop: Header=BB6_10567 Depth=3
	v_bfe_u32 v4, v16, 20, 1
	v_add_co_u32_e64 v4, s[28:29], v16, v4
	v_add_co_u32_e64 v4, s[28:29], -1, v4
; %bb.13148:                            ;   in Loop: Header=BB6_10567 Depth=3
	s_or_b64 exec, exec, s[38:39]
	v_add_u32_e32 v1, 0xffffff81, v1
	v_mov_b32_e32 v5, 0xffffff82
	v_cndmask_b32_e32 v1, v1, v5, vcc
	v_lshrrev_b32_e32 v5, 23, v16
	v_add3_u32 v5, v3, v1, v5
	v_add_u32_e32 v3, 6, v5
	v_and_b32_e32 v1, 0xfffff, v4
	v_add_u32_e32 v16, v1, v16
	v_mov_b32_e32 v17, v51
	v_cmp_ne_u32_e32 vcc, 0, v3
                                        ; implicit-def: $vgpr1
	s_and_saveexec_b64 s[28:29], vcc
	s_xor_b64 s[28:29], exec, s[28:29]
; %bb.13149:                            ;   in Loop: Header=BB6_10567 Depth=3
	v_cmp_lt_u64_e32 vcc, s[88:89], v[16:17]
	v_add_u32_e32 v1, 7, v5
	v_cndmask_b32_e32 v1, v3, v1, vcc
	v_cndmask_b32_e64 v3, 0, 1, vcc
	v_lshrrev_b64 v[16:17], v3, v[16:17]
; %bb.13150:                            ;   in Loop: Header=BB6_10567 Depth=3
	s_andn2_saveexec_b64 s[28:29], s[28:29]
; %bb.13151:                            ;   in Loop: Header=BB6_10567 Depth=3
	v_bfe_u32 v1, v16, 23, 1
; %bb.13152:                            ;   in Loop: Header=BB6_10567 Depth=3
	s_or_b64 exec, exec, s[28:29]
	v_lshrrev_b64 v[3:4], 20, v[16:17]
	v_cmp_gt_i32_e32 vcc, 16, v1
	v_cndmask_b32_e32 v4, 0, v4, vcc
	v_cndmask_b32_e32 v3, 7, v3, vcc
	v_cmp_eq_u32_e32 vcc, 0, v1
	v_min_i32_e32 v1, 15, v1
	v_cmp_eq_u64_e64 s[28:29], 0, v[3:4]
	v_lshlrev_b32_e32 v1, 3, v1
	v_and_b32_e32 v1, 0xf8, v1
	v_and_or_b32 v1, v3, 7, v1
	s_and_b64 s[28:29], vcc, s[28:29]
	v_cndmask_b32_e64 v1, v1, 0, s[28:29]
	v_or_b32_e32 v57, v1, v0
.LBB6_13153:                            ;   in Loop: Header=BB6_10567 Depth=3
	s_or_b64 exec, exec, s[36:37]
                                        ; implicit-def: $vgpr0
.LBB6_13154:                            ;   in Loop: Header=BB6_10567 Depth=3
	s_andn2_saveexec_b64 s[28:29], s[34:35]
; %bb.13155:                            ;   in Loop: Header=BB6_10567 Depth=3
	v_or_b32_e32 v57, 0x7e, v0
; %bb.13156:                            ;   in Loop: Header=BB6_10567 Depth=3
	s_or_b64 exec, exec, s[28:29]
                                        ; implicit-def: $vgpr1
.LBB6_13157:                            ;   in Loop: Header=BB6_10567 Depth=3
	s_andn2_saveexec_b64 s[28:29], s[30:31]
; %bb.13158:                            ;   in Loop: Header=BB6_10567 Depth=3
	v_or_b32_sdwa v57, v1, s86 dst_sel:DWORD dst_unused:UNUSED_PAD src0_sel:BYTE_3 src1_sel:DWORD
; %bb.13159:                            ;   in Loop: Header=BB6_10567 Depth=3
	s_or_b64 exec, exec, s[28:29]
	v_lshrrev_b32_e32 v13, 16, v12
	v_cmp_ne_u16_sdwa vcc, v13, v51 src0_sel:BYTE_0 src1_sel:DWORD
	v_mov_b32_e32 v0, 0
	v_mov_b32_e32 v1, 0
	s_and_saveexec_b64 s[28:29], vcc
	s_cbranch_execz .LBB6_13165
; %bb.13160:                            ;   in Loop: Header=BB6_10567 Depth=3
	v_cmp_ne_u16_sdwa vcc, v13, s96 src0_sel:BYTE_0 src1_sel:DWORD
	v_bfrev_b32_e32 v1, 1
	s_and_saveexec_b64 s[30:31], vcc
	s_cbranch_execz .LBB6_13164
; %bb.13161:                            ;   in Loop: Header=BB6_10567 Depth=3
	v_bfe_u32 v3, v12, 16, 7
	v_cmp_ne_u32_e32 vcc, s86, v3
	v_mov_b32_e32 v1, 0x7f800001
	s_and_saveexec_b64 s[34:35], vcc
	s_cbranch_execz .LBB6_13163
; %bb.13162:                            ;   in Loop: Header=BB6_10567 Depth=3
	v_and_b32_e32 v1, 7, v13
	v_lshrrev_b32_e32 v5, 3, v3
	v_cmp_gt_u32_e32 vcc, 8, v3
	v_ffbh_u32_e32 v3, v1
	v_min_u32_e32 v6, 32, v3
	v_subrev_u32_e32 v3, 28, v6
	v_lshlrev_b64 v[3:4], v3, v[13:14]
	v_sub_u32_e32 v4, 29, v6
	v_and_b32_e32 v3, 7, v3
	v_cndmask_b32_e32 v4, v5, v4, vcc
	v_cndmask_b32_e32 v1, v1, v3, vcc
	v_lshlrev_b32_e32 v3, 24, v13
	v_bfrev_b32_e32 v5, 60
	v_lshlrev_b32_e32 v1, 20, v1
	v_and_b32_e32 v3, 0x80000000, v3
	v_lshl_add_u32 v4, v4, 23, v5
	v_or3_b32 v1, v3, v4, v1
.LBB6_13163:                            ;   in Loop: Header=BB6_10567 Depth=3
	s_or_b64 exec, exec, s[34:35]
.LBB6_13164:                            ;   in Loop: Header=BB6_10567 Depth=3
	s_or_b64 exec, exec, s[30:31]
.LBB6_13165:                            ;   in Loop: Header=BB6_10567 Depth=3
	s_or_b64 exec, exec, s[28:29]
	v_lshrrev_b32_e32 v13, 16, v14
	v_cmp_ne_u16_sdwa vcc, v13, v51 src0_sel:BYTE_0 src1_sel:DWORD
	s_and_saveexec_b64 s[28:29], vcc
	s_cbranch_execz .LBB6_13171
; %bb.13166:                            ;   in Loop: Header=BB6_10567 Depth=3
	v_cmp_ne_u16_sdwa vcc, v13, s96 src0_sel:BYTE_0 src1_sel:DWORD
	v_bfrev_b32_e32 v0, 1
	s_and_saveexec_b64 s[30:31], vcc
	s_cbranch_execz .LBB6_13170
; %bb.13167:                            ;   in Loop: Header=BB6_10567 Depth=3
	v_bfe_u32 v3, v14, 16, 7
	v_cmp_ne_u32_e32 vcc, s86, v3
	v_mov_b32_e32 v0, 0x7f800001
	s_and_saveexec_b64 s[34:35], vcc
	s_cbranch_execz .LBB6_13169
; %bb.13168:                            ;   in Loop: Header=BB6_10567 Depth=3
	v_and_b32_e32 v0, 7, v13
	v_lshrrev_b32_e32 v5, 3, v3
	v_cmp_gt_u32_e32 vcc, 8, v3
	v_ffbh_u32_e32 v3, v0
	v_min_u32_e32 v6, 32, v3
	v_subrev_u32_e32 v3, 28, v6
	v_lshlrev_b64 v[3:4], v3, v[13:14]
	v_sub_u32_e32 v4, 29, v6
	v_and_b32_e32 v3, 7, v3
	v_cndmask_b32_e32 v4, v5, v4, vcc
	v_cndmask_b32_e32 v0, v0, v3, vcc
	v_lshlrev_b32_e32 v3, 8, v14
	v_bfrev_b32_e32 v5, 60
	v_lshlrev_b32_e32 v0, 20, v0
	v_and_b32_e32 v3, 0x80000000, v3
	v_lshl_add_u32 v4, v4, 23, v5
	v_or3_b32 v0, v3, v4, v0
.LBB6_13169:                            ;   in Loop: Header=BB6_10567 Depth=3
	s_or_b64 exec, exec, s[34:35]
.LBB6_13170:                            ;   in Loop: Header=BB6_10567 Depth=3
	s_or_b64 exec, exec, s[30:31]
.LBB6_13171:                            ;   in Loop: Header=BB6_10567 Depth=3
	s_or_b64 exec, exec, s[28:29]
	v_add_f32_e32 v1, v1, v0
	v_and_b32_e32 v3, 0x7f800000, v1
	v_mov_b32_e32 v4, v51
	v_cmp_ne_u64_e32 vcc, s[76:77], v[3:4]
                                        ; implicit-def: $vgpr59
	s_and_saveexec_b64 s[28:29], vcc
	s_xor_b64 s[30:31], exec, s[28:29]
	s_cbranch_execz .LBB6_13185
; %bb.13172:                            ;   in Loop: Header=BB6_10567 Depth=3
	v_and_b32_e32 v3, 0x7fffffff, v1
	v_mov_b32_e32 v4, v51
	v_cmp_gt_u64_e32 vcc, s[78:79], v[3:4]
	v_and_b32_sdwa v0, v1, s96 dst_sel:DWORD dst_unused:UNUSED_PAD src0_sel:BYTE_3 src1_sel:DWORD
                                        ; implicit-def: $vgpr59
	s_and_saveexec_b64 s[28:29], vcc
	s_xor_b64 s[34:35], exec, s[28:29]
	s_cbranch_execz .LBB6_13182
; %bb.13173:                            ;   in Loop: Header=BB6_10567 Depth=3
	v_mov_b32_e32 v59, 0
	v_cmp_ne_u32_e32 vcc, 0, v1
	s_and_saveexec_b64 s[36:37], vcc
	s_cbranch_execz .LBB6_13181
; %bb.13174:                            ;   in Loop: Header=BB6_10567 Depth=3
	v_and_b32_e32 v4, 0x7fffff, v1
	v_bfe_u32 v1, v1, 23, 8
	v_cmp_gt_u32_e64 s[28:29], s97, v1
	v_sub_u32_e32 v3, 0x79, v1
	v_cmp_eq_u32_e32 vcc, 0, v1
	v_cndmask_b32_e64 v3, 0, v3, s[28:29]
	v_mov_b32_e32 v6, 0x78
	v_cndmask_b32_e32 v3, v3, v6, vcc
	v_add_u32_e32 v6, 20, v3
	v_or_b32_e32 v5, 0x800000, v4
	v_lshlrev_b64 v[16:17], v6, -1
	v_add_u32_e32 v6, 19, v3
	v_cndmask_b32_e32 v4, v5, v4, vcc
	v_lshlrev_b64 v[23:24], v6, 1
	v_mov_b32_e32 v5, v51
	v_bfi_b32 v17, v17, 0, 0
	v_bfi_b32 v16, v16, 0, v4
	v_cmp_eq_u64_e64 s[28:29], v[16:17], v[23:24]
	v_lshrrev_b64 v[16:17], v3, v[4:5]
	v_mov_b32_e32 v4, v16
	v_mov_b32_e32 v5, v17
	s_and_saveexec_b64 s[38:39], s[28:29]
; %bb.13175:                            ;   in Loop: Header=BB6_10567 Depth=3
	v_bfe_u32 v4, v16, 20, 1
	v_add_co_u32_e64 v4, s[28:29], v16, v4
	v_add_co_u32_e64 v4, s[28:29], -1, v4
; %bb.13176:                            ;   in Loop: Header=BB6_10567 Depth=3
	s_or_b64 exec, exec, s[38:39]
	v_add_u32_e32 v1, 0xffffff81, v1
	v_mov_b32_e32 v5, 0xffffff82
	v_cndmask_b32_e32 v1, v1, v5, vcc
	v_lshrrev_b32_e32 v5, 23, v16
	v_add3_u32 v5, v3, v1, v5
	v_add_u32_e32 v3, 6, v5
	v_and_b32_e32 v1, 0xfffff, v4
	v_add_u32_e32 v16, v1, v16
	v_mov_b32_e32 v17, v51
	v_cmp_ne_u32_e32 vcc, 0, v3
                                        ; implicit-def: $vgpr1
	s_and_saveexec_b64 s[28:29], vcc
	s_xor_b64 s[28:29], exec, s[28:29]
; %bb.13177:                            ;   in Loop: Header=BB6_10567 Depth=3
	v_cmp_lt_u64_e32 vcc, s[88:89], v[16:17]
	v_add_u32_e32 v1, 7, v5
	v_cndmask_b32_e32 v1, v3, v1, vcc
	v_cndmask_b32_e64 v3, 0, 1, vcc
	v_lshrrev_b64 v[16:17], v3, v[16:17]
; %bb.13178:                            ;   in Loop: Header=BB6_10567 Depth=3
	s_andn2_saveexec_b64 s[28:29], s[28:29]
; %bb.13179:                            ;   in Loop: Header=BB6_10567 Depth=3
	v_bfe_u32 v1, v16, 23, 1
; %bb.13180:                            ;   in Loop: Header=BB6_10567 Depth=3
	s_or_b64 exec, exec, s[28:29]
	v_lshrrev_b64 v[3:4], 20, v[16:17]
	v_cmp_gt_i32_e32 vcc, 16, v1
	v_cndmask_b32_e32 v4, 0, v4, vcc
	v_cndmask_b32_e32 v3, 7, v3, vcc
	v_cmp_eq_u32_e32 vcc, 0, v1
	v_min_i32_e32 v1, 15, v1
	v_cmp_eq_u64_e64 s[28:29], 0, v[3:4]
	v_lshlrev_b32_e32 v1, 3, v1
	v_and_b32_e32 v1, 0xf8, v1
	v_and_or_b32 v1, v3, 7, v1
	s_and_b64 s[28:29], vcc, s[28:29]
	v_cndmask_b32_e64 v1, v1, 0, s[28:29]
	v_or_b32_e32 v59, v1, v0
.LBB6_13181:                            ;   in Loop: Header=BB6_10567 Depth=3
	s_or_b64 exec, exec, s[36:37]
                                        ; implicit-def: $vgpr0
.LBB6_13182:                            ;   in Loop: Header=BB6_10567 Depth=3
	s_andn2_saveexec_b64 s[28:29], s[34:35]
; %bb.13183:                            ;   in Loop: Header=BB6_10567 Depth=3
	v_or_b32_e32 v59, 0x7e, v0
; %bb.13184:                            ;   in Loop: Header=BB6_10567 Depth=3
	s_or_b64 exec, exec, s[28:29]
                                        ; implicit-def: $vgpr1
.LBB6_13185:                            ;   in Loop: Header=BB6_10567 Depth=3
	s_andn2_saveexec_b64 s[28:29], s[30:31]
; %bb.13186:                            ;   in Loop: Header=BB6_10567 Depth=3
	v_or_b32_sdwa v59, v1, s86 dst_sel:DWORD dst_unused:UNUSED_PAD src0_sel:BYTE_3 src1_sel:DWORD
; %bb.13187:                            ;   in Loop: Header=BB6_10567 Depth=3
	s_or_b64 exec, exec, s[28:29]
	v_cmp_lt_u32_e32 vcc, s57, v12
	v_mov_b32_e32 v0, 0
	v_mov_b32_e32 v1, 0
	s_and_saveexec_b64 s[28:29], vcc
	s_cbranch_execz .LBB6_13193
; %bb.13188:                            ;   in Loop: Header=BB6_10567 Depth=3
	v_lshrrev_b32_e32 v13, 24, v12
	v_cmp_ne_u32_sdwa vcc, v12, s96 src0_sel:BYTE_3 src1_sel:DWORD
	v_bfrev_b32_e32 v1, 1
	s_and_saveexec_b64 s[30:31], vcc
	s_cbranch_execz .LBB6_13192
; %bb.13189:                            ;   in Loop: Header=BB6_10567 Depth=3
	v_bfe_u32 v3, v12, 24, 7
	v_cmp_ne_u32_e32 vcc, s86, v3
	v_mov_b32_e32 v1, 0x7f800001
	s_and_saveexec_b64 s[34:35], vcc
	s_cbranch_execz .LBB6_13191
; %bb.13190:                            ;   in Loop: Header=BB6_10567 Depth=3
	v_and_b32_e32 v1, 7, v13
	v_lshrrev_b32_e32 v5, 3, v3
	v_cmp_gt_u32_e32 vcc, 8, v3
	v_ffbh_u32_e32 v3, v1
	v_min_u32_e32 v6, 32, v3
	v_subrev_u32_e32 v3, 28, v6
	v_lshlrev_b64 v[3:4], v3, v[13:14]
	v_sub_u32_e32 v4, 29, v6
	v_and_b32_e32 v3, 7, v3
	v_cndmask_b32_e32 v1, v1, v3, vcc
	v_mov_b32_e32 v3, 24
	v_cndmask_b32_e32 v4, v5, v4, vcc
	v_lshlrev_b32_sdwa v3, v3, v12 dst_sel:DWORD dst_unused:UNUSED_PAD src0_sel:DWORD src1_sel:BYTE_3
	v_bfrev_b32_e32 v5, 60
	v_lshlrev_b32_e32 v1, 20, v1
	v_and_b32_e32 v3, 0x80000000, v3
	v_lshl_add_u32 v4, v4, 23, v5
	v_or3_b32 v1, v3, v4, v1
.LBB6_13191:                            ;   in Loop: Header=BB6_10567 Depth=3
	s_or_b64 exec, exec, s[34:35]
.LBB6_13192:                            ;   in Loop: Header=BB6_10567 Depth=3
	s_or_b64 exec, exec, s[30:31]
.LBB6_13193:                            ;   in Loop: Header=BB6_10567 Depth=3
	s_or_b64 exec, exec, s[28:29]
	v_cmp_lt_u32_e32 vcc, s57, v14
	s_and_saveexec_b64 s[28:29], vcc
	s_cbranch_execz .LBB6_13199
; %bb.13194:                            ;   in Loop: Header=BB6_10567 Depth=3
	v_lshrrev_b32_e32 v12, 24, v14
	v_cmp_ne_u32_e32 vcc, s96, v12
	v_bfrev_b32_e32 v0, 1
	s_and_saveexec_b64 s[30:31], vcc
	s_cbranch_execz .LBB6_13198
; %bb.13195:                            ;   in Loop: Header=BB6_10567 Depth=3
	v_bfe_u32 v3, v14, 24, 7
	v_cmp_ne_u32_e32 vcc, s86, v3
	v_mov_b32_e32 v0, 0x7f800001
	s_and_saveexec_b64 s[34:35], vcc
	s_cbranch_execz .LBB6_13197
; %bb.13196:                            ;   in Loop: Header=BB6_10567 Depth=3
	v_and_b32_e32 v0, 7, v12
	v_lshrrev_b32_e32 v5, 3, v3
	v_cmp_gt_u32_e32 vcc, 8, v3
	v_ffbh_u32_e32 v3, v0
	v_min_u32_e32 v6, 32, v3
	v_subrev_u32_e32 v3, 28, v6
	v_lshlrev_b64 v[3:4], v3, v[12:13]
	v_sub_u32_e32 v4, 29, v6
	v_and_b32_e32 v3, 7, v3
	v_cndmask_b32_e32 v4, v5, v4, vcc
	v_cndmask_b32_e32 v0, v0, v3, vcc
	v_lshlrev_b32_e32 v3, 24, v12
	v_bfrev_b32_e32 v5, 60
	v_lshlrev_b32_e32 v0, 20, v0
	v_and_b32_e32 v3, 0x80000000, v3
	v_lshl_add_u32 v4, v4, 23, v5
	v_or3_b32 v0, v3, v4, v0
.LBB6_13197:                            ;   in Loop: Header=BB6_10567 Depth=3
	s_or_b64 exec, exec, s[34:35]
.LBB6_13198:                            ;   in Loop: Header=BB6_10567 Depth=3
	s_or_b64 exec, exec, s[30:31]
.LBB6_13199:                            ;   in Loop: Header=BB6_10567 Depth=3
	s_or_b64 exec, exec, s[28:29]
	v_add_f32_e32 v1, v1, v0
	v_and_b32_e32 v3, 0x7f800000, v1
	v_mov_b32_e32 v4, v51
	v_cmp_ne_u64_e32 vcc, s[76:77], v[3:4]
                                        ; implicit-def: $vgpr53
	s_and_saveexec_b64 s[28:29], vcc
	s_xor_b64 s[30:31], exec, s[28:29]
	s_cbranch_execz .LBB6_13213
; %bb.13200:                            ;   in Loop: Header=BB6_10567 Depth=3
	v_and_b32_e32 v3, 0x7fffffff, v1
	v_mov_b32_e32 v4, v51
	v_cmp_gt_u64_e32 vcc, s[78:79], v[3:4]
	v_and_b32_sdwa v0, v1, s96 dst_sel:DWORD dst_unused:UNUSED_PAD src0_sel:BYTE_3 src1_sel:DWORD
                                        ; implicit-def: $vgpr53
	s_and_saveexec_b64 s[28:29], vcc
	s_xor_b64 s[34:35], exec, s[28:29]
	s_cbranch_execz .LBB6_13210
; %bb.13201:                            ;   in Loop: Header=BB6_10567 Depth=3
	v_mov_b32_e32 v53, 0
	v_cmp_ne_u32_e32 vcc, 0, v1
	s_and_saveexec_b64 s[36:37], vcc
	s_cbranch_execz .LBB6_13209
; %bb.13202:                            ;   in Loop: Header=BB6_10567 Depth=3
	v_and_b32_e32 v4, 0x7fffff, v1
	v_bfe_u32 v1, v1, 23, 8
	v_cmp_gt_u32_e64 s[28:29], s97, v1
	v_sub_u32_e32 v3, 0x79, v1
	v_cmp_eq_u32_e32 vcc, 0, v1
	v_cndmask_b32_e64 v3, 0, v3, s[28:29]
	v_mov_b32_e32 v6, 0x78
	v_cndmask_b32_e32 v3, v3, v6, vcc
	v_add_u32_e32 v6, 20, v3
	v_or_b32_e32 v5, 0x800000, v4
	v_lshlrev_b64 v[12:13], v6, -1
	v_add_u32_e32 v6, 19, v3
	v_cndmask_b32_e32 v4, v5, v4, vcc
	v_lshlrev_b64 v[16:17], v6, 1
	v_mov_b32_e32 v5, v51
	v_bfi_b32 v13, v13, 0, 0
	v_bfi_b32 v12, v12, 0, v4
	v_cmp_eq_u64_e64 s[28:29], v[12:13], v[16:17]
	v_lshrrev_b64 v[12:13], v3, v[4:5]
	v_mov_b32_e32 v4, v12
	v_mov_b32_e32 v5, v13
	s_and_saveexec_b64 s[38:39], s[28:29]
; %bb.13203:                            ;   in Loop: Header=BB6_10567 Depth=3
	v_bfe_u32 v4, v12, 20, 1
	v_add_co_u32_e64 v4, s[28:29], v12, v4
	v_add_co_u32_e64 v4, s[28:29], -1, v4
; %bb.13204:                            ;   in Loop: Header=BB6_10567 Depth=3
	s_or_b64 exec, exec, s[38:39]
	v_add_u32_e32 v1, 0xffffff81, v1
	v_mov_b32_e32 v5, 0xffffff82
	v_cndmask_b32_e32 v1, v1, v5, vcc
	v_lshrrev_b32_e32 v5, 23, v12
	v_add3_u32 v5, v3, v1, v5
	v_add_u32_e32 v3, 6, v5
	v_and_b32_e32 v1, 0xfffff, v4
	v_add_u32_e32 v12, v1, v12
	v_mov_b32_e32 v13, v51
	v_cmp_ne_u32_e32 vcc, 0, v3
                                        ; implicit-def: $vgpr1
	s_and_saveexec_b64 s[28:29], vcc
	s_xor_b64 s[28:29], exec, s[28:29]
; %bb.13205:                            ;   in Loop: Header=BB6_10567 Depth=3
	v_cmp_lt_u64_e32 vcc, s[88:89], v[12:13]
	v_add_u32_e32 v1, 7, v5
	v_cndmask_b32_e32 v1, v3, v1, vcc
	v_cndmask_b32_e64 v3, 0, 1, vcc
	v_lshrrev_b64 v[12:13], v3, v[12:13]
; %bb.13206:                            ;   in Loop: Header=BB6_10567 Depth=3
	s_andn2_saveexec_b64 s[28:29], s[28:29]
; %bb.13207:                            ;   in Loop: Header=BB6_10567 Depth=3
	v_bfe_u32 v1, v12, 23, 1
; %bb.13208:                            ;   in Loop: Header=BB6_10567 Depth=3
	s_or_b64 exec, exec, s[28:29]
	v_lshrrev_b64 v[3:4], 20, v[12:13]
	v_cmp_gt_i32_e32 vcc, 16, v1
	v_cndmask_b32_e32 v4, 0, v4, vcc
	v_cndmask_b32_e32 v3, 7, v3, vcc
	v_cmp_eq_u32_e32 vcc, 0, v1
	v_min_i32_e32 v1, 15, v1
	v_cmp_eq_u64_e64 s[28:29], 0, v[3:4]
	v_lshlrev_b32_e32 v1, 3, v1
	v_and_b32_e32 v1, 0xf8, v1
	v_and_or_b32 v1, v3, 7, v1
	s_and_b64 s[28:29], vcc, s[28:29]
	v_cndmask_b32_e64 v1, v1, 0, s[28:29]
	v_or_b32_e32 v53, v1, v0
.LBB6_13209:                            ;   in Loop: Header=BB6_10567 Depth=3
	s_or_b64 exec, exec, s[36:37]
                                        ; implicit-def: $vgpr0
.LBB6_13210:                            ;   in Loop: Header=BB6_10567 Depth=3
	s_andn2_saveexec_b64 s[28:29], s[34:35]
; %bb.13211:                            ;   in Loop: Header=BB6_10567 Depth=3
	v_or_b32_e32 v53, 0x7e, v0
; %bb.13212:                            ;   in Loop: Header=BB6_10567 Depth=3
	s_or_b64 exec, exec, s[28:29]
                                        ; implicit-def: $vgpr1
.LBB6_13213:                            ;   in Loop: Header=BB6_10567 Depth=3
	s_andn2_saveexec_b64 s[28:29], s[30:31]
; %bb.13214:                            ;   in Loop: Header=BB6_10567 Depth=3
	v_or_b32_sdwa v53, v1, s86 dst_sel:DWORD dst_unused:UNUSED_PAD src0_sel:BYTE_3 src1_sel:DWORD
; %bb.13215:                            ;   in Loop: Header=BB6_10567 Depth=3
	s_or_b64 exec, exec, s[28:29]
	buffer_load_dword v0, off, s[0:3], s33 offset:196 ; 4-byte Folded Reload
	v_mov_b32_e32 v13, v51
	v_cmp_ne_u32_e32 vcc, 0, v50
	s_waitcnt vmcnt(0)
	v_lshlrev_b32_e32 v1, 24, v0
	buffer_load_dword v0, off, s[0:3], s33 offset:176 ; 4-byte Folded Reload
	s_waitcnt vmcnt(0)
	v_lshlrev_b32_e32 v3, 16, v0
	buffer_load_dword v0, off, s[0:3], s33 offset:152 ; 4-byte Folded Reload
	s_waitcnt vmcnt(0)
	v_lshl_or_b32 v0, v0, 8, v50
	v_or3_b32 v12, v3, v1, v0
	v_mov_b32_e32 v3, 0
	v_mov_b32_e32 v1, 0
	s_and_saveexec_b64 s[28:29], vcc
	s_cbranch_execz .LBB6_13221
; %bb.13216:                            ;   in Loop: Header=BB6_10567 Depth=3
	v_cmp_ne_u32_e32 vcc, s96, v50
	v_bfrev_b32_e32 v1, 1
	s_and_saveexec_b64 s[30:31], vcc
	s_cbranch_execz .LBB6_13220
; %bb.13217:                            ;   in Loop: Header=BB6_10567 Depth=3
	v_and_b32_e32 v4, 0x7f, v50
	v_cmp_ne_u32_e32 vcc, s86, v4
	v_mov_b32_e32 v1, 0x7f800001
	s_and_saveexec_b64 s[34:35], vcc
	s_cbranch_execz .LBB6_13219
; %bb.13218:                            ;   in Loop: Header=BB6_10567 Depth=3
	v_and_b32_e32 v1, 7, v50
	v_ffbh_u32_e32 v1, v1
	v_min_u32_e32 v1, 32, v1
	v_lshrrev_b32_e32 v5, 3, v4
	v_cmp_gt_u32_e32 vcc, 8, v4
	v_subrev_u32_e32 v4, 28, v1
	v_sub_u32_e32 v1, 29, v1
	v_cndmask_b32_e32 v4, 0, v4, vcc
	v_cndmask_b32_e32 v1, v5, v1, vcc
	v_lshlrev_b64 v[4:5], v4, v[12:13]
	v_lshlrev_b32_e32 v5, 24, v12
	v_lshlrev_b32_e32 v4, 20, v4
	v_bfrev_b32_e32 v6, 60
	v_and_b32_e32 v4, 0x700000, v4
	v_and_b32_e32 v5, 0x80000000, v5
	v_lshl_add_u32 v1, v1, 23, v6
	v_or3_b32 v1, v5, v1, v4
.LBB6_13219:                            ;   in Loop: Header=BB6_10567 Depth=3
	s_or_b64 exec, exec, s[34:35]
.LBB6_13220:                            ;   in Loop: Header=BB6_10567 Depth=3
	s_or_b64 exec, exec, s[30:31]
.LBB6_13221:                            ;   in Loop: Header=BB6_10567 Depth=3
	s_or_b64 exec, exec, s[28:29]
	v_cmp_ne_u16_sdwa vcc, v15, v51 src0_sel:BYTE_0 src1_sel:DWORD
	s_and_saveexec_b64 s[28:29], vcc
	s_cbranch_execz .LBB6_13227
; %bb.13222:                            ;   in Loop: Header=BB6_10567 Depth=3
	v_cmp_ne_u16_sdwa vcc, v15, s96 src0_sel:BYTE_0 src1_sel:DWORD
	v_bfrev_b32_e32 v3, 1
	s_and_saveexec_b64 s[30:31], vcc
	s_cbranch_execz .LBB6_13226
; %bb.13223:                            ;   in Loop: Header=BB6_10567 Depth=3
	v_and_b32_e32 v4, 0x7f, v15
	v_cmp_ne_u32_e32 vcc, s86, v4
	v_mov_b32_e32 v3, 0x7f800001
	s_and_saveexec_b64 s[34:35], vcc
	s_cbranch_execz .LBB6_13225
; %bb.13224:                            ;   in Loop: Header=BB6_10567 Depth=3
	v_and_b32_e32 v3, 7, v15
	v_ffbh_u32_e32 v3, v3
	v_min_u32_e32 v3, 32, v3
	v_lshrrev_b32_e32 v13, 3, v4
	v_cmp_gt_u32_e32 vcc, 8, v4
	v_subrev_u32_e32 v4, 28, v3
	v_sub_u32_e32 v3, 29, v3
	v_mov_b32_e32 v5, v15
	v_mov_b32_e32 v6, v51
	v_cndmask_b32_e32 v13, v13, v3, vcc
	v_cndmask_b32_e32 v3, 0, v4, vcc
	v_lshlrev_b64 v[3:4], v3, v[5:6]
	v_lshlrev_b32_e32 v4, 24, v5
	v_lshlrev_b32_e32 v3, 20, v3
	v_bfrev_b32_e32 v5, 60
	v_and_b32_e32 v3, 0x700000, v3
	v_and_b32_e32 v4, 0x80000000, v4
	v_lshl_add_u32 v5, v13, 23, v5
	v_or3_b32 v3, v4, v5, v3
.LBB6_13225:                            ;   in Loop: Header=BB6_10567 Depth=3
	s_or_b64 exec, exec, s[34:35]
.LBB6_13226:                            ;   in Loop: Header=BB6_10567 Depth=3
	s_or_b64 exec, exec, s[30:31]
.LBB6_13227:                            ;   in Loop: Header=BB6_10567 Depth=3
	s_or_b64 exec, exec, s[28:29]
	v_add_f32_e32 v3, v1, v3
	v_and_b32_e32 v4, 0x7f800000, v3
	v_mov_b32_e32 v5, v51
	v_cmp_ne_u64_e32 vcc, s[76:77], v[4:5]
                                        ; implicit-def: $vgpr50
	s_and_saveexec_b64 s[28:29], vcc
	s_xor_b64 s[30:31], exec, s[28:29]
	s_cbranch_execz .LBB6_13241
; %bb.13228:                            ;   in Loop: Header=BB6_10567 Depth=3
	v_and_b32_e32 v4, 0x7fffffff, v3
	v_mov_b32_e32 v5, v51
	v_cmp_gt_u64_e32 vcc, s[78:79], v[4:5]
	v_and_b32_sdwa v1, v3, s96 dst_sel:DWORD dst_unused:UNUSED_PAD src0_sel:BYTE_3 src1_sel:DWORD
                                        ; implicit-def: $vgpr50
	s_and_saveexec_b64 s[28:29], vcc
	s_xor_b64 s[34:35], exec, s[28:29]
	s_cbranch_execz .LBB6_13238
; %bb.13229:                            ;   in Loop: Header=BB6_10567 Depth=3
	v_mov_b32_e32 v50, 0
	v_cmp_ne_u32_e32 vcc, 0, v3
	s_and_saveexec_b64 s[36:37], vcc
	s_cbranch_execz .LBB6_13237
; %bb.13230:                            ;   in Loop: Header=BB6_10567 Depth=3
	v_and_b32_e32 v4, 0x7fffff, v3
	v_bfe_u32 v3, v3, 23, 8
	v_cmp_gt_u32_e64 s[28:29], s97, v3
	v_sub_u32_e32 v5, 0x79, v3
	v_cmp_eq_u32_e32 vcc, 0, v3
	v_cndmask_b32_e64 v5, 0, v5, s[28:29]
	v_mov_b32_e32 v6, 0x78
	v_or_b32_e32 v13, 0x800000, v4
	v_cndmask_b32_e32 v6, v5, v6, vcc
	v_cndmask_b32_e32 v4, v13, v4, vcc
	v_add_u32_e32 v13, 20, v6
	v_lshlrev_b64 v[16:17], v13, -1
	v_add_u32_e32 v13, 19, v6
	v_lshlrev_b64 v[23:24], v13, 1
	v_mov_b32_e32 v5, v51
	v_bfi_b32 v17, v17, 0, 0
	v_bfi_b32 v16, v16, 0, v4
	v_cmp_eq_u64_e64 s[28:29], v[16:17], v[23:24]
	v_lshrrev_b64 v[16:17], v6, v[4:5]
	v_mov_b32_e32 v4, v16
	v_mov_b32_e32 v5, v17
	s_and_saveexec_b64 s[38:39], s[28:29]
; %bb.13231:                            ;   in Loop: Header=BB6_10567 Depth=3
	v_bfe_u32 v4, v16, 20, 1
	v_add_co_u32_e64 v4, s[28:29], v16, v4
	v_add_co_u32_e64 v4, s[28:29], -1, v4
; %bb.13232:                            ;   in Loop: Header=BB6_10567 Depth=3
	s_or_b64 exec, exec, s[38:39]
	v_add_u32_e32 v3, 0xffffff81, v3
	v_mov_b32_e32 v5, 0xffffff82
	v_cndmask_b32_e32 v3, v3, v5, vcc
	v_lshrrev_b32_e32 v5, 23, v16
	v_add3_u32 v6, v6, v3, v5
	v_add_u32_e32 v5, 6, v6
	v_and_b32_e32 v3, 0xfffff, v4
	v_add_u32_e32 v16, v3, v16
	v_mov_b32_e32 v17, v51
	v_cmp_ne_u32_e32 vcc, 0, v5
                                        ; implicit-def: $vgpr3
	s_and_saveexec_b64 s[28:29], vcc
	s_xor_b64 s[28:29], exec, s[28:29]
; %bb.13233:                            ;   in Loop: Header=BB6_10567 Depth=3
	v_cmp_lt_u64_e32 vcc, s[88:89], v[16:17]
	v_add_u32_e32 v3, 7, v6
	v_cndmask_b32_e64 v4, 0, 1, vcc
	v_lshrrev_b64 v[16:17], v4, v[16:17]
	v_cndmask_b32_e32 v3, v5, v3, vcc
; %bb.13234:                            ;   in Loop: Header=BB6_10567 Depth=3
	s_andn2_saveexec_b64 s[28:29], s[28:29]
; %bb.13235:                            ;   in Loop: Header=BB6_10567 Depth=3
	v_bfe_u32 v3, v16, 23, 1
; %bb.13236:                            ;   in Loop: Header=BB6_10567 Depth=3
	s_or_b64 exec, exec, s[28:29]
	v_lshrrev_b64 v[4:5], 20, v[16:17]
	v_cmp_gt_i32_e32 vcc, 16, v3
	v_cndmask_b32_e32 v5, 0, v5, vcc
	v_cndmask_b32_e32 v4, 7, v4, vcc
	v_cmp_eq_u32_e32 vcc, 0, v3
	v_min_i32_e32 v3, 15, v3
	v_cmp_eq_u64_e64 s[28:29], 0, v[4:5]
	v_lshlrev_b32_e32 v3, 3, v3
	v_and_b32_e32 v3, 0xf8, v3
	v_and_or_b32 v3, v4, 7, v3
	s_and_b64 s[28:29], vcc, s[28:29]
	v_cndmask_b32_e64 v3, v3, 0, s[28:29]
	v_or_b32_e32 v50, v3, v1
.LBB6_13237:                            ;   in Loop: Header=BB6_10567 Depth=3
	s_or_b64 exec, exec, s[36:37]
                                        ; implicit-def: $vgpr1
.LBB6_13238:                            ;   in Loop: Header=BB6_10567 Depth=3
	s_andn2_saveexec_b64 s[28:29], s[34:35]
; %bb.13239:                            ;   in Loop: Header=BB6_10567 Depth=3
	v_or_b32_e32 v50, 0x7e, v1
; %bb.13240:                            ;   in Loop: Header=BB6_10567 Depth=3
	s_or_b64 exec, exec, s[28:29]
                                        ; implicit-def: $vgpr3
.LBB6_13241:                            ;   in Loop: Header=BB6_10567 Depth=3
	s_andn2_saveexec_b64 s[28:29], s[30:31]
; %bb.13242:                            ;   in Loop: Header=BB6_10567 Depth=3
	v_or_b32_sdwa v50, v3, s86 dst_sel:DWORD dst_unused:UNUSED_PAD src0_sel:BYTE_3 src1_sel:DWORD
; %bb.13243:                            ;   in Loop: Header=BB6_10567 Depth=3
	s_or_b64 exec, exec, s[28:29]
	v_lshrrev_b16_e32 v13, 8, v0
	v_cmp_ne_u16_e32 vcc, 0, v13
	v_mov_b32_e32 v1, 0
	v_mov_b32_e32 v3, 0
	s_and_saveexec_b64 s[28:29], vcc
	s_cbranch_execz .LBB6_13249
; %bb.13244:                            ;   in Loop: Header=BB6_10567 Depth=3
	v_cmp_ne_u16_e32 vcc, s96, v13
	v_bfrev_b32_e32 v3, 1
	s_and_saveexec_b64 s[30:31], vcc
	s_cbranch_execz .LBB6_13248
; %bb.13245:                            ;   in Loop: Header=BB6_10567 Depth=3
	v_and_b32_e32 v4, 0x7f, v13
	v_cmp_ne_u32_e32 vcc, s86, v4
	v_mov_b32_e32 v3, 0x7f800001
	s_and_saveexec_b64 s[34:35], vcc
	s_cbranch_execz .LBB6_13247
; %bb.13246:                            ;   in Loop: Header=BB6_10567 Depth=3
	v_and_b32_e32 v5, 7, v13
	v_ffbh_u32_e32 v3, v5
	v_min_u32_e32 v16, 32, v3
	v_subrev_u32_e32 v3, 28, v16
	v_lshrrev_b32_e32 v6, 3, v4
	v_cmp_gt_u32_e32 vcc, 8, v4
	v_lshlrev_b64 v[3:4], v3, v[13:14]
	v_sub_u32_e32 v4, 29, v16
	v_and_b32_e32 v3, 7, v3
	v_cndmask_b32_e32 v4, v6, v4, vcc
	v_cndmask_b32_e32 v3, v5, v3, vcc
	v_lshlrev_b32_e32 v0, 16, v0
	v_bfrev_b32_e32 v5, 60
	v_lshlrev_b32_e32 v3, 20, v3
	v_and_b32_e32 v0, 0x80000000, v0
	v_lshl_add_u32 v4, v4, 23, v5
	v_or3_b32 v3, v0, v4, v3
.LBB6_13247:                            ;   in Loop: Header=BB6_10567 Depth=3
	s_or_b64 exec, exec, s[34:35]
.LBB6_13248:                            ;   in Loop: Header=BB6_10567 Depth=3
	s_or_b64 exec, exec, s[30:31]
.LBB6_13249:                            ;   in Loop: Header=BB6_10567 Depth=3
	s_or_b64 exec, exec, s[28:29]
	v_lshrrev_b16_e32 v13, 8, v15
	v_cmp_ne_u16_e32 vcc, 0, v13
	s_and_saveexec_b64 s[28:29], vcc
	s_cbranch_execz .LBB6_13255
; %bb.13250:                            ;   in Loop: Header=BB6_10567 Depth=3
	v_cmp_ne_u16_e32 vcc, s96, v13
	v_bfrev_b32_e32 v1, 1
	s_and_saveexec_b64 s[30:31], vcc
	s_cbranch_execz .LBB6_13254
; %bb.13251:                            ;   in Loop: Header=BB6_10567 Depth=3
	v_and_b32_e32 v0, 0x7f, v13
	v_cmp_ne_u32_e32 vcc, s86, v0
	v_mov_b32_e32 v1, 0x7f800001
	s_and_saveexec_b64 s[34:35], vcc
	s_cbranch_execz .LBB6_13253
; %bb.13252:                            ;   in Loop: Header=BB6_10567 Depth=3
	v_and_b32_e32 v4, 7, v13
	v_lshrrev_b32_e32 v5, 3, v0
	v_cmp_gt_u32_e32 vcc, 8, v0
	v_ffbh_u32_e32 v0, v4
	v_min_u32_e32 v6, 32, v0
	v_subrev_u32_e32 v0, 28, v6
	v_lshlrev_b64 v[0:1], v0, v[13:14]
	v_sub_u32_e32 v1, 29, v6
	v_and_b32_e32 v0, 7, v0
	v_cndmask_b32_e32 v1, v5, v1, vcc
	v_cndmask_b32_e32 v0, v4, v0, vcc
	v_lshlrev_b32_e32 v4, 16, v15
	v_bfrev_b32_e32 v5, 60
	v_lshlrev_b32_e32 v0, 20, v0
	v_and_b32_e32 v4, 0x80000000, v4
	v_lshl_add_u32 v1, v1, 23, v5
	v_or3_b32 v1, v4, v1, v0
.LBB6_13253:                            ;   in Loop: Header=BB6_10567 Depth=3
	s_or_b64 exec, exec, s[34:35]
.LBB6_13254:                            ;   in Loop: Header=BB6_10567 Depth=3
	s_or_b64 exec, exec, s[30:31]
.LBB6_13255:                            ;   in Loop: Header=BB6_10567 Depth=3
	s_or_b64 exec, exec, s[28:29]
	v_add_f32_e32 v1, v3, v1
	v_and_b32_e32 v3, 0x7f800000, v1
	v_mov_b32_e32 v4, v51
	v_cmp_ne_u64_e32 vcc, s[76:77], v[3:4]
                                        ; implicit-def: $vgpr49
	s_and_saveexec_b64 s[28:29], vcc
	s_xor_b64 s[30:31], exec, s[28:29]
	s_cbranch_execz .LBB6_13269
; %bb.13256:                            ;   in Loop: Header=BB6_10567 Depth=3
	v_and_b32_e32 v3, 0x7fffffff, v1
	v_mov_b32_e32 v4, v51
	v_cmp_gt_u64_e32 vcc, s[78:79], v[3:4]
	v_and_b32_sdwa v0, v1, s96 dst_sel:DWORD dst_unused:UNUSED_PAD src0_sel:BYTE_3 src1_sel:DWORD
                                        ; implicit-def: $vgpr49
	s_and_saveexec_b64 s[28:29], vcc
	s_xor_b64 s[34:35], exec, s[28:29]
	s_cbranch_execz .LBB6_13266
; %bb.13257:                            ;   in Loop: Header=BB6_10567 Depth=3
	v_mov_b32_e32 v49, 0
	v_cmp_ne_u32_e32 vcc, 0, v1
	s_and_saveexec_b64 s[36:37], vcc
	s_cbranch_execz .LBB6_13265
; %bb.13258:                            ;   in Loop: Header=BB6_10567 Depth=3
	v_and_b32_e32 v4, 0x7fffff, v1
	v_bfe_u32 v1, v1, 23, 8
	v_cmp_gt_u32_e64 s[28:29], s97, v1
	v_sub_u32_e32 v3, 0x79, v1
	v_cmp_eq_u32_e32 vcc, 0, v1
	v_cndmask_b32_e64 v3, 0, v3, s[28:29]
	v_mov_b32_e32 v6, 0x78
	v_cndmask_b32_e32 v3, v3, v6, vcc
	v_add_u32_e32 v6, 20, v3
	v_or_b32_e32 v5, 0x800000, v4
	v_lshlrev_b64 v[16:17], v6, -1
	v_add_u32_e32 v6, 19, v3
	v_cndmask_b32_e32 v4, v5, v4, vcc
	v_lshlrev_b64 v[23:24], v6, 1
	v_mov_b32_e32 v5, v51
	v_bfi_b32 v17, v17, 0, 0
	v_bfi_b32 v16, v16, 0, v4
	v_cmp_eq_u64_e64 s[28:29], v[16:17], v[23:24]
	v_lshrrev_b64 v[16:17], v3, v[4:5]
	v_mov_b32_e32 v4, v16
	v_mov_b32_e32 v5, v17
	s_and_saveexec_b64 s[38:39], s[28:29]
; %bb.13259:                            ;   in Loop: Header=BB6_10567 Depth=3
	v_bfe_u32 v4, v16, 20, 1
	v_add_co_u32_e64 v4, s[28:29], v16, v4
	v_add_co_u32_e64 v4, s[28:29], -1, v4
; %bb.13260:                            ;   in Loop: Header=BB6_10567 Depth=3
	s_or_b64 exec, exec, s[38:39]
	v_add_u32_e32 v1, 0xffffff81, v1
	v_mov_b32_e32 v5, 0xffffff82
	v_cndmask_b32_e32 v1, v1, v5, vcc
	v_lshrrev_b32_e32 v5, 23, v16
	v_add3_u32 v5, v3, v1, v5
	v_add_u32_e32 v3, 6, v5
	v_and_b32_e32 v1, 0xfffff, v4
	v_add_u32_e32 v16, v1, v16
	v_mov_b32_e32 v17, v51
	v_cmp_ne_u32_e32 vcc, 0, v3
                                        ; implicit-def: $vgpr1
	s_and_saveexec_b64 s[28:29], vcc
	s_xor_b64 s[28:29], exec, s[28:29]
; %bb.13261:                            ;   in Loop: Header=BB6_10567 Depth=3
	v_cmp_lt_u64_e32 vcc, s[88:89], v[16:17]
	v_add_u32_e32 v1, 7, v5
	v_cndmask_b32_e32 v1, v3, v1, vcc
	v_cndmask_b32_e64 v3, 0, 1, vcc
	v_lshrrev_b64 v[16:17], v3, v[16:17]
; %bb.13262:                            ;   in Loop: Header=BB6_10567 Depth=3
	s_andn2_saveexec_b64 s[28:29], s[28:29]
; %bb.13263:                            ;   in Loop: Header=BB6_10567 Depth=3
	v_bfe_u32 v1, v16, 23, 1
; %bb.13264:                            ;   in Loop: Header=BB6_10567 Depth=3
	s_or_b64 exec, exec, s[28:29]
	v_lshrrev_b64 v[3:4], 20, v[16:17]
	v_cmp_gt_i32_e32 vcc, 16, v1
	v_cndmask_b32_e32 v4, 0, v4, vcc
	v_cndmask_b32_e32 v3, 7, v3, vcc
	v_cmp_eq_u32_e32 vcc, 0, v1
	v_min_i32_e32 v1, 15, v1
	v_cmp_eq_u64_e64 s[28:29], 0, v[3:4]
	v_lshlrev_b32_e32 v1, 3, v1
	v_and_b32_e32 v1, 0xf8, v1
	v_and_or_b32 v1, v3, 7, v1
	s_and_b64 s[28:29], vcc, s[28:29]
	v_cndmask_b32_e64 v1, v1, 0, s[28:29]
	v_or_b32_e32 v49, v1, v0
.LBB6_13265:                            ;   in Loop: Header=BB6_10567 Depth=3
	s_or_b64 exec, exec, s[36:37]
                                        ; implicit-def: $vgpr0
.LBB6_13266:                            ;   in Loop: Header=BB6_10567 Depth=3
	s_andn2_saveexec_b64 s[28:29], s[34:35]
; %bb.13267:                            ;   in Loop: Header=BB6_10567 Depth=3
	v_or_b32_e32 v49, 0x7e, v0
; %bb.13268:                            ;   in Loop: Header=BB6_10567 Depth=3
	s_or_b64 exec, exec, s[28:29]
                                        ; implicit-def: $vgpr1
.LBB6_13269:                            ;   in Loop: Header=BB6_10567 Depth=3
	s_andn2_saveexec_b64 s[28:29], s[30:31]
; %bb.13270:                            ;   in Loop: Header=BB6_10567 Depth=3
	v_or_b32_sdwa v49, v1, s86 dst_sel:DWORD dst_unused:UNUSED_PAD src0_sel:BYTE_3 src1_sel:DWORD
; %bb.13271:                            ;   in Loop: Header=BB6_10567 Depth=3
	s_or_b64 exec, exec, s[28:29]
	v_lshrrev_b32_e32 v13, 16, v12
	v_cmp_ne_u16_sdwa vcc, v13, v51 src0_sel:BYTE_0 src1_sel:DWORD
	v_mov_b32_e32 v0, 0
	v_mov_b32_e32 v1, 0
	s_and_saveexec_b64 s[28:29], vcc
	s_cbranch_execz .LBB6_13277
; %bb.13272:                            ;   in Loop: Header=BB6_10567 Depth=3
	v_cmp_ne_u16_sdwa vcc, v13, s96 src0_sel:BYTE_0 src1_sel:DWORD
	v_bfrev_b32_e32 v1, 1
	s_and_saveexec_b64 s[30:31], vcc
	s_cbranch_execz .LBB6_13276
; %bb.13273:                            ;   in Loop: Header=BB6_10567 Depth=3
	v_bfe_u32 v3, v12, 16, 7
	v_cmp_ne_u32_e32 vcc, s86, v3
	v_mov_b32_e32 v1, 0x7f800001
	s_and_saveexec_b64 s[34:35], vcc
	s_cbranch_execz .LBB6_13275
; %bb.13274:                            ;   in Loop: Header=BB6_10567 Depth=3
	v_and_b32_e32 v1, 7, v13
	v_lshrrev_b32_e32 v5, 3, v3
	v_cmp_gt_u32_e32 vcc, 8, v3
	v_ffbh_u32_e32 v3, v1
	v_min_u32_e32 v6, 32, v3
	v_subrev_u32_e32 v3, 28, v6
	v_lshlrev_b64 v[3:4], v3, v[13:14]
	v_sub_u32_e32 v4, 29, v6
	v_and_b32_e32 v3, 7, v3
	v_cndmask_b32_e32 v4, v5, v4, vcc
	v_cndmask_b32_e32 v1, v1, v3, vcc
	v_lshlrev_b32_e32 v3, 24, v13
	v_bfrev_b32_e32 v5, 60
	v_lshlrev_b32_e32 v1, 20, v1
	v_and_b32_e32 v3, 0x80000000, v3
	v_lshl_add_u32 v4, v4, 23, v5
	v_or3_b32 v1, v3, v4, v1
.LBB6_13275:                            ;   in Loop: Header=BB6_10567 Depth=3
	s_or_b64 exec, exec, s[34:35]
.LBB6_13276:                            ;   in Loop: Header=BB6_10567 Depth=3
	s_or_b64 exec, exec, s[30:31]
.LBB6_13277:                            ;   in Loop: Header=BB6_10567 Depth=3
	s_or_b64 exec, exec, s[28:29]
	v_lshrrev_b32_e32 v13, 16, v15
	v_cmp_ne_u16_sdwa vcc, v13, v51 src0_sel:BYTE_0 src1_sel:DWORD
	s_and_saveexec_b64 s[28:29], vcc
	s_cbranch_execz .LBB6_13283
; %bb.13278:                            ;   in Loop: Header=BB6_10567 Depth=3
	v_cmp_ne_u16_sdwa vcc, v13, s96 src0_sel:BYTE_0 src1_sel:DWORD
	v_bfrev_b32_e32 v0, 1
	s_and_saveexec_b64 s[30:31], vcc
	s_cbranch_execz .LBB6_13282
; %bb.13279:                            ;   in Loop: Header=BB6_10567 Depth=3
	v_bfe_u32 v3, v15, 16, 7
	v_cmp_ne_u32_e32 vcc, s86, v3
	v_mov_b32_e32 v0, 0x7f800001
	s_and_saveexec_b64 s[34:35], vcc
	s_cbranch_execz .LBB6_13281
; %bb.13280:                            ;   in Loop: Header=BB6_10567 Depth=3
	v_and_b32_e32 v0, 7, v13
	v_lshrrev_b32_e32 v5, 3, v3
	v_cmp_gt_u32_e32 vcc, 8, v3
	v_ffbh_u32_e32 v3, v0
	v_min_u32_e32 v6, 32, v3
	v_subrev_u32_e32 v3, 28, v6
	v_lshlrev_b64 v[3:4], v3, v[13:14]
	v_sub_u32_e32 v4, 29, v6
	v_and_b32_e32 v3, 7, v3
	v_cndmask_b32_e32 v4, v5, v4, vcc
	v_cndmask_b32_e32 v0, v0, v3, vcc
	v_lshlrev_b32_e32 v3, 8, v15
	v_bfrev_b32_e32 v5, 60
	v_lshlrev_b32_e32 v0, 20, v0
	v_and_b32_e32 v3, 0x80000000, v3
	v_lshl_add_u32 v4, v4, 23, v5
	v_or3_b32 v0, v3, v4, v0
.LBB6_13281:                            ;   in Loop: Header=BB6_10567 Depth=3
	s_or_b64 exec, exec, s[34:35]
.LBB6_13282:                            ;   in Loop: Header=BB6_10567 Depth=3
	s_or_b64 exec, exec, s[30:31]
.LBB6_13283:                            ;   in Loop: Header=BB6_10567 Depth=3
	s_or_b64 exec, exec, s[28:29]
	v_add_f32_e32 v1, v1, v0
	v_and_b32_e32 v3, 0x7f800000, v1
	v_mov_b32_e32 v4, v51
	v_cmp_ne_u64_e32 vcc, s[76:77], v[3:4]
                                        ; implicit-def: $vgpr16
	s_and_saveexec_b64 s[28:29], vcc
	s_xor_b64 s[30:31], exec, s[28:29]
	s_cbranch_execz .LBB6_13297
; %bb.13284:                            ;   in Loop: Header=BB6_10567 Depth=3
	v_and_b32_e32 v3, 0x7fffffff, v1
	v_mov_b32_e32 v4, v51
	v_cmp_gt_u64_e32 vcc, s[78:79], v[3:4]
	v_and_b32_sdwa v0, v1, s96 dst_sel:DWORD dst_unused:UNUSED_PAD src0_sel:BYTE_3 src1_sel:DWORD
                                        ; implicit-def: $vgpr16
	s_and_saveexec_b64 s[28:29], vcc
	s_xor_b64 s[34:35], exec, s[28:29]
	s_cbranch_execz .LBB6_13294
; %bb.13285:                            ;   in Loop: Header=BB6_10567 Depth=3
	v_mov_b32_e32 v16, 0
	v_cmp_ne_u32_e32 vcc, 0, v1
	s_and_saveexec_b64 s[36:37], vcc
	s_cbranch_execz .LBB6_13293
; %bb.13286:                            ;   in Loop: Header=BB6_10567 Depth=3
	v_and_b32_e32 v4, 0x7fffff, v1
	v_bfe_u32 v1, v1, 23, 8
	v_cmp_gt_u32_e64 s[28:29], s97, v1
	v_sub_u32_e32 v3, 0x79, v1
	v_cmp_eq_u32_e32 vcc, 0, v1
	v_cndmask_b32_e64 v3, 0, v3, s[28:29]
	v_mov_b32_e32 v6, 0x78
	v_cndmask_b32_e32 v3, v3, v6, vcc
	v_add_u32_e32 v6, 20, v3
	v_or_b32_e32 v5, 0x800000, v4
	v_lshlrev_b64 v[16:17], v6, -1
	v_add_u32_e32 v6, 19, v3
	v_cndmask_b32_e32 v4, v5, v4, vcc
	v_lshlrev_b64 v[23:24], v6, 1
	v_mov_b32_e32 v5, v51
	v_bfi_b32 v17, v17, 0, 0
	v_bfi_b32 v16, v16, 0, v4
	v_cmp_eq_u64_e64 s[28:29], v[16:17], v[23:24]
	v_lshrrev_b64 v[16:17], v3, v[4:5]
	v_mov_b32_e32 v4, v16
	v_mov_b32_e32 v5, v17
	s_and_saveexec_b64 s[38:39], s[28:29]
; %bb.13287:                            ;   in Loop: Header=BB6_10567 Depth=3
	v_bfe_u32 v4, v16, 20, 1
	v_add_co_u32_e64 v4, s[28:29], v16, v4
	v_add_co_u32_e64 v4, s[28:29], -1, v4
; %bb.13288:                            ;   in Loop: Header=BB6_10567 Depth=3
	s_or_b64 exec, exec, s[38:39]
	v_add_u32_e32 v1, 0xffffff81, v1
	v_mov_b32_e32 v5, 0xffffff82
	v_cndmask_b32_e32 v1, v1, v5, vcc
	v_lshrrev_b32_e32 v5, 23, v16
	v_add3_u32 v5, v3, v1, v5
	v_add_u32_e32 v3, 6, v5
	v_and_b32_e32 v1, 0xfffff, v4
	v_add_u32_e32 v16, v1, v16
	v_mov_b32_e32 v17, v51
	v_cmp_ne_u32_e32 vcc, 0, v3
                                        ; implicit-def: $vgpr1
	s_and_saveexec_b64 s[28:29], vcc
	s_xor_b64 s[28:29], exec, s[28:29]
; %bb.13289:                            ;   in Loop: Header=BB6_10567 Depth=3
	v_cmp_lt_u64_e32 vcc, s[88:89], v[16:17]
	v_add_u32_e32 v1, 7, v5
	v_cndmask_b32_e32 v1, v3, v1, vcc
	v_cndmask_b32_e64 v3, 0, 1, vcc
	v_lshrrev_b64 v[16:17], v3, v[16:17]
; %bb.13290:                            ;   in Loop: Header=BB6_10567 Depth=3
	s_andn2_saveexec_b64 s[28:29], s[28:29]
; %bb.13291:                            ;   in Loop: Header=BB6_10567 Depth=3
	v_bfe_u32 v1, v16, 23, 1
; %bb.13292:                            ;   in Loop: Header=BB6_10567 Depth=3
	s_or_b64 exec, exec, s[28:29]
	v_lshrrev_b64 v[3:4], 20, v[16:17]
	v_cmp_gt_i32_e32 vcc, 16, v1
	v_cndmask_b32_e32 v4, 0, v4, vcc
	v_cndmask_b32_e32 v3, 7, v3, vcc
	v_cmp_eq_u32_e32 vcc, 0, v1
	v_min_i32_e32 v1, 15, v1
	v_cmp_eq_u64_e64 s[28:29], 0, v[3:4]
	v_lshlrev_b32_e32 v1, 3, v1
	v_and_b32_e32 v1, 0xf8, v1
	v_and_or_b32 v1, v3, 7, v1
	s_and_b64 s[28:29], vcc, s[28:29]
	v_cndmask_b32_e64 v1, v1, 0, s[28:29]
	v_or_b32_e32 v16, v1, v0
.LBB6_13293:                            ;   in Loop: Header=BB6_10567 Depth=3
	s_or_b64 exec, exec, s[36:37]
                                        ; implicit-def: $vgpr0
.LBB6_13294:                            ;   in Loop: Header=BB6_10567 Depth=3
	s_andn2_saveexec_b64 s[28:29], s[34:35]
; %bb.13295:                            ;   in Loop: Header=BB6_10567 Depth=3
	v_or_b32_e32 v16, 0x7e, v0
; %bb.13296:                            ;   in Loop: Header=BB6_10567 Depth=3
	s_or_b64 exec, exec, s[28:29]
                                        ; implicit-def: $vgpr1
.LBB6_13297:                            ;   in Loop: Header=BB6_10567 Depth=3
	s_andn2_saveexec_b64 s[28:29], s[30:31]
; %bb.13298:                            ;   in Loop: Header=BB6_10567 Depth=3
	v_or_b32_sdwa v16, v1, s86 dst_sel:DWORD dst_unused:UNUSED_PAD src0_sel:BYTE_3 src1_sel:DWORD
; %bb.13299:                            ;   in Loop: Header=BB6_10567 Depth=3
	s_or_b64 exec, exec, s[28:29]
	v_cmp_lt_u32_e32 vcc, s57, v12
	v_mov_b32_e32 v0, 0
	v_mov_b32_e32 v1, 0
	s_and_saveexec_b64 s[28:29], vcc
	s_cbranch_execz .LBB6_13305
; %bb.13300:                            ;   in Loop: Header=BB6_10567 Depth=3
	v_lshrrev_b32_e32 v13, 24, v12
	v_cmp_ne_u32_sdwa vcc, v12, s96 src0_sel:BYTE_3 src1_sel:DWORD
	v_bfrev_b32_e32 v1, 1
	s_and_saveexec_b64 s[30:31], vcc
	s_cbranch_execz .LBB6_13304
; %bb.13301:                            ;   in Loop: Header=BB6_10567 Depth=3
	v_bfe_u32 v3, v12, 24, 7
	v_cmp_ne_u32_e32 vcc, s86, v3
	v_mov_b32_e32 v1, 0x7f800001
	s_and_saveexec_b64 s[34:35], vcc
	s_cbranch_execz .LBB6_13303
; %bb.13302:                            ;   in Loop: Header=BB6_10567 Depth=3
	v_and_b32_e32 v1, 7, v13
	v_lshrrev_b32_e32 v5, 3, v3
	v_cmp_gt_u32_e32 vcc, 8, v3
	v_ffbh_u32_e32 v3, v1
	v_min_u32_e32 v6, 32, v3
	v_subrev_u32_e32 v3, 28, v6
	v_lshlrev_b64 v[3:4], v3, v[13:14]
	v_sub_u32_e32 v4, 29, v6
	v_and_b32_e32 v3, 7, v3
	v_cndmask_b32_e32 v1, v1, v3, vcc
	v_mov_b32_e32 v3, 24
	v_cndmask_b32_e32 v4, v5, v4, vcc
	v_lshlrev_b32_sdwa v3, v3, v12 dst_sel:DWORD dst_unused:UNUSED_PAD src0_sel:DWORD src1_sel:BYTE_3
	v_bfrev_b32_e32 v5, 60
	v_lshlrev_b32_e32 v1, 20, v1
	v_and_b32_e32 v3, 0x80000000, v3
	v_lshl_add_u32 v4, v4, 23, v5
	v_or3_b32 v1, v3, v4, v1
.LBB6_13303:                            ;   in Loop: Header=BB6_10567 Depth=3
	s_or_b64 exec, exec, s[34:35]
.LBB6_13304:                            ;   in Loop: Header=BB6_10567 Depth=3
	s_or_b64 exec, exec, s[30:31]
.LBB6_13305:                            ;   in Loop: Header=BB6_10567 Depth=3
	s_or_b64 exec, exec, s[28:29]
	v_cmp_lt_u64_e32 vcc, s[56:57], v[14:15]
	s_and_saveexec_b64 s[28:29], vcc
	s_cbranch_execz .LBB6_13311
; %bb.13306:                            ;   in Loop: Header=BB6_10567 Depth=3
	v_lshrrev_b32_e32 v12, 24, v15
	v_cmp_ne_u32_e32 vcc, s96, v12
	v_bfrev_b32_e32 v0, 1
	s_and_saveexec_b64 s[30:31], vcc
	s_cbranch_execz .LBB6_13310
; %bb.13307:                            ;   in Loop: Header=BB6_10567 Depth=3
	v_bfe_u32 v3, v15, 24, 7
	v_cmp_ne_u32_e32 vcc, s86, v3
	v_mov_b32_e32 v0, 0x7f800001
	s_and_saveexec_b64 s[34:35], vcc
	s_cbranch_execz .LBB6_13309
; %bb.13308:                            ;   in Loop: Header=BB6_10567 Depth=3
	v_and_b32_e32 v0, 7, v12
	v_lshrrev_b32_e32 v5, 3, v3
	v_cmp_gt_u32_e32 vcc, 8, v3
	v_ffbh_u32_e32 v3, v0
	v_min_u32_e32 v6, 32, v3
	v_subrev_u32_e32 v3, 28, v6
	v_lshlrev_b64 v[3:4], v3, v[12:13]
	v_sub_u32_e32 v4, 29, v6
	v_and_b32_e32 v3, 7, v3
	v_cndmask_b32_e32 v4, v5, v4, vcc
	v_cndmask_b32_e32 v0, v0, v3, vcc
	v_lshlrev_b32_e32 v3, 24, v12
	v_bfrev_b32_e32 v5, 60
	v_lshlrev_b32_e32 v0, 20, v0
	v_and_b32_e32 v3, 0x80000000, v3
	v_lshl_add_u32 v4, v4, 23, v5
	v_or3_b32 v0, v3, v4, v0
.LBB6_13309:                            ;   in Loop: Header=BB6_10567 Depth=3
	s_or_b64 exec, exec, s[34:35]
.LBB6_13310:                            ;   in Loop: Header=BB6_10567 Depth=3
	s_or_b64 exec, exec, s[30:31]
.LBB6_13311:                            ;   in Loop: Header=BB6_10567 Depth=3
	s_or_b64 exec, exec, s[28:29]
	v_add_f32_e32 v1, v1, v0
	v_and_b32_e32 v3, 0x7f800000, v1
	v_mov_b32_e32 v4, v51
	v_cmp_ne_u64_e32 vcc, s[76:77], v[3:4]
                                        ; implicit-def: $vgpr15
	s_and_saveexec_b64 s[28:29], vcc
	s_xor_b64 s[30:31], exec, s[28:29]
	s_cbranch_execz .LBB6_13325
; %bb.13312:                            ;   in Loop: Header=BB6_10567 Depth=3
	v_and_b32_e32 v3, 0x7fffffff, v1
	v_mov_b32_e32 v4, v51
	v_cmp_gt_u64_e32 vcc, s[78:79], v[3:4]
	v_and_b32_sdwa v0, v1, s96 dst_sel:DWORD dst_unused:UNUSED_PAD src0_sel:BYTE_3 src1_sel:DWORD
                                        ; implicit-def: $vgpr15
	s_and_saveexec_b64 s[28:29], vcc
	s_xor_b64 s[34:35], exec, s[28:29]
	s_cbranch_execz .LBB6_13322
; %bb.13313:                            ;   in Loop: Header=BB6_10567 Depth=3
	v_mov_b32_e32 v15, 0
	v_cmp_ne_u32_e32 vcc, 0, v1
	s_and_saveexec_b64 s[36:37], vcc
	s_cbranch_execz .LBB6_13321
; %bb.13314:                            ;   in Loop: Header=BB6_10567 Depth=3
	v_and_b32_e32 v4, 0x7fffff, v1
	v_bfe_u32 v1, v1, 23, 8
	v_cmp_gt_u32_e64 s[28:29], s97, v1
	v_sub_u32_e32 v3, 0x79, v1
	v_cmp_eq_u32_e32 vcc, 0, v1
	v_cndmask_b32_e64 v3, 0, v3, s[28:29]
	v_mov_b32_e32 v6, 0x78
	v_cndmask_b32_e32 v3, v3, v6, vcc
	v_add_u32_e32 v6, 20, v3
	v_or_b32_e32 v5, 0x800000, v4
	v_lshlrev_b64 v[12:13], v6, -1
	v_add_u32_e32 v6, 19, v3
	v_cndmask_b32_e32 v4, v5, v4, vcc
	v_lshlrev_b64 v[14:15], v6, 1
	v_mov_b32_e32 v5, v51
	v_bfi_b32 v13, v13, 0, 0
	v_bfi_b32 v12, v12, 0, v4
	v_cmp_eq_u64_e64 s[28:29], v[12:13], v[14:15]
	v_lshrrev_b64 v[12:13], v3, v[4:5]
	v_mov_b32_e32 v4, v12
	v_mov_b32_e32 v5, v13
	s_and_saveexec_b64 s[38:39], s[28:29]
; %bb.13315:                            ;   in Loop: Header=BB6_10567 Depth=3
	v_bfe_u32 v4, v12, 20, 1
	v_add_co_u32_e64 v4, s[28:29], v12, v4
	v_add_co_u32_e64 v4, s[28:29], -1, v4
; %bb.13316:                            ;   in Loop: Header=BB6_10567 Depth=3
	s_or_b64 exec, exec, s[38:39]
	v_add_u32_e32 v1, 0xffffff81, v1
	v_mov_b32_e32 v5, 0xffffff82
	v_cndmask_b32_e32 v1, v1, v5, vcc
	v_lshrrev_b32_e32 v5, 23, v12
	v_add3_u32 v5, v3, v1, v5
	v_add_u32_e32 v3, 6, v5
	v_and_b32_e32 v1, 0xfffff, v4
	v_add_u32_e32 v12, v1, v12
	v_mov_b32_e32 v13, v51
	v_cmp_ne_u32_e32 vcc, 0, v3
                                        ; implicit-def: $vgpr1
	s_and_saveexec_b64 s[28:29], vcc
	s_xor_b64 s[28:29], exec, s[28:29]
; %bb.13317:                            ;   in Loop: Header=BB6_10567 Depth=3
	v_cmp_lt_u64_e32 vcc, s[88:89], v[12:13]
	v_add_u32_e32 v1, 7, v5
	v_cndmask_b32_e32 v1, v3, v1, vcc
	v_cndmask_b32_e64 v3, 0, 1, vcc
	v_lshrrev_b64 v[12:13], v3, v[12:13]
; %bb.13318:                            ;   in Loop: Header=BB6_10567 Depth=3
	s_andn2_saveexec_b64 s[28:29], s[28:29]
; %bb.13319:                            ;   in Loop: Header=BB6_10567 Depth=3
	v_bfe_u32 v1, v12, 23, 1
; %bb.13320:                            ;   in Loop: Header=BB6_10567 Depth=3
	s_or_b64 exec, exec, s[28:29]
	v_lshrrev_b64 v[3:4], 20, v[12:13]
	v_cmp_gt_i32_e32 vcc, 16, v1
	v_cndmask_b32_e32 v4, 0, v4, vcc
	v_cndmask_b32_e32 v3, 7, v3, vcc
	v_cmp_eq_u32_e32 vcc, 0, v1
	v_min_i32_e32 v1, 15, v1
	v_cmp_eq_u64_e64 s[28:29], 0, v[3:4]
	v_lshlrev_b32_e32 v1, 3, v1
	v_and_b32_e32 v1, 0xf8, v1
	v_and_or_b32 v1, v3, 7, v1
	s_and_b64 s[28:29], vcc, s[28:29]
	v_cndmask_b32_e64 v1, v1, 0, s[28:29]
	v_or_b32_e32 v15, v1, v0
.LBB6_13321:                            ;   in Loop: Header=BB6_10567 Depth=3
	s_or_b64 exec, exec, s[36:37]
                                        ; implicit-def: $vgpr0
.LBB6_13322:                            ;   in Loop: Header=BB6_10567 Depth=3
	s_andn2_saveexec_b64 s[28:29], s[34:35]
; %bb.13323:                            ;   in Loop: Header=BB6_10567 Depth=3
	v_or_b32_e32 v15, 0x7e, v0
; %bb.13324:                            ;   in Loop: Header=BB6_10567 Depth=3
	s_or_b64 exec, exec, s[28:29]
                                        ; implicit-def: $vgpr1
.LBB6_13325:                            ;   in Loop: Header=BB6_10567 Depth=3
	s_andn2_saveexec_b64 s[28:29], s[30:31]
; %bb.13326:                            ;   in Loop: Header=BB6_10567 Depth=3
	v_or_b32_sdwa v15, v1, s86 dst_sel:DWORD dst_unused:UNUSED_PAD src0_sel:BYTE_3 src1_sel:DWORD
; %bb.13327:                            ;   in Loop: Header=BB6_10567 Depth=3
	s_or_b64 exec, exec, s[28:29]
	buffer_load_dword v0, off, s[0:3], s33 offset:136 ; 4-byte Folded Reload
	buffer_load_dword v1, off, s[0:3], s33 offset:156 ; 4-byte Folded Reload
	;; [unrolled: 1-line block ×3, first 2 shown]
	v_mov_b32_e32 v13, v51
	v_cmp_ne_u32_e32 vcc, 0, v54
	s_waitcnt vmcnt(2)
	v_lshl_or_b32 v0, v0, 8, v54
	s_waitcnt vmcnt(1)
	v_lshlrev_b32_e32 v1, 16, v1
	s_waitcnt vmcnt(0)
	v_lshlrev_b32_e32 v3, 24, v3
	v_or3_b32 v12, v1, v3, v0
	v_mov_b32_e32 v1, 0
	v_mov_b32_e32 v3, 0
	s_and_saveexec_b64 s[28:29], vcc
	s_cbranch_execz .LBB6_13333
; %bb.13328:                            ;   in Loop: Header=BB6_10567 Depth=3
	v_cmp_ne_u32_e32 vcc, s96, v54
	v_bfrev_b32_e32 v3, 1
	s_and_saveexec_b64 s[30:31], vcc
	s_cbranch_execz .LBB6_13332
; %bb.13329:                            ;   in Loop: Header=BB6_10567 Depth=3
	v_and_b32_e32 v4, 0x7f, v54
	v_cmp_ne_u32_e32 vcc, s86, v4
	v_mov_b32_e32 v3, 0x7f800001
	s_and_saveexec_b64 s[34:35], vcc
	s_cbranch_execz .LBB6_13331
; %bb.13330:                            ;   in Loop: Header=BB6_10567 Depth=3
	v_and_b32_e32 v3, 7, v54
	v_ffbh_u32_e32 v3, v3
	v_min_u32_e32 v3, 32, v3
	v_lshrrev_b32_e32 v5, 3, v4
	v_cmp_gt_u32_e32 vcc, 8, v4
	v_subrev_u32_e32 v4, 28, v3
	v_sub_u32_e32 v3, 29, v3
	v_cndmask_b32_e32 v5, v5, v3, vcc
	v_cndmask_b32_e32 v3, 0, v4, vcc
	v_lshlrev_b64 v[3:4], v3, v[12:13]
	v_lshlrev_b32_e32 v4, 24, v12
	v_lshlrev_b32_e32 v3, 20, v3
	v_bfrev_b32_e32 v6, 60
	v_and_b32_e32 v3, 0x700000, v3
	v_and_b32_e32 v4, 0x80000000, v4
	v_lshl_add_u32 v5, v5, 23, v6
	v_or3_b32 v3, v4, v5, v3
.LBB6_13331:                            ;   in Loop: Header=BB6_10567 Depth=3
	s_or_b64 exec, exec, s[34:35]
.LBB6_13332:                            ;   in Loop: Header=BB6_10567 Depth=3
	s_or_b64 exec, exec, s[30:31]
.LBB6_13333:                            ;   in Loop: Header=BB6_10567 Depth=3
	s_or_b64 exec, exec, s[28:29]
	v_cmp_ne_u16_sdwa vcc, v8, v51 src0_sel:BYTE_0 src1_sel:DWORD
	s_and_saveexec_b64 s[28:29], vcc
	s_cbranch_execz .LBB6_13339
; %bb.13334:                            ;   in Loop: Header=BB6_10567 Depth=3
	v_cmp_ne_u16_sdwa vcc, v8, s96 src0_sel:BYTE_0 src1_sel:DWORD
	v_bfrev_b32_e32 v1, 1
	s_and_saveexec_b64 s[30:31], vcc
	s_cbranch_execz .LBB6_13338
; %bb.13335:                            ;   in Loop: Header=BB6_10567 Depth=3
	v_and_b32_e32 v4, 0x7f, v8
	v_cmp_ne_u32_e32 vcc, s86, v4
	v_mov_b32_e32 v1, 0x7f800001
	s_and_saveexec_b64 s[34:35], vcc
	s_cbranch_execz .LBB6_13337
; %bb.13336:                            ;   in Loop: Header=BB6_10567 Depth=3
	v_and_b32_e32 v1, 7, v8
	v_ffbh_u32_e32 v1, v1
	v_min_u32_e32 v1, 32, v1
	v_lshrrev_b32_e32 v5, 3, v4
	v_cmp_gt_u32_e32 vcc, 8, v4
	v_subrev_u32_e32 v4, 28, v1
	v_sub_u32_e32 v1, 29, v1
	v_cndmask_b32_e32 v4, 0, v4, vcc
	v_cndmask_b32_e32 v1, v5, v1, vcc
	v_lshlrev_b64 v[4:5], v4, v[8:9]
	v_lshlrev_b32_e32 v5, 24, v8
	v_lshlrev_b32_e32 v4, 20, v4
	v_bfrev_b32_e32 v6, 60
	v_and_b32_e32 v4, 0x700000, v4
	v_and_b32_e32 v5, 0x80000000, v5
	v_lshl_add_u32 v1, v1, 23, v6
	v_or3_b32 v1, v5, v1, v4
.LBB6_13337:                            ;   in Loop: Header=BB6_10567 Depth=3
	s_or_b64 exec, exec, s[34:35]
.LBB6_13338:                            ;   in Loop: Header=BB6_10567 Depth=3
	s_or_b64 exec, exec, s[30:31]
.LBB6_13339:                            ;   in Loop: Header=BB6_10567 Depth=3
	s_or_b64 exec, exec, s[28:29]
	v_add_f32_e32 v3, v3, v1
	v_and_b32_e32 v4, 0x7f800000, v3
	v_mov_b32_e32 v5, v51
	v_cmp_ne_u64_e32 vcc, s[76:77], v[4:5]
                                        ; implicit-def: $vgpr17
	s_and_saveexec_b64 s[28:29], vcc
	s_xor_b64 s[30:31], exec, s[28:29]
	s_cbranch_execz .LBB6_13353
; %bb.13340:                            ;   in Loop: Header=BB6_10567 Depth=3
	v_and_b32_e32 v4, 0x7fffffff, v3
	v_mov_b32_e32 v5, v51
	v_cmp_gt_u64_e32 vcc, s[78:79], v[4:5]
	v_and_b32_sdwa v1, v3, s96 dst_sel:DWORD dst_unused:UNUSED_PAD src0_sel:BYTE_3 src1_sel:DWORD
                                        ; implicit-def: $vgpr17
	s_and_saveexec_b64 s[28:29], vcc
	s_xor_b64 s[34:35], exec, s[28:29]
	s_cbranch_execz .LBB6_13350
; %bb.13341:                            ;   in Loop: Header=BB6_10567 Depth=3
	v_mov_b32_e32 v17, 0
	v_cmp_ne_u32_e32 vcc, 0, v3
	s_and_saveexec_b64 s[36:37], vcc
	s_cbranch_execz .LBB6_13349
; %bb.13342:                            ;   in Loop: Header=BB6_10567 Depth=3
	v_and_b32_e32 v4, 0x7fffff, v3
	v_bfe_u32 v3, v3, 23, 8
	v_cmp_gt_u32_e64 s[28:29], s97, v3
	v_sub_u32_e32 v5, 0x79, v3
	v_cmp_eq_u32_e32 vcc, 0, v3
	v_cndmask_b32_e64 v5, 0, v5, s[28:29]
	v_mov_b32_e32 v6, 0x78
	v_or_b32_e32 v13, 0x800000, v4
	v_cndmask_b32_e32 v6, v5, v6, vcc
	v_cndmask_b32_e32 v4, v13, v4, vcc
	v_add_u32_e32 v13, 20, v6
	v_lshlrev_b64 v[13:14], v13, -1
	v_add_u32_e32 v17, 19, v6
	v_lshlrev_b64 v[23:24], v17, 1
	v_mov_b32_e32 v5, v51
	v_bfi_b32 v14, v14, 0, 0
	v_bfi_b32 v13, v13, 0, v4
	v_cmp_eq_u64_e64 s[28:29], v[13:14], v[23:24]
	v_lshrrev_b64 v[13:14], v6, v[4:5]
	v_mov_b32_e32 v4, v13
	v_mov_b32_e32 v5, v14
	s_and_saveexec_b64 s[38:39], s[28:29]
; %bb.13343:                            ;   in Loop: Header=BB6_10567 Depth=3
	v_bfe_u32 v4, v13, 20, 1
	v_add_co_u32_e64 v4, s[28:29], v13, v4
	v_add_co_u32_e64 v4, s[28:29], -1, v4
; %bb.13344:                            ;   in Loop: Header=BB6_10567 Depth=3
	s_or_b64 exec, exec, s[38:39]
	v_add_u32_e32 v3, 0xffffff81, v3
	v_mov_b32_e32 v5, 0xffffff82
	v_cndmask_b32_e32 v3, v3, v5, vcc
	v_lshrrev_b32_e32 v5, 23, v13
	v_add3_u32 v6, v6, v3, v5
	v_add_u32_e32 v5, 6, v6
	v_and_b32_e32 v3, 0xfffff, v4
	v_add_u32_e32 v13, v3, v13
	v_mov_b32_e32 v14, v51
	v_cmp_ne_u32_e32 vcc, 0, v5
                                        ; implicit-def: $vgpr3
	s_and_saveexec_b64 s[28:29], vcc
	s_xor_b64 s[28:29], exec, s[28:29]
; %bb.13345:                            ;   in Loop: Header=BB6_10567 Depth=3
	v_cmp_lt_u64_e32 vcc, s[88:89], v[13:14]
	v_add_u32_e32 v3, 7, v6
	v_cndmask_b32_e64 v4, 0, 1, vcc
	v_lshrrev_b64 v[13:14], v4, v[13:14]
	v_cndmask_b32_e32 v3, v5, v3, vcc
; %bb.13346:                            ;   in Loop: Header=BB6_10567 Depth=3
	s_andn2_saveexec_b64 s[28:29], s[28:29]
; %bb.13347:                            ;   in Loop: Header=BB6_10567 Depth=3
	v_bfe_u32 v3, v13, 23, 1
; %bb.13348:                            ;   in Loop: Header=BB6_10567 Depth=3
	s_or_b64 exec, exec, s[28:29]
	v_lshrrev_b64 v[4:5], 20, v[13:14]
	v_cmp_gt_i32_e32 vcc, 16, v3
	v_cndmask_b32_e32 v5, 0, v5, vcc
	v_cndmask_b32_e32 v4, 7, v4, vcc
	v_cmp_eq_u32_e32 vcc, 0, v3
	v_min_i32_e32 v3, 15, v3
	v_cmp_eq_u64_e64 s[28:29], 0, v[4:5]
	v_lshlrev_b32_e32 v3, 3, v3
	v_and_b32_e32 v3, 0xf8, v3
	v_and_or_b32 v3, v4, 7, v3
	s_and_b64 s[28:29], vcc, s[28:29]
	v_cndmask_b32_e64 v3, v3, 0, s[28:29]
	v_or_b32_e32 v17, v3, v1
.LBB6_13349:                            ;   in Loop: Header=BB6_10567 Depth=3
	s_or_b64 exec, exec, s[36:37]
                                        ; implicit-def: $vgpr1
.LBB6_13350:                            ;   in Loop: Header=BB6_10567 Depth=3
	s_andn2_saveexec_b64 s[28:29], s[34:35]
; %bb.13351:                            ;   in Loop: Header=BB6_10567 Depth=3
	v_or_b32_e32 v17, 0x7e, v1
; %bb.13352:                            ;   in Loop: Header=BB6_10567 Depth=3
	s_or_b64 exec, exec, s[28:29]
                                        ; implicit-def: $vgpr3
.LBB6_13353:                            ;   in Loop: Header=BB6_10567 Depth=3
	s_andn2_saveexec_b64 s[28:29], s[30:31]
; %bb.13354:                            ;   in Loop: Header=BB6_10567 Depth=3
	v_or_b32_sdwa v17, v3, s86 dst_sel:DWORD dst_unused:UNUSED_PAD src0_sel:BYTE_3 src1_sel:DWORD
; %bb.13355:                            ;   in Loop: Header=BB6_10567 Depth=3
	s_or_b64 exec, exec, s[28:29]
	v_lshrrev_b16_e32 v13, 8, v0
	v_cmp_ne_u16_e32 vcc, 0, v13
	v_mov_b32_e32 v1, 0
	v_mov_b32_e32 v3, 0
	s_and_saveexec_b64 s[28:29], vcc
	s_cbranch_execz .LBB6_13361
; %bb.13356:                            ;   in Loop: Header=BB6_10567 Depth=3
	v_cmp_ne_u16_e32 vcc, s96, v13
	v_bfrev_b32_e32 v3, 1
	s_and_saveexec_b64 s[30:31], vcc
	s_cbranch_execz .LBB6_13360
; %bb.13357:                            ;   in Loop: Header=BB6_10567 Depth=3
	v_and_b32_e32 v4, 0x7f, v13
	v_cmp_ne_u32_e32 vcc, s86, v4
	v_mov_b32_e32 v3, 0x7f800001
	s_and_saveexec_b64 s[34:35], vcc
	s_cbranch_execz .LBB6_13359
; %bb.13358:                            ;   in Loop: Header=BB6_10567 Depth=3
	v_and_b32_e32 v5, 7, v13
	v_ffbh_u32_e32 v3, v5
	v_min_u32_e32 v14, 32, v3
	v_subrev_u32_e32 v3, 28, v14
	v_lshrrev_b32_e32 v6, 3, v4
	v_cmp_gt_u32_e32 vcc, 8, v4
	v_lshlrev_b64 v[3:4], v3, v[13:14]
	v_sub_u32_e32 v4, 29, v14
	v_and_b32_e32 v3, 7, v3
	v_cndmask_b32_e32 v4, v6, v4, vcc
	v_cndmask_b32_e32 v3, v5, v3, vcc
	v_lshlrev_b32_e32 v0, 16, v0
	v_bfrev_b32_e32 v5, 60
	v_lshlrev_b32_e32 v3, 20, v3
	v_and_b32_e32 v0, 0x80000000, v0
	v_lshl_add_u32 v4, v4, 23, v5
	v_or3_b32 v3, v0, v4, v3
.LBB6_13359:                            ;   in Loop: Header=BB6_10567 Depth=3
	s_or_b64 exec, exec, s[34:35]
.LBB6_13360:                            ;   in Loop: Header=BB6_10567 Depth=3
	s_or_b64 exec, exec, s[30:31]
.LBB6_13361:                            ;   in Loop: Header=BB6_10567 Depth=3
	s_or_b64 exec, exec, s[28:29]
	v_lshrrev_b16_e32 v13, 8, v8
	v_cmp_ne_u16_e32 vcc, 0, v13
	s_and_saveexec_b64 s[28:29], vcc
	s_cbranch_execz .LBB6_13367
; %bb.13362:                            ;   in Loop: Header=BB6_10567 Depth=3
	v_cmp_ne_u16_e32 vcc, s96, v13
	v_bfrev_b32_e32 v1, 1
	s_and_saveexec_b64 s[30:31], vcc
	s_cbranch_execz .LBB6_13366
; %bb.13363:                            ;   in Loop: Header=BB6_10567 Depth=3
	v_and_b32_e32 v0, 0x7f, v13
	v_cmp_ne_u32_e32 vcc, s86, v0
	v_mov_b32_e32 v1, 0x7f800001
	s_and_saveexec_b64 s[34:35], vcc
	s_cbranch_execz .LBB6_13365
; %bb.13364:                            ;   in Loop: Header=BB6_10567 Depth=3
	v_and_b32_e32 v4, 7, v13
	v_lshrrev_b32_e32 v5, 3, v0
	v_cmp_gt_u32_e32 vcc, 8, v0
	v_ffbh_u32_e32 v0, v4
	v_min_u32_e32 v6, 32, v0
	v_subrev_u32_e32 v0, 28, v6
	v_lshlrev_b64 v[0:1], v0, v[13:14]
	v_sub_u32_e32 v1, 29, v6
	v_and_b32_e32 v0, 7, v0
	v_cndmask_b32_e32 v1, v5, v1, vcc
	v_cndmask_b32_e32 v0, v4, v0, vcc
	v_lshlrev_b32_e32 v4, 16, v8
	v_bfrev_b32_e32 v5, 60
	v_lshlrev_b32_e32 v0, 20, v0
	v_and_b32_e32 v4, 0x80000000, v4
	v_lshl_add_u32 v1, v1, 23, v5
	v_or3_b32 v1, v4, v1, v0
.LBB6_13365:                            ;   in Loop: Header=BB6_10567 Depth=3
	s_or_b64 exec, exec, s[34:35]
.LBB6_13366:                            ;   in Loop: Header=BB6_10567 Depth=3
	s_or_b64 exec, exec, s[30:31]
.LBB6_13367:                            ;   in Loop: Header=BB6_10567 Depth=3
	s_or_b64 exec, exec, s[28:29]
	v_add_f32_e32 v1, v3, v1
	v_and_b32_e32 v3, 0x7f800000, v1
	v_mov_b32_e32 v4, v51
	v_cmp_ne_u64_e32 vcc, s[76:77], v[3:4]
                                        ; implicit-def: $vgpr54
	s_and_saveexec_b64 s[28:29], vcc
	s_xor_b64 s[30:31], exec, s[28:29]
	s_cbranch_execz .LBB6_13381
; %bb.13368:                            ;   in Loop: Header=BB6_10567 Depth=3
	v_and_b32_e32 v3, 0x7fffffff, v1
	v_mov_b32_e32 v4, v51
	v_cmp_gt_u64_e32 vcc, s[78:79], v[3:4]
	v_and_b32_sdwa v0, v1, s96 dst_sel:DWORD dst_unused:UNUSED_PAD src0_sel:BYTE_3 src1_sel:DWORD
                                        ; implicit-def: $vgpr54
	s_and_saveexec_b64 s[28:29], vcc
	s_xor_b64 s[34:35], exec, s[28:29]
	s_cbranch_execz .LBB6_13378
; %bb.13369:                            ;   in Loop: Header=BB6_10567 Depth=3
	v_mov_b32_e32 v54, 0
	v_cmp_ne_u32_e32 vcc, 0, v1
	s_and_saveexec_b64 s[36:37], vcc
	s_cbranch_execz .LBB6_13377
; %bb.13370:                            ;   in Loop: Header=BB6_10567 Depth=3
	v_and_b32_e32 v4, 0x7fffff, v1
	v_bfe_u32 v1, v1, 23, 8
	v_cmp_gt_u32_e64 s[28:29], s97, v1
	v_sub_u32_e32 v3, 0x79, v1
	v_cmp_eq_u32_e32 vcc, 0, v1
	v_cndmask_b32_e64 v3, 0, v3, s[28:29]
	v_mov_b32_e32 v6, 0x78
	v_cndmask_b32_e32 v3, v3, v6, vcc
	v_add_u32_e32 v6, 20, v3
	v_or_b32_e32 v5, 0x800000, v4
	v_lshlrev_b64 v[13:14], v6, -1
	v_add_u32_e32 v6, 19, v3
	v_cndmask_b32_e32 v4, v5, v4, vcc
	v_lshlrev_b64 v[23:24], v6, 1
	v_mov_b32_e32 v5, v51
	v_bfi_b32 v14, v14, 0, 0
	v_bfi_b32 v13, v13, 0, v4
	v_cmp_eq_u64_e64 s[28:29], v[13:14], v[23:24]
	v_lshrrev_b64 v[13:14], v3, v[4:5]
	v_mov_b32_e32 v4, v13
	v_mov_b32_e32 v5, v14
	s_and_saveexec_b64 s[38:39], s[28:29]
; %bb.13371:                            ;   in Loop: Header=BB6_10567 Depth=3
	v_bfe_u32 v4, v13, 20, 1
	v_add_co_u32_e64 v4, s[28:29], v13, v4
	v_add_co_u32_e64 v4, s[28:29], -1, v4
; %bb.13372:                            ;   in Loop: Header=BB6_10567 Depth=3
	s_or_b64 exec, exec, s[38:39]
	v_add_u32_e32 v1, 0xffffff81, v1
	v_mov_b32_e32 v5, 0xffffff82
	v_cndmask_b32_e32 v1, v1, v5, vcc
	v_lshrrev_b32_e32 v5, 23, v13
	v_add3_u32 v5, v3, v1, v5
	v_add_u32_e32 v3, 6, v5
	v_and_b32_e32 v1, 0xfffff, v4
	v_add_u32_e32 v13, v1, v13
	v_mov_b32_e32 v14, v51
	v_cmp_ne_u32_e32 vcc, 0, v3
                                        ; implicit-def: $vgpr1
	s_and_saveexec_b64 s[28:29], vcc
	s_xor_b64 s[28:29], exec, s[28:29]
; %bb.13373:                            ;   in Loop: Header=BB6_10567 Depth=3
	v_cmp_lt_u64_e32 vcc, s[88:89], v[13:14]
	v_add_u32_e32 v1, 7, v5
	v_cndmask_b32_e32 v1, v3, v1, vcc
	v_cndmask_b32_e64 v3, 0, 1, vcc
	v_lshrrev_b64 v[13:14], v3, v[13:14]
; %bb.13374:                            ;   in Loop: Header=BB6_10567 Depth=3
	s_andn2_saveexec_b64 s[28:29], s[28:29]
; %bb.13375:                            ;   in Loop: Header=BB6_10567 Depth=3
	v_bfe_u32 v1, v13, 23, 1
; %bb.13376:                            ;   in Loop: Header=BB6_10567 Depth=3
	s_or_b64 exec, exec, s[28:29]
	v_lshrrev_b64 v[3:4], 20, v[13:14]
	v_cmp_gt_i32_e32 vcc, 16, v1
	v_cndmask_b32_e32 v4, 0, v4, vcc
	v_cndmask_b32_e32 v3, 7, v3, vcc
	v_cmp_eq_u32_e32 vcc, 0, v1
	v_min_i32_e32 v1, 15, v1
	v_cmp_eq_u64_e64 s[28:29], 0, v[3:4]
	v_lshlrev_b32_e32 v1, 3, v1
	v_and_b32_e32 v1, 0xf8, v1
	v_and_or_b32 v1, v3, 7, v1
	s_and_b64 s[28:29], vcc, s[28:29]
	v_cndmask_b32_e64 v1, v1, 0, s[28:29]
	v_or_b32_e32 v54, v1, v0
.LBB6_13377:                            ;   in Loop: Header=BB6_10567 Depth=3
	s_or_b64 exec, exec, s[36:37]
                                        ; implicit-def: $vgpr0
.LBB6_13378:                            ;   in Loop: Header=BB6_10567 Depth=3
	s_andn2_saveexec_b64 s[28:29], s[34:35]
; %bb.13379:                            ;   in Loop: Header=BB6_10567 Depth=3
	v_or_b32_e32 v54, 0x7e, v0
; %bb.13380:                            ;   in Loop: Header=BB6_10567 Depth=3
	s_or_b64 exec, exec, s[28:29]
                                        ; implicit-def: $vgpr1
.LBB6_13381:                            ;   in Loop: Header=BB6_10567 Depth=3
	s_andn2_saveexec_b64 s[28:29], s[30:31]
; %bb.13382:                            ;   in Loop: Header=BB6_10567 Depth=3
	v_or_b32_sdwa v54, v1, s86 dst_sel:DWORD dst_unused:UNUSED_PAD src0_sel:BYTE_3 src1_sel:DWORD
; %bb.13383:                            ;   in Loop: Header=BB6_10567 Depth=3
	s_or_b64 exec, exec, s[28:29]
	v_lshrrev_b32_e32 v13, 16, v12
	v_cmp_ne_u16_sdwa vcc, v13, v51 src0_sel:BYTE_0 src1_sel:DWORD
	v_mov_b32_e32 v0, 0
	v_mov_b32_e32 v1, 0
	s_and_saveexec_b64 s[28:29], vcc
	s_cbranch_execz .LBB6_13389
; %bb.13384:                            ;   in Loop: Header=BB6_10567 Depth=3
	v_cmp_ne_u16_sdwa vcc, v13, s96 src0_sel:BYTE_0 src1_sel:DWORD
	v_bfrev_b32_e32 v1, 1
	s_and_saveexec_b64 s[30:31], vcc
	s_cbranch_execz .LBB6_13388
; %bb.13385:                            ;   in Loop: Header=BB6_10567 Depth=3
	v_bfe_u32 v3, v12, 16, 7
	v_cmp_ne_u32_e32 vcc, s86, v3
	v_mov_b32_e32 v1, 0x7f800001
	s_and_saveexec_b64 s[34:35], vcc
	s_cbranch_execz .LBB6_13387
; %bb.13386:                            ;   in Loop: Header=BB6_10567 Depth=3
	v_and_b32_e32 v1, 7, v13
	v_lshrrev_b32_e32 v5, 3, v3
	v_cmp_gt_u32_e32 vcc, 8, v3
	v_ffbh_u32_e32 v3, v1
	v_min_u32_e32 v6, 32, v3
	v_subrev_u32_e32 v3, 28, v6
	v_lshlrev_b64 v[3:4], v3, v[13:14]
	v_sub_u32_e32 v4, 29, v6
	v_and_b32_e32 v3, 7, v3
	v_cndmask_b32_e32 v4, v5, v4, vcc
	v_cndmask_b32_e32 v1, v1, v3, vcc
	v_lshlrev_b32_e32 v3, 24, v13
	v_bfrev_b32_e32 v5, 60
	v_lshlrev_b32_e32 v1, 20, v1
	v_and_b32_e32 v3, 0x80000000, v3
	v_lshl_add_u32 v4, v4, 23, v5
	v_or3_b32 v1, v3, v4, v1
.LBB6_13387:                            ;   in Loop: Header=BB6_10567 Depth=3
	s_or_b64 exec, exec, s[34:35]
.LBB6_13388:                            ;   in Loop: Header=BB6_10567 Depth=3
	s_or_b64 exec, exec, s[30:31]
.LBB6_13389:                            ;   in Loop: Header=BB6_10567 Depth=3
	s_or_b64 exec, exec, s[28:29]
	v_lshrrev_b32_e32 v13, 16, v8
	v_cmp_ne_u16_sdwa vcc, v13, v51 src0_sel:BYTE_0 src1_sel:DWORD
	s_and_saveexec_b64 s[28:29], vcc
	s_cbranch_execz .LBB6_13395
; %bb.13390:                            ;   in Loop: Header=BB6_10567 Depth=3
	v_cmp_ne_u16_sdwa vcc, v13, s96 src0_sel:BYTE_0 src1_sel:DWORD
	v_bfrev_b32_e32 v0, 1
	s_and_saveexec_b64 s[30:31], vcc
	s_cbranch_execz .LBB6_13394
; %bb.13391:                            ;   in Loop: Header=BB6_10567 Depth=3
	v_bfe_u32 v3, v8, 16, 7
	v_cmp_ne_u32_e32 vcc, s86, v3
	v_mov_b32_e32 v0, 0x7f800001
	s_and_saveexec_b64 s[34:35], vcc
	s_cbranch_execz .LBB6_13393
; %bb.13392:                            ;   in Loop: Header=BB6_10567 Depth=3
	v_and_b32_e32 v0, 7, v13
	v_lshrrev_b32_e32 v5, 3, v3
	v_cmp_gt_u32_e32 vcc, 8, v3
	v_ffbh_u32_e32 v3, v0
	v_min_u32_e32 v6, 32, v3
	v_subrev_u32_e32 v3, 28, v6
	v_lshlrev_b64 v[3:4], v3, v[13:14]
	v_sub_u32_e32 v4, 29, v6
	v_and_b32_e32 v3, 7, v3
	v_cndmask_b32_e32 v4, v5, v4, vcc
	v_cndmask_b32_e32 v0, v0, v3, vcc
	v_lshlrev_b32_e32 v3, 8, v8
	v_bfrev_b32_e32 v5, 60
	v_lshlrev_b32_e32 v0, 20, v0
	v_and_b32_e32 v3, 0x80000000, v3
	v_lshl_add_u32 v4, v4, 23, v5
	v_or3_b32 v0, v3, v4, v0
.LBB6_13393:                            ;   in Loop: Header=BB6_10567 Depth=3
	s_or_b64 exec, exec, s[34:35]
.LBB6_13394:                            ;   in Loop: Header=BB6_10567 Depth=3
	s_or_b64 exec, exec, s[30:31]
.LBB6_13395:                            ;   in Loop: Header=BB6_10567 Depth=3
	s_or_b64 exec, exec, s[28:29]
	v_add_f32_e32 v1, v1, v0
	v_and_b32_e32 v3, 0x7f800000, v1
	v_mov_b32_e32 v4, v51
	v_cmp_ne_u64_e32 vcc, s[76:77], v[3:4]
                                        ; implicit-def: $vgpr35
	s_and_saveexec_b64 s[28:29], vcc
	s_xor_b64 s[30:31], exec, s[28:29]
	s_cbranch_execz .LBB6_13409
; %bb.13396:                            ;   in Loop: Header=BB6_10567 Depth=3
	v_and_b32_e32 v3, 0x7fffffff, v1
	v_mov_b32_e32 v4, v51
	v_cmp_gt_u64_e32 vcc, s[78:79], v[3:4]
	v_and_b32_sdwa v0, v1, s96 dst_sel:DWORD dst_unused:UNUSED_PAD src0_sel:BYTE_3 src1_sel:DWORD
                                        ; implicit-def: $vgpr35
	s_and_saveexec_b64 s[28:29], vcc
	s_xor_b64 s[34:35], exec, s[28:29]
	s_cbranch_execz .LBB6_13406
; %bb.13397:                            ;   in Loop: Header=BB6_10567 Depth=3
	v_mov_b32_e32 v35, 0
	v_cmp_ne_u32_e32 vcc, 0, v1
	s_and_saveexec_b64 s[36:37], vcc
	s_cbranch_execz .LBB6_13405
; %bb.13398:                            ;   in Loop: Header=BB6_10567 Depth=3
	v_and_b32_e32 v4, 0x7fffff, v1
	v_bfe_u32 v1, v1, 23, 8
	v_cmp_gt_u32_e64 s[28:29], s97, v1
	v_sub_u32_e32 v3, 0x79, v1
	v_cmp_eq_u32_e32 vcc, 0, v1
	v_cndmask_b32_e64 v3, 0, v3, s[28:29]
	v_mov_b32_e32 v6, 0x78
	v_cndmask_b32_e32 v3, v3, v6, vcc
	v_add_u32_e32 v6, 20, v3
	v_or_b32_e32 v5, 0x800000, v4
	v_lshlrev_b64 v[13:14], v6, -1
	v_add_u32_e32 v6, 19, v3
	v_cndmask_b32_e32 v4, v5, v4, vcc
	v_lshlrev_b64 v[23:24], v6, 1
	v_mov_b32_e32 v5, v51
	v_bfi_b32 v14, v14, 0, 0
	v_bfi_b32 v13, v13, 0, v4
	v_cmp_eq_u64_e64 s[28:29], v[13:14], v[23:24]
	v_lshrrev_b64 v[13:14], v3, v[4:5]
	v_mov_b32_e32 v4, v13
	v_mov_b32_e32 v5, v14
	s_and_saveexec_b64 s[38:39], s[28:29]
; %bb.13399:                            ;   in Loop: Header=BB6_10567 Depth=3
	v_bfe_u32 v4, v13, 20, 1
	v_add_co_u32_e64 v4, s[28:29], v13, v4
	v_add_co_u32_e64 v4, s[28:29], -1, v4
; %bb.13400:                            ;   in Loop: Header=BB6_10567 Depth=3
	s_or_b64 exec, exec, s[38:39]
	v_add_u32_e32 v1, 0xffffff81, v1
	v_mov_b32_e32 v5, 0xffffff82
	v_cndmask_b32_e32 v1, v1, v5, vcc
	v_lshrrev_b32_e32 v5, 23, v13
	v_add3_u32 v5, v3, v1, v5
	v_add_u32_e32 v3, 6, v5
	v_and_b32_e32 v1, 0xfffff, v4
	v_add_u32_e32 v13, v1, v13
	v_mov_b32_e32 v14, v51
	v_cmp_ne_u32_e32 vcc, 0, v3
                                        ; implicit-def: $vgpr1
	s_and_saveexec_b64 s[28:29], vcc
	s_xor_b64 s[28:29], exec, s[28:29]
; %bb.13401:                            ;   in Loop: Header=BB6_10567 Depth=3
	v_cmp_lt_u64_e32 vcc, s[88:89], v[13:14]
	v_add_u32_e32 v1, 7, v5
	v_cndmask_b32_e32 v1, v3, v1, vcc
	v_cndmask_b32_e64 v3, 0, 1, vcc
	v_lshrrev_b64 v[13:14], v3, v[13:14]
; %bb.13402:                            ;   in Loop: Header=BB6_10567 Depth=3
	s_andn2_saveexec_b64 s[28:29], s[28:29]
; %bb.13403:                            ;   in Loop: Header=BB6_10567 Depth=3
	v_bfe_u32 v1, v13, 23, 1
; %bb.13404:                            ;   in Loop: Header=BB6_10567 Depth=3
	s_or_b64 exec, exec, s[28:29]
	v_lshrrev_b64 v[3:4], 20, v[13:14]
	v_cmp_gt_i32_e32 vcc, 16, v1
	v_cndmask_b32_e32 v4, 0, v4, vcc
	v_cndmask_b32_e32 v3, 7, v3, vcc
	v_cmp_eq_u32_e32 vcc, 0, v1
	v_min_i32_e32 v1, 15, v1
	v_cmp_eq_u64_e64 s[28:29], 0, v[3:4]
	v_lshlrev_b32_e32 v1, 3, v1
	v_and_b32_e32 v1, 0xf8, v1
	v_and_or_b32 v1, v3, 7, v1
	s_and_b64 s[28:29], vcc, s[28:29]
	v_cndmask_b32_e64 v1, v1, 0, s[28:29]
	v_or_b32_e32 v35, v1, v0
.LBB6_13405:                            ;   in Loop: Header=BB6_10567 Depth=3
	s_or_b64 exec, exec, s[36:37]
                                        ; implicit-def: $vgpr0
.LBB6_13406:                            ;   in Loop: Header=BB6_10567 Depth=3
	s_andn2_saveexec_b64 s[28:29], s[34:35]
; %bb.13407:                            ;   in Loop: Header=BB6_10567 Depth=3
	v_or_b32_e32 v35, 0x7e, v0
; %bb.13408:                            ;   in Loop: Header=BB6_10567 Depth=3
	s_or_b64 exec, exec, s[28:29]
                                        ; implicit-def: $vgpr1
.LBB6_13409:                            ;   in Loop: Header=BB6_10567 Depth=3
	s_andn2_saveexec_b64 s[28:29], s[30:31]
; %bb.13410:                            ;   in Loop: Header=BB6_10567 Depth=3
	v_or_b32_sdwa v35, v1, s86 dst_sel:DWORD dst_unused:UNUSED_PAD src0_sel:BYTE_3 src1_sel:DWORD
; %bb.13411:                            ;   in Loop: Header=BB6_10567 Depth=3
	s_or_b64 exec, exec, s[28:29]
	v_cmp_lt_u32_e32 vcc, s57, v12
	v_mov_b32_e32 v0, 0
	v_mov_b32_e32 v1, 0
	s_and_saveexec_b64 s[28:29], vcc
	s_cbranch_execz .LBB6_13417
; %bb.13412:                            ;   in Loop: Header=BB6_10567 Depth=3
	v_lshrrev_b32_e32 v13, 24, v12
	v_cmp_ne_u32_sdwa vcc, v12, s96 src0_sel:BYTE_3 src1_sel:DWORD
	v_bfrev_b32_e32 v1, 1
	s_and_saveexec_b64 s[30:31], vcc
	s_cbranch_execz .LBB6_13416
; %bb.13413:                            ;   in Loop: Header=BB6_10567 Depth=3
	v_bfe_u32 v3, v12, 24, 7
	v_cmp_ne_u32_e32 vcc, s86, v3
	v_mov_b32_e32 v1, 0x7f800001
	s_and_saveexec_b64 s[34:35], vcc
	s_cbranch_execz .LBB6_13415
; %bb.13414:                            ;   in Loop: Header=BB6_10567 Depth=3
	v_and_b32_e32 v1, 7, v13
	v_lshrrev_b32_e32 v5, 3, v3
	v_cmp_gt_u32_e32 vcc, 8, v3
	v_ffbh_u32_e32 v3, v1
	v_min_u32_e32 v6, 32, v3
	v_subrev_u32_e32 v3, 28, v6
	v_lshlrev_b64 v[3:4], v3, v[13:14]
	v_sub_u32_e32 v4, 29, v6
	v_and_b32_e32 v3, 7, v3
	v_cndmask_b32_e32 v1, v1, v3, vcc
	v_mov_b32_e32 v3, 24
	v_cndmask_b32_e32 v4, v5, v4, vcc
	v_lshlrev_b32_sdwa v3, v3, v12 dst_sel:DWORD dst_unused:UNUSED_PAD src0_sel:DWORD src1_sel:BYTE_3
	v_bfrev_b32_e32 v5, 60
	v_lshlrev_b32_e32 v1, 20, v1
	v_and_b32_e32 v3, 0x80000000, v3
	v_lshl_add_u32 v4, v4, 23, v5
	v_or3_b32 v1, v3, v4, v1
.LBB6_13415:                            ;   in Loop: Header=BB6_10567 Depth=3
	s_or_b64 exec, exec, s[34:35]
.LBB6_13416:                            ;   in Loop: Header=BB6_10567 Depth=3
	s_or_b64 exec, exec, s[30:31]
.LBB6_13417:                            ;   in Loop: Header=BB6_10567 Depth=3
	s_or_b64 exec, exec, s[28:29]
	v_cmp_lt_u32_e32 vcc, s57, v8
	s_and_saveexec_b64 s[28:29], vcc
	s_cbranch_execz .LBB6_13423
; %bb.13418:                            ;   in Loop: Header=BB6_10567 Depth=3
	v_lshrrev_b32_e32 v12, 24, v8
	v_cmp_ne_u32_e32 vcc, s96, v12
	v_bfrev_b32_e32 v0, 1
	s_and_saveexec_b64 s[30:31], vcc
	s_cbranch_execz .LBB6_13422
; %bb.13419:                            ;   in Loop: Header=BB6_10567 Depth=3
	v_bfe_u32 v3, v8, 24, 7
	v_cmp_ne_u32_e32 vcc, s86, v3
	v_mov_b32_e32 v0, 0x7f800001
	s_and_saveexec_b64 s[34:35], vcc
	s_cbranch_execz .LBB6_13421
; %bb.13420:                            ;   in Loop: Header=BB6_10567 Depth=3
	v_and_b32_e32 v0, 7, v12
	v_lshrrev_b32_e32 v5, 3, v3
	v_cmp_gt_u32_e32 vcc, 8, v3
	v_ffbh_u32_e32 v3, v0
	v_min_u32_e32 v6, 32, v3
	v_subrev_u32_e32 v3, 28, v6
	v_lshlrev_b64 v[3:4], v3, v[12:13]
	v_sub_u32_e32 v4, 29, v6
	v_and_b32_e32 v3, 7, v3
	v_cndmask_b32_e32 v4, v5, v4, vcc
	v_cndmask_b32_e32 v0, v0, v3, vcc
	v_lshlrev_b32_e32 v3, 24, v12
	v_bfrev_b32_e32 v5, 60
	v_lshlrev_b32_e32 v0, 20, v0
	v_and_b32_e32 v3, 0x80000000, v3
	v_lshl_add_u32 v4, v4, 23, v5
	v_or3_b32 v0, v3, v4, v0
.LBB6_13421:                            ;   in Loop: Header=BB6_10567 Depth=3
	s_or_b64 exec, exec, s[34:35]
.LBB6_13422:                            ;   in Loop: Header=BB6_10567 Depth=3
	s_or_b64 exec, exec, s[30:31]
.LBB6_13423:                            ;   in Loop: Header=BB6_10567 Depth=3
	s_or_b64 exec, exec, s[28:29]
	v_add_f32_e32 v1, v1, v0
	v_and_b32_e32 v3, 0x7f800000, v1
	v_mov_b32_e32 v4, v51
	v_cmp_ne_u64_e32 vcc, s[76:77], v[3:4]
                                        ; implicit-def: $vgpr52
	s_and_saveexec_b64 s[28:29], vcc
	s_xor_b64 s[30:31], exec, s[28:29]
	s_cbranch_execz .LBB6_13437
; %bb.13424:                            ;   in Loop: Header=BB6_10567 Depth=3
	v_and_b32_e32 v3, 0x7fffffff, v1
	v_mov_b32_e32 v4, v51
	v_cmp_gt_u64_e32 vcc, s[78:79], v[3:4]
	v_and_b32_sdwa v0, v1, s96 dst_sel:DWORD dst_unused:UNUSED_PAD src0_sel:BYTE_3 src1_sel:DWORD
                                        ; implicit-def: $vgpr52
	s_and_saveexec_b64 s[28:29], vcc
	s_xor_b64 s[34:35], exec, s[28:29]
	s_cbranch_execz .LBB6_13434
; %bb.13425:                            ;   in Loop: Header=BB6_10567 Depth=3
	v_mov_b32_e32 v52, 0
	v_cmp_ne_u32_e32 vcc, 0, v1
	s_and_saveexec_b64 s[36:37], vcc
	s_cbranch_execz .LBB6_13433
; %bb.13426:                            ;   in Loop: Header=BB6_10567 Depth=3
	v_and_b32_e32 v4, 0x7fffff, v1
	v_bfe_u32 v1, v1, 23, 8
	v_cmp_gt_u32_e64 s[28:29], s97, v1
	v_sub_u32_e32 v3, 0x79, v1
	v_cmp_eq_u32_e32 vcc, 0, v1
	v_cndmask_b32_e64 v3, 0, v3, s[28:29]
	v_mov_b32_e32 v6, 0x78
	v_cndmask_b32_e32 v3, v3, v6, vcc
	v_add_u32_e32 v6, 20, v3
	v_or_b32_e32 v5, 0x800000, v4
	v_lshlrev_b64 v[12:13], v6, -1
	v_add_u32_e32 v6, 19, v3
	v_cndmask_b32_e32 v4, v5, v4, vcc
	v_lshlrev_b64 v[23:24], v6, 1
	v_mov_b32_e32 v5, v51
	v_bfi_b32 v13, v13, 0, 0
	v_bfi_b32 v12, v12, 0, v4
	v_cmp_eq_u64_e64 s[28:29], v[12:13], v[23:24]
	v_lshrrev_b64 v[12:13], v3, v[4:5]
	v_mov_b32_e32 v4, v12
	v_mov_b32_e32 v5, v13
	s_and_saveexec_b64 s[38:39], s[28:29]
; %bb.13427:                            ;   in Loop: Header=BB6_10567 Depth=3
	v_bfe_u32 v4, v12, 20, 1
	v_add_co_u32_e64 v4, s[28:29], v12, v4
	v_add_co_u32_e64 v4, s[28:29], -1, v4
; %bb.13428:                            ;   in Loop: Header=BB6_10567 Depth=3
	s_or_b64 exec, exec, s[38:39]
	v_add_u32_e32 v1, 0xffffff81, v1
	v_mov_b32_e32 v5, 0xffffff82
	v_cndmask_b32_e32 v1, v1, v5, vcc
	v_lshrrev_b32_e32 v5, 23, v12
	v_add3_u32 v5, v3, v1, v5
	v_add_u32_e32 v3, 6, v5
	v_and_b32_e32 v1, 0xfffff, v4
	v_add_u32_e32 v12, v1, v12
	v_mov_b32_e32 v13, v51
	v_cmp_ne_u32_e32 vcc, 0, v3
                                        ; implicit-def: $vgpr1
	s_and_saveexec_b64 s[28:29], vcc
	s_xor_b64 s[28:29], exec, s[28:29]
; %bb.13429:                            ;   in Loop: Header=BB6_10567 Depth=3
	v_cmp_lt_u64_e32 vcc, s[88:89], v[12:13]
	v_add_u32_e32 v1, 7, v5
	v_cndmask_b32_e32 v1, v3, v1, vcc
	v_cndmask_b32_e64 v3, 0, 1, vcc
	v_lshrrev_b64 v[12:13], v3, v[12:13]
; %bb.13430:                            ;   in Loop: Header=BB6_10567 Depth=3
	s_andn2_saveexec_b64 s[28:29], s[28:29]
; %bb.13431:                            ;   in Loop: Header=BB6_10567 Depth=3
	v_bfe_u32 v1, v12, 23, 1
; %bb.13432:                            ;   in Loop: Header=BB6_10567 Depth=3
	s_or_b64 exec, exec, s[28:29]
	v_lshrrev_b64 v[3:4], 20, v[12:13]
	v_cmp_gt_i32_e32 vcc, 16, v1
	v_cndmask_b32_e32 v4, 0, v4, vcc
	v_cndmask_b32_e32 v3, 7, v3, vcc
	v_cmp_eq_u32_e32 vcc, 0, v1
	v_min_i32_e32 v1, 15, v1
	v_cmp_eq_u64_e64 s[28:29], 0, v[3:4]
	v_lshlrev_b32_e32 v1, 3, v1
	v_and_b32_e32 v1, 0xf8, v1
	v_and_or_b32 v1, v3, 7, v1
	s_and_b64 s[28:29], vcc, s[28:29]
	v_cndmask_b32_e64 v1, v1, 0, s[28:29]
	v_or_b32_e32 v52, v1, v0
.LBB6_13433:                            ;   in Loop: Header=BB6_10567 Depth=3
	s_or_b64 exec, exec, s[36:37]
                                        ; implicit-def: $vgpr0
.LBB6_13434:                            ;   in Loop: Header=BB6_10567 Depth=3
	s_andn2_saveexec_b64 s[28:29], s[34:35]
; %bb.13435:                            ;   in Loop: Header=BB6_10567 Depth=3
	v_or_b32_e32 v52, 0x7e, v0
; %bb.13436:                            ;   in Loop: Header=BB6_10567 Depth=3
	s_or_b64 exec, exec, s[28:29]
                                        ; implicit-def: $vgpr1
.LBB6_13437:                            ;   in Loop: Header=BB6_10567 Depth=3
	s_andn2_saveexec_b64 s[28:29], s[30:31]
; %bb.13438:                            ;   in Loop: Header=BB6_10567 Depth=3
	v_or_b32_sdwa v52, v1, s86 dst_sel:DWORD dst_unused:UNUSED_PAD src0_sel:BYTE_3 src1_sel:DWORD
; %bb.13439:                            ;   in Loop: Header=BB6_10567 Depth=3
	s_or_b64 exec, exec, s[28:29]
	buffer_load_dword v0, off, s[0:3], s33 offset:120 ; 4-byte Folded Reload
	buffer_load_dword v1, off, s[0:3], s33 offset:140 ; 4-byte Folded Reload
	;; [unrolled: 1-line block ×3, first 2 shown]
	v_mov_b32_e32 v13, v51
	v_cmp_ne_u32_e32 vcc, 0, v2
	s_waitcnt vmcnt(2)
	v_lshl_or_b32 v0, v0, 8, v2
	s_waitcnt vmcnt(1)
	v_lshlrev_b32_e32 v1, 16, v1
	s_waitcnt vmcnt(0)
	v_lshlrev_b32_e32 v3, 24, v3
	v_or3_b32 v12, v1, v3, v0
	v_mov_b32_e32 v3, 0
	v_mov_b32_e32 v1, 0
	s_and_saveexec_b64 s[28:29], vcc
	s_cbranch_execz .LBB6_13445
; %bb.13440:                            ;   in Loop: Header=BB6_10567 Depth=3
	v_cmp_ne_u32_e32 vcc, s96, v2
	v_bfrev_b32_e32 v1, 1
	s_and_saveexec_b64 s[30:31], vcc
	s_cbranch_execz .LBB6_13444
; %bb.13441:                            ;   in Loop: Header=BB6_10567 Depth=3
	v_and_b32_e32 v4, 0x7f, v2
	v_cmp_ne_u32_e32 vcc, s86, v4
	v_mov_b32_e32 v1, 0x7f800001
	s_and_saveexec_b64 s[34:35], vcc
	s_cbranch_execz .LBB6_13443
; %bb.13442:                            ;   in Loop: Header=BB6_10567 Depth=3
	v_and_b32_e32 v1, 7, v2
	v_ffbh_u32_e32 v1, v1
	v_min_u32_e32 v1, 32, v1
	v_lshrrev_b32_e32 v2, 3, v4
	v_cmp_gt_u32_e32 vcc, 8, v4
	v_subrev_u32_e32 v4, 28, v1
	v_sub_u32_e32 v1, 29, v1
	v_cndmask_b32_e32 v5, v2, v1, vcc
	v_cndmask_b32_e32 v1, 0, v4, vcc
	v_lshlrev_b64 v[1:2], v1, v[12:13]
	v_lshlrev_b32_e32 v2, 24, v12
	v_lshlrev_b32_e32 v1, 20, v1
	v_bfrev_b32_e32 v4, 60
	v_and_b32_e32 v1, 0x700000, v1
	v_and_b32_e32 v2, 0x80000000, v2
	v_lshl_add_u32 v4, v5, 23, v4
	v_or3_b32 v1, v2, v4, v1
.LBB6_13443:                            ;   in Loop: Header=BB6_10567 Depth=3
	s_or_b64 exec, exec, s[34:35]
.LBB6_13444:                            ;   in Loop: Header=BB6_10567 Depth=3
	s_or_b64 exec, exec, s[30:31]
.LBB6_13445:                            ;   in Loop: Header=BB6_10567 Depth=3
	s_or_b64 exec, exec, s[28:29]
	v_cmp_ne_u16_sdwa vcc, v9, v51 src0_sel:BYTE_0 src1_sel:DWORD
	s_and_saveexec_b64 s[28:29], vcc
	s_cbranch_execz .LBB6_13451
; %bb.13446:                            ;   in Loop: Header=BB6_10567 Depth=3
	v_cmp_ne_u16_sdwa vcc, v9, s96 src0_sel:BYTE_0 src1_sel:DWORD
	v_bfrev_b32_e32 v3, 1
	s_and_saveexec_b64 s[30:31], vcc
	s_cbranch_execz .LBB6_13450
; %bb.13447:                            ;   in Loop: Header=BB6_10567 Depth=3
	v_and_b32_e32 v2, 0x7f, v9
	v_cmp_ne_u32_e32 vcc, s86, v2
	v_mov_b32_e32 v3, 0x7f800001
	s_and_saveexec_b64 s[34:35], vcc
	s_cbranch_execz .LBB6_13449
; %bb.13448:                            ;   in Loop: Header=BB6_10567 Depth=3
	v_and_b32_e32 v5, 7, v9
	v_lshrrev_b32_e32 v6, 3, v2
	v_cmp_gt_u32_e32 vcc, 8, v2
	v_ffbh_u32_e32 v2, v5
	v_min_u32_e32 v2, 32, v2
	v_subrev_u32_e32 v5, 28, v2
	v_mov_b32_e32 v3, v9
	v_mov_b32_e32 v4, v51
	v_cndmask_b32_e32 v5, 0, v5, vcc
	v_lshlrev_b64 v[4:5], v5, v[3:4]
	v_sub_u32_e32 v2, 29, v2
	v_cndmask_b32_e32 v2, v6, v2, vcc
	v_lshlrev_b32_e32 v4, 20, v4
	v_lshlrev_b32_e32 v3, 24, v3
	v_bfrev_b32_e32 v5, 60
	v_and_b32_e32 v4, 0x700000, v4
	v_and_b32_e32 v3, 0x80000000, v3
	v_lshl_add_u32 v2, v2, 23, v5
	v_or3_b32 v3, v3, v2, v4
.LBB6_13449:                            ;   in Loop: Header=BB6_10567 Depth=3
	s_or_b64 exec, exec, s[34:35]
.LBB6_13450:                            ;   in Loop: Header=BB6_10567 Depth=3
	s_or_b64 exec, exec, s[30:31]
.LBB6_13451:                            ;   in Loop: Header=BB6_10567 Depth=3
	s_or_b64 exec, exec, s[28:29]
	v_add_f32_e32 v3, v1, v3
	v_and_b32_e32 v1, 0x7f800000, v3
	v_mov_b32_e32 v2, v51
	v_cmp_ne_u64_e32 vcc, s[76:77], v[1:2]
                                        ; implicit-def: $vgpr2
	s_and_saveexec_b64 s[28:29], vcc
	s_xor_b64 s[30:31], exec, s[28:29]
	s_cbranch_execz .LBB6_13465
; %bb.13452:                            ;   in Loop: Header=BB6_10567 Depth=3
	v_and_b32_e32 v1, 0x7fffffff, v3
	v_mov_b32_e32 v2, v51
	v_cmp_gt_u64_e32 vcc, s[78:79], v[1:2]
	v_and_b32_sdwa v1, v3, s96 dst_sel:DWORD dst_unused:UNUSED_PAD src0_sel:BYTE_3 src1_sel:DWORD
                                        ; implicit-def: $vgpr2
	s_and_saveexec_b64 s[28:29], vcc
	s_xor_b64 s[34:35], exec, s[28:29]
	s_cbranch_execz .LBB6_13462
; %bb.13453:                            ;   in Loop: Header=BB6_10567 Depth=3
	v_mov_b32_e32 v2, 0
	v_cmp_ne_u32_e32 vcc, 0, v3
	s_and_saveexec_b64 s[36:37], vcc
	s_cbranch_execz .LBB6_13461
; %bb.13454:                            ;   in Loop: Header=BB6_10567 Depth=3
	v_bfe_u32 v2, v3, 23, 8
	v_and_b32_e32 v4, 0x7fffff, v3
	v_cmp_gt_u32_e64 s[28:29], s97, v2
	v_sub_u32_e32 v3, 0x79, v2
	v_cmp_eq_u32_e32 vcc, 0, v2
	v_cndmask_b32_e64 v3, 0, v3, s[28:29]
	v_mov_b32_e32 v6, 0x78
	v_cndmask_b32_e32 v3, v3, v6, vcc
	v_add_u32_e32 v6, 20, v3
	v_or_b32_e32 v5, 0x800000, v4
	v_lshlrev_b64 v[13:14], v6, -1
	v_add_u32_e32 v6, 19, v3
	v_cndmask_b32_e32 v4, v5, v4, vcc
	v_lshlrev_b64 v[23:24], v6, 1
	v_mov_b32_e32 v5, v51
	v_bfi_b32 v14, v14, 0, 0
	v_bfi_b32 v13, v13, 0, v4
	v_cmp_eq_u64_e64 s[28:29], v[13:14], v[23:24]
	v_lshrrev_b64 v[13:14], v3, v[4:5]
	v_mov_b32_e32 v4, v13
	v_mov_b32_e32 v5, v14
	s_and_saveexec_b64 s[38:39], s[28:29]
; %bb.13455:                            ;   in Loop: Header=BB6_10567 Depth=3
	v_bfe_u32 v4, v13, 20, 1
	v_add_co_u32_e64 v4, s[28:29], v13, v4
	v_add_co_u32_e64 v4, s[28:29], -1, v4
; %bb.13456:                            ;   in Loop: Header=BB6_10567 Depth=3
	s_or_b64 exec, exec, s[38:39]
	v_add_u32_e32 v2, 0xffffff81, v2
	v_mov_b32_e32 v5, 0xffffff82
	v_cndmask_b32_e32 v2, v2, v5, vcc
	v_lshrrev_b32_e32 v5, 23, v13
	v_add3_u32 v5, v3, v2, v5
	v_add_u32_e32 v3, 6, v5
	v_and_b32_e32 v2, 0xfffff, v4
	v_add_u32_e32 v13, v2, v13
	v_mov_b32_e32 v14, v51
	v_cmp_ne_u32_e32 vcc, 0, v3
                                        ; implicit-def: $vgpr2
	s_and_saveexec_b64 s[28:29], vcc
	s_xor_b64 s[28:29], exec, s[28:29]
; %bb.13457:                            ;   in Loop: Header=BB6_10567 Depth=3
	v_cmp_lt_u64_e32 vcc, s[88:89], v[13:14]
	v_add_u32_e32 v2, 7, v5
	v_cndmask_b32_e32 v2, v3, v2, vcc
	v_cndmask_b32_e64 v3, 0, 1, vcc
	v_lshrrev_b64 v[13:14], v3, v[13:14]
; %bb.13458:                            ;   in Loop: Header=BB6_10567 Depth=3
	s_andn2_saveexec_b64 s[28:29], s[28:29]
; %bb.13459:                            ;   in Loop: Header=BB6_10567 Depth=3
	v_bfe_u32 v2, v13, 23, 1
; %bb.13460:                            ;   in Loop: Header=BB6_10567 Depth=3
	s_or_b64 exec, exec, s[28:29]
	v_lshrrev_b64 v[3:4], 20, v[13:14]
	v_cmp_gt_i32_e32 vcc, 16, v2
	v_cndmask_b32_e32 v4, 0, v4, vcc
	v_cndmask_b32_e32 v3, 7, v3, vcc
	v_cmp_eq_u32_e32 vcc, 0, v2
	v_min_i32_e32 v2, 15, v2
	v_cmp_eq_u64_e64 s[28:29], 0, v[3:4]
	v_lshlrev_b32_e32 v2, 3, v2
	v_and_b32_e32 v2, 0xf8, v2
	v_and_or_b32 v2, v3, 7, v2
	s_and_b64 s[28:29], vcc, s[28:29]
	v_cndmask_b32_e64 v2, v2, 0, s[28:29]
	v_or_b32_e32 v2, v2, v1
.LBB6_13461:                            ;   in Loop: Header=BB6_10567 Depth=3
	s_or_b64 exec, exec, s[36:37]
                                        ; implicit-def: $vgpr1
.LBB6_13462:                            ;   in Loop: Header=BB6_10567 Depth=3
	s_andn2_saveexec_b64 s[28:29], s[34:35]
; %bb.13463:                            ;   in Loop: Header=BB6_10567 Depth=3
	v_or_b32_e32 v2, 0x7e, v1
; %bb.13464:                            ;   in Loop: Header=BB6_10567 Depth=3
	s_or_b64 exec, exec, s[28:29]
                                        ; implicit-def: $vgpr3
.LBB6_13465:                            ;   in Loop: Header=BB6_10567 Depth=3
	s_andn2_saveexec_b64 s[28:29], s[30:31]
; %bb.13466:                            ;   in Loop: Header=BB6_10567 Depth=3
	v_or_b32_sdwa v2, v3, s86 dst_sel:DWORD dst_unused:UNUSED_PAD src0_sel:BYTE_3 src1_sel:DWORD
; %bb.13467:                            ;   in Loop: Header=BB6_10567 Depth=3
	s_or_b64 exec, exec, s[28:29]
	v_lshrrev_b16_e32 v13, 8, v0
	v_cmp_ne_u16_e32 vcc, 0, v13
	v_mov_b32_e32 v1, 0
	v_mov_b32_e32 v3, 0
	s_and_saveexec_b64 s[28:29], vcc
	s_cbranch_execz .LBB6_13473
; %bb.13468:                            ;   in Loop: Header=BB6_10567 Depth=3
	v_cmp_ne_u16_e32 vcc, s96, v13
	v_bfrev_b32_e32 v3, 1
	s_and_saveexec_b64 s[30:31], vcc
	s_cbranch_execz .LBB6_13472
; %bb.13469:                            ;   in Loop: Header=BB6_10567 Depth=3
	v_and_b32_e32 v4, 0x7f, v13
	v_cmp_ne_u32_e32 vcc, s86, v4
	v_mov_b32_e32 v3, 0x7f800001
	s_and_saveexec_b64 s[34:35], vcc
	s_cbranch_execz .LBB6_13471
; %bb.13470:                            ;   in Loop: Header=BB6_10567 Depth=3
	v_and_b32_e32 v5, 7, v13
	v_ffbh_u32_e32 v3, v5
	v_min_u32_e32 v14, 32, v3
	v_subrev_u32_e32 v3, 28, v14
	v_lshrrev_b32_e32 v6, 3, v4
	v_cmp_gt_u32_e32 vcc, 8, v4
	v_lshlrev_b64 v[3:4], v3, v[13:14]
	v_sub_u32_e32 v4, 29, v14
	v_and_b32_e32 v3, 7, v3
	v_cndmask_b32_e32 v4, v6, v4, vcc
	v_cndmask_b32_e32 v3, v5, v3, vcc
	v_lshlrev_b32_e32 v0, 16, v0
	v_bfrev_b32_e32 v5, 60
	v_lshlrev_b32_e32 v3, 20, v3
	v_and_b32_e32 v0, 0x80000000, v0
	v_lshl_add_u32 v4, v4, 23, v5
	v_or3_b32 v3, v0, v4, v3
.LBB6_13471:                            ;   in Loop: Header=BB6_10567 Depth=3
	s_or_b64 exec, exec, s[34:35]
.LBB6_13472:                            ;   in Loop: Header=BB6_10567 Depth=3
	s_or_b64 exec, exec, s[30:31]
.LBB6_13473:                            ;   in Loop: Header=BB6_10567 Depth=3
	s_or_b64 exec, exec, s[28:29]
	v_lshrrev_b16_e32 v13, 8, v9
	v_cmp_ne_u16_e32 vcc, 0, v13
	s_and_saveexec_b64 s[28:29], vcc
	s_cbranch_execz .LBB6_13479
; %bb.13474:                            ;   in Loop: Header=BB6_10567 Depth=3
	v_cmp_ne_u16_e32 vcc, s96, v13
	v_bfrev_b32_e32 v1, 1
	s_and_saveexec_b64 s[30:31], vcc
	s_cbranch_execz .LBB6_13478
; %bb.13475:                            ;   in Loop: Header=BB6_10567 Depth=3
	v_and_b32_e32 v0, 0x7f, v13
	v_cmp_ne_u32_e32 vcc, s86, v0
	v_mov_b32_e32 v1, 0x7f800001
	s_and_saveexec_b64 s[34:35], vcc
	s_cbranch_execz .LBB6_13477
; %bb.13476:                            ;   in Loop: Header=BB6_10567 Depth=3
	v_and_b32_e32 v4, 7, v13
	v_lshrrev_b32_e32 v5, 3, v0
	v_cmp_gt_u32_e32 vcc, 8, v0
	v_ffbh_u32_e32 v0, v4
	v_min_u32_e32 v6, 32, v0
	v_subrev_u32_e32 v0, 28, v6
	v_lshlrev_b64 v[0:1], v0, v[13:14]
	v_sub_u32_e32 v1, 29, v6
	v_and_b32_e32 v0, 7, v0
	v_cndmask_b32_e32 v1, v5, v1, vcc
	v_cndmask_b32_e32 v0, v4, v0, vcc
	v_lshlrev_b32_e32 v4, 16, v9
	v_bfrev_b32_e32 v5, 60
	v_lshlrev_b32_e32 v0, 20, v0
	v_and_b32_e32 v4, 0x80000000, v4
	v_lshl_add_u32 v1, v1, 23, v5
	v_or3_b32 v1, v4, v1, v0
.LBB6_13477:                            ;   in Loop: Header=BB6_10567 Depth=3
	s_or_b64 exec, exec, s[34:35]
.LBB6_13478:                            ;   in Loop: Header=BB6_10567 Depth=3
	s_or_b64 exec, exec, s[30:31]
.LBB6_13479:                            ;   in Loop: Header=BB6_10567 Depth=3
	s_or_b64 exec, exec, s[28:29]
	v_add_f32_e32 v3, v3, v1
	v_and_b32_e32 v0, 0x7f800000, v3
	v_mov_b32_e32 v1, v51
	v_cmp_ne_u64_e32 vcc, s[76:77], v[0:1]
                                        ; implicit-def: $vgpr1
	s_and_saveexec_b64 s[28:29], vcc
	s_xor_b64 s[30:31], exec, s[28:29]
	s_cbranch_execz .LBB6_13493
; %bb.13480:                            ;   in Loop: Header=BB6_10567 Depth=3
	v_and_b32_e32 v0, 0x7fffffff, v3
	v_mov_b32_e32 v1, v51
	v_cmp_gt_u64_e32 vcc, s[78:79], v[0:1]
	v_and_b32_sdwa v0, v3, s96 dst_sel:DWORD dst_unused:UNUSED_PAD src0_sel:BYTE_3 src1_sel:DWORD
                                        ; implicit-def: $vgpr1
	s_and_saveexec_b64 s[28:29], vcc
	s_xor_b64 s[34:35], exec, s[28:29]
	s_cbranch_execz .LBB6_13490
; %bb.13481:                            ;   in Loop: Header=BB6_10567 Depth=3
	v_mov_b32_e32 v1, 0
	v_cmp_ne_u32_e32 vcc, 0, v3
	s_and_saveexec_b64 s[36:37], vcc
	s_cbranch_execz .LBB6_13489
; %bb.13482:                            ;   in Loop: Header=BB6_10567 Depth=3
	v_bfe_u32 v1, v3, 23, 8
	v_and_b32_e32 v4, 0x7fffff, v3
	v_cmp_gt_u32_e64 s[28:29], s97, v1
	v_sub_u32_e32 v3, 0x79, v1
	v_cmp_eq_u32_e32 vcc, 0, v1
	v_cndmask_b32_e64 v3, 0, v3, s[28:29]
	v_mov_b32_e32 v6, 0x78
	v_cndmask_b32_e32 v3, v3, v6, vcc
	v_add_u32_e32 v6, 20, v3
	v_or_b32_e32 v5, 0x800000, v4
	v_lshlrev_b64 v[13:14], v6, -1
	v_add_u32_e32 v6, 19, v3
	v_cndmask_b32_e32 v4, v5, v4, vcc
	v_lshlrev_b64 v[23:24], v6, 1
	v_mov_b32_e32 v5, v51
	v_bfi_b32 v14, v14, 0, 0
	v_bfi_b32 v13, v13, 0, v4
	v_cmp_eq_u64_e64 s[28:29], v[13:14], v[23:24]
	v_lshrrev_b64 v[13:14], v3, v[4:5]
	v_mov_b32_e32 v4, v13
	v_mov_b32_e32 v5, v14
	s_and_saveexec_b64 s[38:39], s[28:29]
; %bb.13483:                            ;   in Loop: Header=BB6_10567 Depth=3
	v_bfe_u32 v4, v13, 20, 1
	v_add_co_u32_e64 v4, s[28:29], v13, v4
	v_add_co_u32_e64 v4, s[28:29], -1, v4
; %bb.13484:                            ;   in Loop: Header=BB6_10567 Depth=3
	s_or_b64 exec, exec, s[38:39]
	v_add_u32_e32 v1, 0xffffff81, v1
	v_mov_b32_e32 v5, 0xffffff82
	v_cndmask_b32_e32 v1, v1, v5, vcc
	v_lshrrev_b32_e32 v5, 23, v13
	v_add3_u32 v5, v3, v1, v5
	v_add_u32_e32 v3, 6, v5
	v_and_b32_e32 v1, 0xfffff, v4
	v_add_u32_e32 v13, v1, v13
	v_mov_b32_e32 v14, v51
	v_cmp_ne_u32_e32 vcc, 0, v3
                                        ; implicit-def: $vgpr1
	s_and_saveexec_b64 s[28:29], vcc
	s_xor_b64 s[28:29], exec, s[28:29]
; %bb.13485:                            ;   in Loop: Header=BB6_10567 Depth=3
	v_cmp_lt_u64_e32 vcc, s[88:89], v[13:14]
	v_add_u32_e32 v1, 7, v5
	v_cndmask_b32_e32 v1, v3, v1, vcc
	v_cndmask_b32_e64 v3, 0, 1, vcc
	v_lshrrev_b64 v[13:14], v3, v[13:14]
; %bb.13486:                            ;   in Loop: Header=BB6_10567 Depth=3
	s_andn2_saveexec_b64 s[28:29], s[28:29]
; %bb.13487:                            ;   in Loop: Header=BB6_10567 Depth=3
	v_bfe_u32 v1, v13, 23, 1
; %bb.13488:                            ;   in Loop: Header=BB6_10567 Depth=3
	s_or_b64 exec, exec, s[28:29]
	v_lshrrev_b64 v[3:4], 20, v[13:14]
	v_cmp_gt_i32_e32 vcc, 16, v1
	v_cndmask_b32_e32 v4, 0, v4, vcc
	v_cndmask_b32_e32 v3, 7, v3, vcc
	v_cmp_eq_u32_e32 vcc, 0, v1
	v_min_i32_e32 v1, 15, v1
	v_cmp_eq_u64_e64 s[28:29], 0, v[3:4]
	v_lshlrev_b32_e32 v1, 3, v1
	v_and_b32_e32 v1, 0xf8, v1
	v_and_or_b32 v1, v3, 7, v1
	s_and_b64 s[28:29], vcc, s[28:29]
	v_cndmask_b32_e64 v1, v1, 0, s[28:29]
	v_or_b32_e32 v1, v1, v0
.LBB6_13489:                            ;   in Loop: Header=BB6_10567 Depth=3
	s_or_b64 exec, exec, s[36:37]
                                        ; implicit-def: $vgpr0
.LBB6_13490:                            ;   in Loop: Header=BB6_10567 Depth=3
	s_andn2_saveexec_b64 s[28:29], s[34:35]
; %bb.13491:                            ;   in Loop: Header=BB6_10567 Depth=3
	v_or_b32_e32 v1, 0x7e, v0
; %bb.13492:                            ;   in Loop: Header=BB6_10567 Depth=3
	s_or_b64 exec, exec, s[28:29]
                                        ; implicit-def: $vgpr3
.LBB6_13493:                            ;   in Loop: Header=BB6_10567 Depth=3
	s_andn2_saveexec_b64 s[28:29], s[30:31]
; %bb.13494:                            ;   in Loop: Header=BB6_10567 Depth=3
	v_or_b32_sdwa v1, v3, s86 dst_sel:DWORD dst_unused:UNUSED_PAD src0_sel:BYTE_3 src1_sel:DWORD
; %bb.13495:                            ;   in Loop: Header=BB6_10567 Depth=3
	s_or_b64 exec, exec, s[28:29]
	v_lshrrev_b32_e32 v13, 16, v12
	v_cmp_ne_u16_sdwa vcc, v13, v51 src0_sel:BYTE_0 src1_sel:DWORD
	v_mov_b32_e32 v0, 0
	v_mov_b32_e32 v3, 0
	s_and_saveexec_b64 s[28:29], vcc
	s_cbranch_execz .LBB6_13501
; %bb.13496:                            ;   in Loop: Header=BB6_10567 Depth=3
	v_cmp_ne_u16_sdwa vcc, v13, s96 src0_sel:BYTE_0 src1_sel:DWORD
	v_bfrev_b32_e32 v3, 1
	s_and_saveexec_b64 s[30:31], vcc
	s_cbranch_execz .LBB6_13500
; %bb.13497:                            ;   in Loop: Header=BB6_10567 Depth=3
	v_bfe_u32 v4, v12, 16, 7
	v_cmp_ne_u32_e32 vcc, s86, v4
	v_mov_b32_e32 v3, 0x7f800001
	s_and_saveexec_b64 s[34:35], vcc
	s_cbranch_execz .LBB6_13499
; %bb.13498:                            ;   in Loop: Header=BB6_10567 Depth=3
	v_and_b32_e32 v5, 7, v13
	v_ffbh_u32_e32 v3, v5
	v_min_u32_e32 v14, 32, v3
	v_subrev_u32_e32 v3, 28, v14
	v_lshrrev_b32_e32 v6, 3, v4
	v_cmp_gt_u32_e32 vcc, 8, v4
	v_lshlrev_b64 v[3:4], v3, v[13:14]
	v_sub_u32_e32 v4, 29, v14
	v_and_b32_e32 v3, 7, v3
	v_cndmask_b32_e32 v4, v6, v4, vcc
	v_cndmask_b32_e32 v3, v5, v3, vcc
	v_lshlrev_b32_e32 v5, 24, v13
	v_bfrev_b32_e32 v6, 60
	v_lshlrev_b32_e32 v3, 20, v3
	v_and_b32_e32 v5, 0x80000000, v5
	v_lshl_add_u32 v4, v4, 23, v6
	v_or3_b32 v3, v5, v4, v3
.LBB6_13499:                            ;   in Loop: Header=BB6_10567 Depth=3
	s_or_b64 exec, exec, s[34:35]
.LBB6_13500:                            ;   in Loop: Header=BB6_10567 Depth=3
	s_or_b64 exec, exec, s[30:31]
.LBB6_13501:                            ;   in Loop: Header=BB6_10567 Depth=3
	s_or_b64 exec, exec, s[28:29]
	v_lshrrev_b32_e32 v13, 16, v9
	v_cmp_ne_u16_sdwa vcc, v13, v51 src0_sel:BYTE_0 src1_sel:DWORD
	s_and_saveexec_b64 s[28:29], vcc
	s_cbranch_execz .LBB6_13507
; %bb.13502:                            ;   in Loop: Header=BB6_10567 Depth=3
	v_cmp_ne_u16_sdwa vcc, v13, s96 src0_sel:BYTE_0 src1_sel:DWORD
	v_bfrev_b32_e32 v0, 1
	s_and_saveexec_b64 s[30:31], vcc
	s_cbranch_execz .LBB6_13506
; %bb.13503:                            ;   in Loop: Header=BB6_10567 Depth=3
	v_bfe_u32 v4, v9, 16, 7
	v_cmp_ne_u32_e32 vcc, s86, v4
	v_mov_b32_e32 v0, 0x7f800001
	s_and_saveexec_b64 s[34:35], vcc
	s_cbranch_execz .LBB6_13505
; %bb.13504:                            ;   in Loop: Header=BB6_10567 Depth=3
	v_and_b32_e32 v0, 7, v13
	v_lshrrev_b32_e32 v6, 3, v4
	v_cmp_gt_u32_e32 vcc, 8, v4
	v_ffbh_u32_e32 v4, v0
	v_min_u32_e32 v14, 32, v4
	v_subrev_u32_e32 v4, 28, v14
	v_lshlrev_b64 v[4:5], v4, v[13:14]
	v_sub_u32_e32 v5, 29, v14
	v_and_b32_e32 v4, 7, v4
	v_cndmask_b32_e32 v5, v6, v5, vcc
	v_cndmask_b32_e32 v0, v0, v4, vcc
	v_lshlrev_b32_e32 v4, 8, v9
	v_bfrev_b32_e32 v6, 60
	v_lshlrev_b32_e32 v0, 20, v0
	v_and_b32_e32 v4, 0x80000000, v4
	v_lshl_add_u32 v5, v5, 23, v6
	v_or3_b32 v0, v4, v5, v0
.LBB6_13505:                            ;   in Loop: Header=BB6_10567 Depth=3
	s_or_b64 exec, exec, s[34:35]
.LBB6_13506:                            ;   in Loop: Header=BB6_10567 Depth=3
	s_or_b64 exec, exec, s[30:31]
.LBB6_13507:                            ;   in Loop: Header=BB6_10567 Depth=3
	s_or_b64 exec, exec, s[28:29]
	v_add_f32_e32 v3, v3, v0
	v_and_b32_e32 v4, 0x7f800000, v3
	v_mov_b32_e32 v5, v51
	v_cmp_ne_u64_e32 vcc, s[76:77], v[4:5]
                                        ; implicit-def: $vgpr14
	s_and_saveexec_b64 s[28:29], vcc
	s_xor_b64 s[30:31], exec, s[28:29]
	s_cbranch_execz .LBB6_13521
; %bb.13508:                            ;   in Loop: Header=BB6_10567 Depth=3
	v_and_b32_e32 v4, 0x7fffffff, v3
	v_mov_b32_e32 v5, v51
	v_cmp_gt_u64_e32 vcc, s[78:79], v[4:5]
	v_and_b32_sdwa v0, v3, s96 dst_sel:DWORD dst_unused:UNUSED_PAD src0_sel:BYTE_3 src1_sel:DWORD
                                        ; implicit-def: $vgpr14
	s_and_saveexec_b64 s[28:29], vcc
	s_xor_b64 s[34:35], exec, s[28:29]
	s_cbranch_execz .LBB6_13518
; %bb.13509:                            ;   in Loop: Header=BB6_10567 Depth=3
	v_mov_b32_e32 v14, 0
	v_cmp_ne_u32_e32 vcc, 0, v3
	s_and_saveexec_b64 s[36:37], vcc
	s_cbranch_execz .LBB6_13517
; %bb.13510:                            ;   in Loop: Header=BB6_10567 Depth=3
	v_and_b32_e32 v4, 0x7fffff, v3
	v_bfe_u32 v3, v3, 23, 8
	v_cmp_gt_u32_e64 s[28:29], s97, v3
	v_sub_u32_e32 v5, 0x79, v3
	v_cmp_eq_u32_e32 vcc, 0, v3
	v_cndmask_b32_e64 v5, 0, v5, s[28:29]
	v_mov_b32_e32 v6, 0x78
	v_or_b32_e32 v13, 0x800000, v4
	v_cndmask_b32_e32 v6, v5, v6, vcc
	v_cndmask_b32_e32 v4, v13, v4, vcc
	v_add_u32_e32 v13, 20, v6
	v_lshlrev_b64 v[13:14], v13, -1
	v_add_u32_e32 v23, 19, v6
	v_lshlrev_b64 v[23:24], v23, 1
	v_mov_b32_e32 v5, v51
	v_bfi_b32 v14, v14, 0, 0
	v_bfi_b32 v13, v13, 0, v4
	v_cmp_eq_u64_e64 s[28:29], v[13:14], v[23:24]
	v_lshrrev_b64 v[13:14], v6, v[4:5]
	v_mov_b32_e32 v4, v13
	v_mov_b32_e32 v5, v14
	s_and_saveexec_b64 s[38:39], s[28:29]
; %bb.13511:                            ;   in Loop: Header=BB6_10567 Depth=3
	v_bfe_u32 v4, v13, 20, 1
	v_add_co_u32_e64 v4, s[28:29], v13, v4
	v_add_co_u32_e64 v4, s[28:29], -1, v4
; %bb.13512:                            ;   in Loop: Header=BB6_10567 Depth=3
	s_or_b64 exec, exec, s[38:39]
	v_add_u32_e32 v3, 0xffffff81, v3
	v_mov_b32_e32 v5, 0xffffff82
	v_cndmask_b32_e32 v3, v3, v5, vcc
	v_lshrrev_b32_e32 v5, 23, v13
	v_add3_u32 v6, v6, v3, v5
	v_add_u32_e32 v5, 6, v6
	v_and_b32_e32 v3, 0xfffff, v4
	v_add_u32_e32 v13, v3, v13
	v_mov_b32_e32 v14, v51
	v_cmp_ne_u32_e32 vcc, 0, v5
                                        ; implicit-def: $vgpr3
	s_and_saveexec_b64 s[28:29], vcc
	s_xor_b64 s[28:29], exec, s[28:29]
; %bb.13513:                            ;   in Loop: Header=BB6_10567 Depth=3
	v_cmp_lt_u64_e32 vcc, s[88:89], v[13:14]
	v_add_u32_e32 v3, 7, v6
	v_cndmask_b32_e64 v4, 0, 1, vcc
	v_lshrrev_b64 v[13:14], v4, v[13:14]
	v_cndmask_b32_e32 v3, v5, v3, vcc
; %bb.13514:                            ;   in Loop: Header=BB6_10567 Depth=3
	s_andn2_saveexec_b64 s[28:29], s[28:29]
; %bb.13515:                            ;   in Loop: Header=BB6_10567 Depth=3
	v_bfe_u32 v3, v13, 23, 1
; %bb.13516:                            ;   in Loop: Header=BB6_10567 Depth=3
	s_or_b64 exec, exec, s[28:29]
	v_lshrrev_b64 v[4:5], 20, v[13:14]
	v_cmp_gt_i32_e32 vcc, 16, v3
	v_cndmask_b32_e32 v5, 0, v5, vcc
	v_cndmask_b32_e32 v4, 7, v4, vcc
	v_cmp_eq_u32_e32 vcc, 0, v3
	v_min_i32_e32 v3, 15, v3
	v_cmp_eq_u64_e64 s[28:29], 0, v[4:5]
	v_lshlrev_b32_e32 v3, 3, v3
	v_and_b32_e32 v3, 0xf8, v3
	v_and_or_b32 v3, v4, 7, v3
	s_and_b64 s[28:29], vcc, s[28:29]
	v_cndmask_b32_e64 v3, v3, 0, s[28:29]
	v_or_b32_e32 v14, v3, v0
.LBB6_13517:                            ;   in Loop: Header=BB6_10567 Depth=3
	s_or_b64 exec, exec, s[36:37]
                                        ; implicit-def: $vgpr0
.LBB6_13518:                            ;   in Loop: Header=BB6_10567 Depth=3
	s_andn2_saveexec_b64 s[28:29], s[34:35]
; %bb.13519:                            ;   in Loop: Header=BB6_10567 Depth=3
	v_or_b32_e32 v14, 0x7e, v0
; %bb.13520:                            ;   in Loop: Header=BB6_10567 Depth=3
	s_or_b64 exec, exec, s[28:29]
                                        ; implicit-def: $vgpr3
.LBB6_13521:                            ;   in Loop: Header=BB6_10567 Depth=3
	s_andn2_saveexec_b64 s[28:29], s[30:31]
; %bb.13522:                            ;   in Loop: Header=BB6_10567 Depth=3
	v_or_b32_sdwa v14, v3, s86 dst_sel:DWORD dst_unused:UNUSED_PAD src0_sel:BYTE_3 src1_sel:DWORD
; %bb.13523:                            ;   in Loop: Header=BB6_10567 Depth=3
	s_or_b64 exec, exec, s[28:29]
	v_cmp_lt_u32_e32 vcc, s57, v12
	v_mov_b32_e32 v0, 0
	v_mov_b32_e32 v3, 0
	s_and_saveexec_b64 s[28:29], vcc
	s_cbranch_execz .LBB6_13529
; %bb.13524:                            ;   in Loop: Header=BB6_10567 Depth=3
	v_lshrrev_b32_e32 v13, 24, v12
	v_cmp_ne_u32_sdwa vcc, v12, s96 src0_sel:BYTE_3 src1_sel:DWORD
	v_bfrev_b32_e32 v3, 1
	s_and_saveexec_b64 s[30:31], vcc
	s_cbranch_execz .LBB6_13528
; %bb.13525:                            ;   in Loop: Header=BB6_10567 Depth=3
	v_bfe_u32 v4, v12, 24, 7
	v_cmp_ne_u32_e32 vcc, s86, v4
	v_mov_b32_e32 v3, 0x7f800001
	s_and_saveexec_b64 s[34:35], vcc
	s_cbranch_execz .LBB6_13527
; %bb.13526:                            ;   in Loop: Header=BB6_10567 Depth=3
	v_and_b32_e32 v5, 7, v13
	v_ffbh_u32_e32 v3, v5
	v_min_u32_e32 v23, 32, v3
	v_subrev_u32_e32 v3, 28, v23
	v_lshrrev_b32_e32 v6, 3, v4
	v_cmp_gt_u32_e32 vcc, 8, v4
	v_lshlrev_b64 v[3:4], v3, v[13:14]
	v_sub_u32_e32 v4, 29, v23
	v_and_b32_e32 v3, 7, v3
	v_cndmask_b32_e32 v3, v5, v3, vcc
	v_mov_b32_e32 v5, 24
	v_cndmask_b32_e32 v4, v6, v4, vcc
	v_lshlrev_b32_sdwa v5, v5, v12 dst_sel:DWORD dst_unused:UNUSED_PAD src0_sel:DWORD src1_sel:BYTE_3
	v_bfrev_b32_e32 v6, 60
	v_lshlrev_b32_e32 v3, 20, v3
	v_and_b32_e32 v5, 0x80000000, v5
	v_lshl_add_u32 v4, v4, 23, v6
	v_or3_b32 v3, v5, v4, v3
.LBB6_13527:                            ;   in Loop: Header=BB6_10567 Depth=3
	s_or_b64 exec, exec, s[34:35]
.LBB6_13528:                            ;   in Loop: Header=BB6_10567 Depth=3
	s_or_b64 exec, exec, s[30:31]
.LBB6_13529:                            ;   in Loop: Header=BB6_10567 Depth=3
	s_or_b64 exec, exec, s[28:29]
	v_cmp_lt_u64_e32 vcc, s[56:57], v[8:9]
	s_and_saveexec_b64 s[28:29], vcc
	s_cbranch_execz .LBB6_13535
; %bb.13530:                            ;   in Loop: Header=BB6_10567 Depth=3
	v_lshrrev_b32_e32 v8, 24, v9
	v_cmp_ne_u32_e32 vcc, s96, v8
	v_bfrev_b32_e32 v0, 1
	s_and_saveexec_b64 s[30:31], vcc
	s_cbranch_execz .LBB6_13534
; %bb.13531:                            ;   in Loop: Header=BB6_10567 Depth=3
	v_bfe_u32 v4, v9, 24, 7
	v_cmp_ne_u32_e32 vcc, s86, v4
	v_mov_b32_e32 v0, 0x7f800001
	s_and_saveexec_b64 s[34:35], vcc
	s_cbranch_execz .LBB6_13533
; %bb.13532:                            ;   in Loop: Header=BB6_10567 Depth=3
	v_and_b32_e32 v0, 7, v8
	v_lshrrev_b32_e32 v6, 3, v4
	v_cmp_gt_u32_e32 vcc, 8, v4
	v_ffbh_u32_e32 v4, v0
	v_min_u32_e32 v9, 32, v4
	v_subrev_u32_e32 v4, 28, v9
	v_lshlrev_b64 v[4:5], v4, v[8:9]
	v_sub_u32_e32 v5, 29, v9
	v_and_b32_e32 v4, 7, v4
	v_cndmask_b32_e32 v5, v6, v5, vcc
	v_cndmask_b32_e32 v0, v0, v4, vcc
	v_lshlrev_b32_e32 v4, 24, v8
	v_bfrev_b32_e32 v6, 60
	v_lshlrev_b32_e32 v0, 20, v0
	v_and_b32_e32 v4, 0x80000000, v4
	v_lshl_add_u32 v5, v5, 23, v6
	v_or3_b32 v0, v4, v5, v0
.LBB6_13533:                            ;   in Loop: Header=BB6_10567 Depth=3
	s_or_b64 exec, exec, s[34:35]
.LBB6_13534:                            ;   in Loop: Header=BB6_10567 Depth=3
	s_or_b64 exec, exec, s[30:31]
.LBB6_13535:                            ;   in Loop: Header=BB6_10567 Depth=3
	s_or_b64 exec, exec, s[28:29]
	v_add_f32_e32 v4, v3, v0
	v_and_b32_e32 v5, 0x7f800000, v4
	v_mov_b32_e32 v6, v51
	v_cmp_ne_u64_e32 vcc, s[76:77], v[5:6]
                                        ; implicit-def: $vgpr0
	s_and_saveexec_b64 s[28:29], vcc
	s_xor_b64 s[30:31], exec, s[28:29]
	s_cbranch_execz .LBB6_13549
; %bb.13536:                            ;   in Loop: Header=BB6_10567 Depth=3
	v_and_b32_e32 v5, 0x7fffffff, v4
	v_mov_b32_e32 v6, v51
	v_cmp_gt_u64_e32 vcc, s[78:79], v[5:6]
	v_and_b32_sdwa v3, v4, s96 dst_sel:DWORD dst_unused:UNUSED_PAD src0_sel:BYTE_3 src1_sel:DWORD
                                        ; implicit-def: $vgpr0
	s_and_saveexec_b64 s[28:29], vcc
	s_xor_b64 s[34:35], exec, s[28:29]
	s_cbranch_execz .LBB6_13546
; %bb.13537:                            ;   in Loop: Header=BB6_10567 Depth=3
	v_mov_b32_e32 v0, 0
	v_cmp_ne_u32_e32 vcc, 0, v4
	s_and_saveexec_b64 s[36:37], vcc
	s_cbranch_execz .LBB6_13545
; %bb.13538:                            ;   in Loop: Header=BB6_10567 Depth=3
	v_bfe_u32 v0, v4, 23, 8
	v_and_b32_e32 v5, 0x7fffff, v4
	v_cmp_gt_u32_e64 s[28:29], s97, v0
	v_sub_u32_e32 v4, 0x79, v0
	v_cmp_eq_u32_e32 vcc, 0, v0
	v_cndmask_b32_e64 v4, 0, v4, s[28:29]
	v_mov_b32_e32 v6, 0x78
	v_or_b32_e32 v8, 0x800000, v5
	v_cndmask_b32_e32 v6, v4, v6, vcc
	v_cndmask_b32_e32 v4, v8, v5, vcc
	v_add_u32_e32 v8, 20, v6
	v_lshlrev_b64 v[8:9], v8, -1
	v_add_u32_e32 v12, 19, v6
	v_lshlrev_b64 v[12:13], v12, 1
	v_mov_b32_e32 v5, v51
	v_bfi_b32 v9, v9, 0, 0
	v_bfi_b32 v8, v8, 0, v4
	v_cmp_eq_u64_e64 s[28:29], v[8:9], v[12:13]
	v_lshrrev_b64 v[8:9], v6, v[4:5]
	v_mov_b32_e32 v4, v8
	v_mov_b32_e32 v5, v9
	s_and_saveexec_b64 s[38:39], s[28:29]
; %bb.13539:                            ;   in Loop: Header=BB6_10567 Depth=3
	v_bfe_u32 v4, v8, 20, 1
	v_add_co_u32_e64 v4, s[28:29], v8, v4
	v_add_co_u32_e64 v4, s[28:29], -1, v4
; %bb.13540:                            ;   in Loop: Header=BB6_10567 Depth=3
	s_or_b64 exec, exec, s[38:39]
	v_add_u32_e32 v0, 0xffffff81, v0
	v_mov_b32_e32 v5, 0xffffff82
	v_cndmask_b32_e32 v0, v0, v5, vcc
	v_lshrrev_b32_e32 v5, 23, v8
	v_add3_u32 v6, v6, v0, v5
	v_add_u32_e32 v5, 6, v6
	v_and_b32_e32 v0, 0xfffff, v4
	v_add_u32_e32 v8, v0, v8
	v_mov_b32_e32 v9, v51
	v_cmp_ne_u32_e32 vcc, 0, v5
                                        ; implicit-def: $vgpr0
	s_and_saveexec_b64 s[28:29], vcc
	s_xor_b64 s[28:29], exec, s[28:29]
; %bb.13541:                            ;   in Loop: Header=BB6_10567 Depth=3
	v_cmp_lt_u64_e32 vcc, s[88:89], v[8:9]
	v_add_u32_e32 v0, 7, v6
	v_cndmask_b32_e64 v4, 0, 1, vcc
	v_lshrrev_b64 v[8:9], v4, v[8:9]
	v_cndmask_b32_e32 v0, v5, v0, vcc
; %bb.13542:                            ;   in Loop: Header=BB6_10567 Depth=3
	s_andn2_saveexec_b64 s[28:29], s[28:29]
; %bb.13543:                            ;   in Loop: Header=BB6_10567 Depth=3
	v_bfe_u32 v0, v8, 23, 1
; %bb.13544:                            ;   in Loop: Header=BB6_10567 Depth=3
	s_or_b64 exec, exec, s[28:29]
	v_lshrrev_b64 v[4:5], 20, v[8:9]
	v_cmp_gt_i32_e32 vcc, 16, v0
	v_cndmask_b32_e32 v5, 0, v5, vcc
	v_cndmask_b32_e32 v4, 7, v4, vcc
	v_cmp_eq_u32_e32 vcc, 0, v0
	v_min_i32_e32 v0, 15, v0
	v_cmp_eq_u64_e64 s[28:29], 0, v[4:5]
	v_lshlrev_b32_e32 v0, 3, v0
	v_and_b32_e32 v0, 0xf8, v0
	v_and_or_b32 v0, v4, 7, v0
	s_and_b64 s[28:29], vcc, s[28:29]
	v_cndmask_b32_e64 v0, v0, 0, s[28:29]
	v_or_b32_e32 v0, v0, v3
.LBB6_13545:                            ;   in Loop: Header=BB6_10567 Depth=3
	s_or_b64 exec, exec, s[36:37]
                                        ; implicit-def: $vgpr3
.LBB6_13546:                            ;   in Loop: Header=BB6_10567 Depth=3
	s_andn2_saveexec_b64 s[28:29], s[34:35]
; %bb.13547:                            ;   in Loop: Header=BB6_10567 Depth=3
	v_or_b32_e32 v0, 0x7e, v3
; %bb.13548:                            ;   in Loop: Header=BB6_10567 Depth=3
	s_or_b64 exec, exec, s[28:29]
                                        ; implicit-def: $vgpr4
.LBB6_13549:                            ;   in Loop: Header=BB6_10567 Depth=3
	s_andn2_saveexec_b64 s[28:29], s[30:31]
; %bb.13550:                            ;   in Loop: Header=BB6_10567 Depth=3
	v_or_b32_sdwa v0, v4, s86 dst_sel:DWORD dst_unused:UNUSED_PAD src0_sel:BYTE_3 src1_sel:DWORD
; %bb.13551:                            ;   in Loop: Header=BB6_10567 Depth=3
	s_or_b64 exec, exec, s[28:29]
	buffer_load_dword v3, off, s[0:3], s33 offset:112 ; 4-byte Folded Reload
	buffer_load_dword v4, off, s[0:3], s33 offset:128 ; 4-byte Folded Reload
	;; [unrolled: 1-line block ×3, first 2 shown]
	v_mov_b32_e32 v9, v51
	v_cmp_ne_u32_e32 vcc, 0, v42
	s_waitcnt vmcnt(2)
	v_lshl_or_b32 v3, v3, 8, v42
	s_waitcnt vmcnt(1)
	v_lshlrev_b32_e32 v4, 16, v4
	s_waitcnt vmcnt(0)
	v_lshlrev_b32_e32 v5, 24, v5
	v_or3_b32 v8, v4, v5, v3
	v_mov_b32_e32 v4, 0
	v_mov_b32_e32 v5, 0
	s_and_saveexec_b64 s[28:29], vcc
	s_cbranch_execz .LBB6_13557
; %bb.13552:                            ;   in Loop: Header=BB6_10567 Depth=3
	v_cmp_ne_u32_e32 vcc, s96, v42
	v_bfrev_b32_e32 v5, 1
	s_and_saveexec_b64 s[30:31], vcc
	s_cbranch_execz .LBB6_13556
; %bb.13553:                            ;   in Loop: Header=BB6_10567 Depth=3
	v_and_b32_e32 v6, 0x7f, v42
	v_cmp_ne_u32_e32 vcc, s86, v6
	v_mov_b32_e32 v5, 0x7f800001
	s_and_saveexec_b64 s[34:35], vcc
	s_cbranch_execz .LBB6_13555
; %bb.13554:                            ;   in Loop: Header=BB6_10567 Depth=3
	v_and_b32_e32 v5, 7, v42
	v_ffbh_u32_e32 v5, v5
	v_min_u32_e32 v5, 32, v5
	v_lshrrev_b32_e32 v12, 3, v6
	v_cmp_gt_u32_e32 vcc, 8, v6
	v_subrev_u32_e32 v6, 28, v5
	v_sub_u32_e32 v5, 29, v5
	v_cndmask_b32_e32 v12, v12, v5, vcc
	v_cndmask_b32_e32 v5, 0, v6, vcc
	v_lshlrev_b64 v[5:6], v5, v[8:9]
	v_lshlrev_b32_e32 v6, 24, v8
	v_lshlrev_b32_e32 v5, 20, v5
	v_bfrev_b32_e32 v9, 60
	v_and_b32_e32 v5, 0x700000, v5
	v_and_b32_e32 v6, 0x80000000, v6
	v_lshl_add_u32 v9, v12, 23, v9
	v_or3_b32 v5, v6, v9, v5
.LBB6_13555:                            ;   in Loop: Header=BB6_10567 Depth=3
	s_or_b64 exec, exec, s[34:35]
.LBB6_13556:                            ;   in Loop: Header=BB6_10567 Depth=3
	s_or_b64 exec, exec, s[30:31]
.LBB6_13557:                            ;   in Loop: Header=BB6_10567 Depth=3
	s_or_b64 exec, exec, s[28:29]
	v_cmp_ne_u16_sdwa vcc, v10, v51 src0_sel:BYTE_0 src1_sel:DWORD
	s_and_saveexec_b64 s[28:29], vcc
	s_cbranch_execz .LBB6_13563
; %bb.13558:                            ;   in Loop: Header=BB6_10567 Depth=3
	v_cmp_ne_u16_sdwa vcc, v10, s96 src0_sel:BYTE_0 src1_sel:DWORD
	v_bfrev_b32_e32 v4, 1
	s_and_saveexec_b64 s[30:31], vcc
	s_cbranch_execz .LBB6_13562
; %bb.13559:                            ;   in Loop: Header=BB6_10567 Depth=3
	v_and_b32_e32 v6, 0x7f, v10
	v_cmp_ne_u32_e32 vcc, s86, v6
	v_mov_b32_e32 v4, 0x7f800001
	s_and_saveexec_b64 s[34:35], vcc
	s_cbranch_execz .LBB6_13561
; %bb.13560:                            ;   in Loop: Header=BB6_10567 Depth=3
	v_and_b32_e32 v4, 7, v10
	v_ffbh_u32_e32 v4, v4
	v_min_u32_e32 v4, 32, v4
	v_lshrrev_b32_e32 v9, 3, v6
	v_cmp_gt_u32_e32 vcc, 8, v6
	v_subrev_u32_e32 v6, 28, v4
	v_cndmask_b32_e32 v6, 0, v6, vcc
	v_lshlrev_b64 v[12:13], v6, v[10:11]
	v_sub_u32_e32 v4, 29, v4
	v_cndmask_b32_e32 v4, v9, v4, vcc
	v_lshlrev_b32_e32 v6, 20, v12
	v_lshlrev_b32_e32 v9, 24, v10
	v_bfrev_b32_e32 v12, 60
	v_and_b32_e32 v6, 0x700000, v6
	v_and_b32_e32 v9, 0x80000000, v9
	v_lshl_add_u32 v4, v4, 23, v12
	v_or3_b32 v4, v9, v4, v6
.LBB6_13561:                            ;   in Loop: Header=BB6_10567 Depth=3
	s_or_b64 exec, exec, s[34:35]
.LBB6_13562:                            ;   in Loop: Header=BB6_10567 Depth=3
	s_or_b64 exec, exec, s[30:31]
.LBB6_13563:                            ;   in Loop: Header=BB6_10567 Depth=3
	s_or_b64 exec, exec, s[28:29]
	v_add_f32_e32 v4, v5, v4
	v_and_b32_e32 v5, 0x7f800000, v4
	v_mov_b32_e32 v6, v51
	v_cmp_ne_u64_e32 vcc, s[76:77], v[5:6]
                                        ; implicit-def: $vgpr42
	s_and_saveexec_b64 s[28:29], vcc
	s_xor_b64 s[30:31], exec, s[28:29]
	s_cbranch_execz .LBB6_13577
; %bb.13564:                            ;   in Loop: Header=BB6_10567 Depth=3
	v_and_b32_e32 v5, 0x7fffffff, v4
	v_mov_b32_e32 v6, v51
	v_cmp_gt_u64_e32 vcc, s[78:79], v[5:6]
	v_and_b32_sdwa v6, v4, s96 dst_sel:DWORD dst_unused:UNUSED_PAD src0_sel:BYTE_3 src1_sel:DWORD
                                        ; implicit-def: $vgpr42
	s_and_saveexec_b64 s[28:29], vcc
	s_xor_b64 s[34:35], exec, s[28:29]
	s_cbranch_execz .LBB6_13574
; %bb.13565:                            ;   in Loop: Header=BB6_10567 Depth=3
	v_mov_b32_e32 v42, 0
	v_cmp_ne_u32_e32 vcc, 0, v4
	s_and_saveexec_b64 s[36:37], vcc
	s_cbranch_execz .LBB6_13573
; %bb.13566:                            ;   in Loop: Header=BB6_10567 Depth=3
	v_bfe_u32 v9, v4, 23, 8
	v_and_b32_e32 v5, 0x7fffff, v4
	v_cmp_gt_u32_e64 s[28:29], s97, v9
	v_sub_u32_e32 v4, 0x79, v9
	v_cmp_eq_u32_e32 vcc, 0, v9
	v_cndmask_b32_e64 v4, 0, v4, s[28:29]
	v_mov_b32_e32 v13, 0x78
	v_or_b32_e32 v12, 0x800000, v5
	v_cndmask_b32_e32 v23, v4, v13, vcc
	v_cndmask_b32_e32 v4, v12, v5, vcc
	v_add_u32_e32 v12, 20, v23
	v_lshlrev_b64 v[12:13], v12, -1
	v_add_u32_e32 v24, 19, v23
	v_lshlrev_b64 v[24:25], v24, 1
	v_mov_b32_e32 v5, v51
	v_bfi_b32 v13, v13, 0, 0
	v_bfi_b32 v12, v12, 0, v4
	v_cmp_eq_u64_e64 s[28:29], v[12:13], v[24:25]
	v_lshrrev_b64 v[12:13], v23, v[4:5]
	v_mov_b32_e32 v4, v12
	v_mov_b32_e32 v5, v13
	s_and_saveexec_b64 s[38:39], s[28:29]
; %bb.13567:                            ;   in Loop: Header=BB6_10567 Depth=3
	v_bfe_u32 v4, v12, 20, 1
	v_add_co_u32_e64 v4, s[28:29], v12, v4
	v_add_co_u32_e64 v4, s[28:29], -1, v4
; %bb.13568:                            ;   in Loop: Header=BB6_10567 Depth=3
	s_or_b64 exec, exec, s[38:39]
	v_add_u32_e32 v5, 0xffffff81, v9
	v_mov_b32_e32 v9, 0xffffff82
	v_cndmask_b32_e32 v5, v5, v9, vcc
	v_lshrrev_b32_e32 v9, 23, v12
	v_add3_u32 v9, v23, v5, v9
	v_add_u32_e32 v5, 6, v9
	v_and_b32_e32 v4, 0xfffff, v4
	v_add_u32_e32 v12, v4, v12
	v_mov_b32_e32 v13, v51
	v_cmp_ne_u32_e32 vcc, 0, v5
                                        ; implicit-def: $vgpr4
	s_and_saveexec_b64 s[28:29], vcc
	s_xor_b64 s[28:29], exec, s[28:29]
; %bb.13569:                            ;   in Loop: Header=BB6_10567 Depth=3
	v_cmp_lt_u64_e32 vcc, s[88:89], v[12:13]
	v_add_u32_e32 v4, 7, v9
	v_cndmask_b32_e32 v4, v5, v4, vcc
	v_cndmask_b32_e64 v5, 0, 1, vcc
	v_lshrrev_b64 v[12:13], v5, v[12:13]
; %bb.13570:                            ;   in Loop: Header=BB6_10567 Depth=3
	s_andn2_saveexec_b64 s[28:29], s[28:29]
; %bb.13571:                            ;   in Loop: Header=BB6_10567 Depth=3
	v_bfe_u32 v4, v12, 23, 1
; %bb.13572:                            ;   in Loop: Header=BB6_10567 Depth=3
	s_or_b64 exec, exec, s[28:29]
	v_lshrrev_b64 v[12:13], 20, v[12:13]
	v_cmp_gt_i32_e32 vcc, 16, v4
	v_cndmask_b32_e32 v13, 0, v13, vcc
	v_cndmask_b32_e32 v12, 7, v12, vcc
	v_cmp_eq_u32_e32 vcc, 0, v4
	v_min_i32_e32 v4, 15, v4
	v_cmp_eq_u64_e64 s[28:29], 0, v[12:13]
	v_lshlrev_b32_e32 v4, 3, v4
	v_and_b32_e32 v4, 0xf8, v4
	v_and_or_b32 v4, v12, 7, v4
	s_and_b64 s[28:29], vcc, s[28:29]
	v_cndmask_b32_e64 v4, v4, 0, s[28:29]
	v_or_b32_e32 v42, v4, v6
.LBB6_13573:                            ;   in Loop: Header=BB6_10567 Depth=3
	s_or_b64 exec, exec, s[36:37]
                                        ; implicit-def: $vgpr6
.LBB6_13574:                            ;   in Loop: Header=BB6_10567 Depth=3
	s_andn2_saveexec_b64 s[28:29], s[34:35]
; %bb.13575:                            ;   in Loop: Header=BB6_10567 Depth=3
	v_or_b32_e32 v42, 0x7e, v6
; %bb.13576:                            ;   in Loop: Header=BB6_10567 Depth=3
	s_or_b64 exec, exec, s[28:29]
                                        ; implicit-def: $vgpr4
.LBB6_13577:                            ;   in Loop: Header=BB6_10567 Depth=3
	s_andn2_saveexec_b64 s[28:29], s[30:31]
; %bb.13578:                            ;   in Loop: Header=BB6_10567 Depth=3
	v_or_b32_sdwa v42, v4, s86 dst_sel:DWORD dst_unused:UNUSED_PAD src0_sel:BYTE_3 src1_sel:DWORD
; %bb.13579:                            ;   in Loop: Header=BB6_10567 Depth=3
	s_or_b64 exec, exec, s[28:29]
	v_lshrrev_b16_e32 v9, 8, v3
	v_cmp_ne_u16_e32 vcc, 0, v9
	v_mov_b32_e32 v4, 0
	v_mov_b32_e32 v5, 0
	s_and_saveexec_b64 s[28:29], vcc
	s_cbranch_execz .LBB6_13585
; %bb.13580:                            ;   in Loop: Header=BB6_10567 Depth=3
	v_cmp_ne_u16_e32 vcc, s96, v9
	v_bfrev_b32_e32 v5, 1
	s_and_saveexec_b64 s[30:31], vcc
	s_cbranch_execz .LBB6_13584
; %bb.13581:                            ;   in Loop: Header=BB6_10567 Depth=3
	v_and_b32_e32 v6, 0x7f, v9
	v_cmp_ne_u32_e32 vcc, s86, v6
	v_mov_b32_e32 v5, 0x7f800001
	s_and_saveexec_b64 s[34:35], vcc
	s_cbranch_execz .LBB6_13583
; %bb.13582:                            ;   in Loop: Header=BB6_10567 Depth=3
	v_and_b32_e32 v12, 7, v9
	v_ffbh_u32_e32 v5, v12
	v_min_u32_e32 v23, 32, v5
	v_subrev_u32_e32 v5, 28, v23
	v_lshrrev_b32_e32 v13, 3, v6
	v_cmp_gt_u32_e32 vcc, 8, v6
	v_lshlrev_b64 v[5:6], v5, v[9:10]
	v_sub_u32_e32 v6, 29, v23
	v_and_b32_e32 v5, 7, v5
	v_cndmask_b32_e32 v6, v13, v6, vcc
	v_cndmask_b32_e32 v5, v12, v5, vcc
	v_lshlrev_b32_e32 v3, 16, v3
	v_bfrev_b32_e32 v9, 60
	v_lshlrev_b32_e32 v5, 20, v5
	v_and_b32_e32 v3, 0x80000000, v3
	v_lshl_add_u32 v6, v6, 23, v9
	v_or3_b32 v5, v3, v6, v5
.LBB6_13583:                            ;   in Loop: Header=BB6_10567 Depth=3
	s_or_b64 exec, exec, s[34:35]
.LBB6_13584:                            ;   in Loop: Header=BB6_10567 Depth=3
	s_or_b64 exec, exec, s[30:31]
.LBB6_13585:                            ;   in Loop: Header=BB6_10567 Depth=3
	s_or_b64 exec, exec, s[28:29]
	v_lshrrev_b16_e32 v9, 8, v10
	v_cmp_ne_u16_e32 vcc, 0, v9
	s_and_saveexec_b64 s[28:29], vcc
	s_cbranch_execz .LBB6_13591
; %bb.13586:                            ;   in Loop: Header=BB6_10567 Depth=3
	v_cmp_ne_u16_e32 vcc, s96, v9
	v_bfrev_b32_e32 v4, 1
	s_and_saveexec_b64 s[30:31], vcc
	s_cbranch_execz .LBB6_13590
; %bb.13587:                            ;   in Loop: Header=BB6_10567 Depth=3
	v_and_b32_e32 v3, 0x7f, v9
	v_cmp_ne_u32_e32 vcc, s86, v3
	v_mov_b32_e32 v4, 0x7f800001
	s_and_saveexec_b64 s[34:35], vcc
	s_cbranch_execz .LBB6_13589
; %bb.13588:                            ;   in Loop: Header=BB6_10567 Depth=3
	v_and_b32_e32 v6, 7, v9
	v_lshrrev_b32_e32 v12, 3, v3
	v_cmp_gt_u32_e32 vcc, 8, v3
	v_ffbh_u32_e32 v3, v6
	v_min_u32_e32 v13, 32, v3
	v_subrev_u32_e32 v3, 28, v13
	v_lshlrev_b64 v[3:4], v3, v[9:10]
	v_sub_u32_e32 v4, 29, v13
	v_and_b32_e32 v3, 7, v3
	v_cndmask_b32_e32 v4, v12, v4, vcc
	v_cndmask_b32_e32 v3, v6, v3, vcc
	v_lshlrev_b32_e32 v6, 16, v10
	v_bfrev_b32_e32 v9, 60
	v_lshlrev_b32_e32 v3, 20, v3
	v_and_b32_e32 v6, 0x80000000, v6
	v_lshl_add_u32 v4, v4, 23, v9
	v_or3_b32 v4, v6, v4, v3
.LBB6_13589:                            ;   in Loop: Header=BB6_10567 Depth=3
	s_or_b64 exec, exec, s[34:35]
.LBB6_13590:                            ;   in Loop: Header=BB6_10567 Depth=3
	s_or_b64 exec, exec, s[30:31]
.LBB6_13591:                            ;   in Loop: Header=BB6_10567 Depth=3
	s_or_b64 exec, exec, s[28:29]
	v_add_f32_e32 v4, v5, v4
	v_and_b32_e32 v5, 0x7f800000, v4
	v_mov_b32_e32 v6, v51
	v_cmp_ne_u64_e32 vcc, s[76:77], v[5:6]
                                        ; implicit-def: $vgpr3
	s_and_saveexec_b64 s[28:29], vcc
	s_xor_b64 s[30:31], exec, s[28:29]
	s_cbranch_execz .LBB6_13605
; %bb.13592:                            ;   in Loop: Header=BB6_10567 Depth=3
	v_and_b32_e32 v5, 0x7fffffff, v4
	v_mov_b32_e32 v6, v51
	v_cmp_gt_u64_e32 vcc, s[78:79], v[5:6]
	v_and_b32_sdwa v6, v4, s96 dst_sel:DWORD dst_unused:UNUSED_PAD src0_sel:BYTE_3 src1_sel:DWORD
                                        ; implicit-def: $vgpr3
	s_and_saveexec_b64 s[28:29], vcc
	s_xor_b64 s[34:35], exec, s[28:29]
	s_cbranch_execz .LBB6_13602
; %bb.13593:                            ;   in Loop: Header=BB6_10567 Depth=3
	v_mov_b32_e32 v3, 0
	v_cmp_ne_u32_e32 vcc, 0, v4
	s_and_saveexec_b64 s[36:37], vcc
	s_cbranch_execz .LBB6_13601
; %bb.13594:                            ;   in Loop: Header=BB6_10567 Depth=3
	v_bfe_u32 v3, v4, 23, 8
	v_and_b32_e32 v5, 0x7fffff, v4
	v_cmp_gt_u32_e64 s[28:29], s97, v3
	v_sub_u32_e32 v4, 0x79, v3
	v_cmp_eq_u32_e32 vcc, 0, v3
	v_cndmask_b32_e64 v4, 0, v4, s[28:29]
	v_mov_b32_e32 v9, 0x78
	v_or_b32_e32 v12, 0x800000, v5
	v_cndmask_b32_e32 v9, v4, v9, vcc
	v_cndmask_b32_e32 v4, v12, v5, vcc
	v_add_u32_e32 v12, 20, v9
	v_lshlrev_b64 v[12:13], v12, -1
	v_add_u32_e32 v23, 19, v9
	v_lshlrev_b64 v[23:24], v23, 1
	v_mov_b32_e32 v5, v51
	v_bfi_b32 v13, v13, 0, 0
	v_bfi_b32 v12, v12, 0, v4
	v_cmp_eq_u64_e64 s[28:29], v[12:13], v[23:24]
	v_lshrrev_b64 v[12:13], v9, v[4:5]
	v_mov_b32_e32 v4, v12
	v_mov_b32_e32 v5, v13
	s_and_saveexec_b64 s[38:39], s[28:29]
; %bb.13595:                            ;   in Loop: Header=BB6_10567 Depth=3
	v_bfe_u32 v4, v12, 20, 1
	v_add_co_u32_e64 v4, s[28:29], v12, v4
	v_add_co_u32_e64 v4, s[28:29], -1, v4
; %bb.13596:                            ;   in Loop: Header=BB6_10567 Depth=3
	s_or_b64 exec, exec, s[38:39]
	v_add_u32_e32 v3, 0xffffff81, v3
	v_mov_b32_e32 v5, 0xffffff82
	v_cndmask_b32_e32 v3, v3, v5, vcc
	v_lshrrev_b32_e32 v5, 23, v12
	v_add3_u32 v9, v9, v3, v5
	v_add_u32_e32 v5, 6, v9
	v_and_b32_e32 v3, 0xfffff, v4
	v_add_u32_e32 v12, v3, v12
	v_mov_b32_e32 v13, v51
	v_cmp_ne_u32_e32 vcc, 0, v5
                                        ; implicit-def: $vgpr3
	s_and_saveexec_b64 s[28:29], vcc
	s_xor_b64 s[28:29], exec, s[28:29]
; %bb.13597:                            ;   in Loop: Header=BB6_10567 Depth=3
	v_cmp_lt_u64_e32 vcc, s[88:89], v[12:13]
	v_add_u32_e32 v3, 7, v9
	v_cndmask_b32_e64 v4, 0, 1, vcc
	v_lshrrev_b64 v[12:13], v4, v[12:13]
	v_cndmask_b32_e32 v3, v5, v3, vcc
; %bb.13598:                            ;   in Loop: Header=BB6_10567 Depth=3
	s_andn2_saveexec_b64 s[28:29], s[28:29]
; %bb.13599:                            ;   in Loop: Header=BB6_10567 Depth=3
	v_bfe_u32 v3, v12, 23, 1
; %bb.13600:                            ;   in Loop: Header=BB6_10567 Depth=3
	s_or_b64 exec, exec, s[28:29]
	v_lshrrev_b64 v[4:5], 20, v[12:13]
	v_cmp_gt_i32_e32 vcc, 16, v3
	v_cndmask_b32_e32 v5, 0, v5, vcc
	v_cndmask_b32_e32 v4, 7, v4, vcc
	v_cmp_eq_u32_e32 vcc, 0, v3
	v_min_i32_e32 v3, 15, v3
	v_cmp_eq_u64_e64 s[28:29], 0, v[4:5]
	v_lshlrev_b32_e32 v3, 3, v3
	v_and_b32_e32 v3, 0xf8, v3
	v_and_or_b32 v3, v4, 7, v3
	s_and_b64 s[28:29], vcc, s[28:29]
	v_cndmask_b32_e64 v3, v3, 0, s[28:29]
	v_or_b32_e32 v3, v3, v6
.LBB6_13601:                            ;   in Loop: Header=BB6_10567 Depth=3
	s_or_b64 exec, exec, s[36:37]
                                        ; implicit-def: $vgpr6
.LBB6_13602:                            ;   in Loop: Header=BB6_10567 Depth=3
	s_andn2_saveexec_b64 s[28:29], s[34:35]
; %bb.13603:                            ;   in Loop: Header=BB6_10567 Depth=3
	v_or_b32_e32 v3, 0x7e, v6
; %bb.13604:                            ;   in Loop: Header=BB6_10567 Depth=3
	s_or_b64 exec, exec, s[28:29]
                                        ; implicit-def: $vgpr4
.LBB6_13605:                            ;   in Loop: Header=BB6_10567 Depth=3
	s_andn2_saveexec_b64 s[28:29], s[30:31]
; %bb.13606:                            ;   in Loop: Header=BB6_10567 Depth=3
	v_or_b32_sdwa v3, v4, s86 dst_sel:DWORD dst_unused:UNUSED_PAD src0_sel:BYTE_3 src1_sel:DWORD
; %bb.13607:                            ;   in Loop: Header=BB6_10567 Depth=3
	s_or_b64 exec, exec, s[28:29]
	v_lshrrev_b32_e32 v9, 16, v8
	v_cmp_ne_u16_sdwa vcc, v9, v51 src0_sel:BYTE_0 src1_sel:DWORD
	v_mov_b32_e32 v4, 0
	v_mov_b32_e32 v5, 0
	s_and_saveexec_b64 s[28:29], vcc
	s_cbranch_execz .LBB6_13613
; %bb.13608:                            ;   in Loop: Header=BB6_10567 Depth=3
	v_cmp_ne_u16_sdwa vcc, v9, s96 src0_sel:BYTE_0 src1_sel:DWORD
	v_bfrev_b32_e32 v5, 1
	s_and_saveexec_b64 s[30:31], vcc
	s_cbranch_execz .LBB6_13612
; %bb.13609:                            ;   in Loop: Header=BB6_10567 Depth=3
	v_bfe_u32 v6, v8, 16, 7
	v_cmp_ne_u32_e32 vcc, s86, v6
	v_mov_b32_e32 v5, 0x7f800001
	s_and_saveexec_b64 s[34:35], vcc
	s_cbranch_execz .LBB6_13611
; %bb.13610:                            ;   in Loop: Header=BB6_10567 Depth=3
	v_and_b32_e32 v12, 7, v9
	v_ffbh_u32_e32 v5, v12
	v_min_u32_e32 v23, 32, v5
	v_subrev_u32_e32 v5, 28, v23
	v_lshrrev_b32_e32 v13, 3, v6
	v_cmp_gt_u32_e32 vcc, 8, v6
	v_lshlrev_b64 v[5:6], v5, v[9:10]
	v_sub_u32_e32 v6, 29, v23
	v_and_b32_e32 v5, 7, v5
	v_cndmask_b32_e32 v6, v13, v6, vcc
	v_cndmask_b32_e32 v5, v12, v5, vcc
	v_lshlrev_b32_e32 v9, 24, v9
	v_bfrev_b32_e32 v12, 60
	v_lshlrev_b32_e32 v5, 20, v5
	v_and_b32_e32 v9, 0x80000000, v9
	v_lshl_add_u32 v6, v6, 23, v12
	v_or3_b32 v5, v9, v6, v5
.LBB6_13611:                            ;   in Loop: Header=BB6_10567 Depth=3
	s_or_b64 exec, exec, s[34:35]
.LBB6_13612:                            ;   in Loop: Header=BB6_10567 Depth=3
	s_or_b64 exec, exec, s[30:31]
.LBB6_13613:                            ;   in Loop: Header=BB6_10567 Depth=3
	s_or_b64 exec, exec, s[28:29]
	v_lshrrev_b32_e32 v9, 16, v10
	v_cmp_ne_u16_sdwa vcc, v9, v51 src0_sel:BYTE_0 src1_sel:DWORD
	s_and_saveexec_b64 s[28:29], vcc
	s_cbranch_execz .LBB6_13619
; %bb.13614:                            ;   in Loop: Header=BB6_10567 Depth=3
	v_cmp_ne_u16_sdwa vcc, v9, s96 src0_sel:BYTE_0 src1_sel:DWORD
	v_bfrev_b32_e32 v4, 1
	s_and_saveexec_b64 s[30:31], vcc
	s_cbranch_execz .LBB6_13618
; %bb.13615:                            ;   in Loop: Header=BB6_10567 Depth=3
	v_bfe_u32 v6, v10, 16, 7
	v_cmp_ne_u32_e32 vcc, s86, v6
	v_mov_b32_e32 v4, 0x7f800001
	s_and_saveexec_b64 s[34:35], vcc
	s_cbranch_execz .LBB6_13617
; %bb.13616:                            ;   in Loop: Header=BB6_10567 Depth=3
	v_and_b32_e32 v4, 7, v9
	v_lshrrev_b32_e32 v23, 3, v6
	v_cmp_gt_u32_e32 vcc, 8, v6
	v_ffbh_u32_e32 v6, v4
	v_min_u32_e32 v6, 32, v6
	v_subrev_u32_e32 v12, 28, v6
	v_lshlrev_b64 v[12:13], v12, v[9:10]
	v_sub_u32_e32 v6, 29, v6
	v_and_b32_e32 v9, 7, v12
	v_cndmask_b32_e32 v6, v23, v6, vcc
	v_cndmask_b32_e32 v4, v4, v9, vcc
	v_lshlrev_b32_e32 v9, 8, v10
	v_bfrev_b32_e32 v12, 60
	v_lshlrev_b32_e32 v4, 20, v4
	v_and_b32_e32 v9, 0x80000000, v9
	v_lshl_add_u32 v6, v6, 23, v12
	v_or3_b32 v4, v9, v6, v4
.LBB6_13617:                            ;   in Loop: Header=BB6_10567 Depth=3
	s_or_b64 exec, exec, s[34:35]
.LBB6_13618:                            ;   in Loop: Header=BB6_10567 Depth=3
	s_or_b64 exec, exec, s[30:31]
.LBB6_13619:                            ;   in Loop: Header=BB6_10567 Depth=3
	s_or_b64 exec, exec, s[28:29]
	v_add_f32_e32 v4, v5, v4
	v_and_b32_e32 v5, 0x7f800000, v4
	v_mov_b32_e32 v6, v51
	v_cmp_ne_u64_e32 vcc, s[76:77], v[5:6]
                                        ; implicit-def: $vgpr23
	s_and_saveexec_b64 s[28:29], vcc
	s_xor_b64 s[30:31], exec, s[28:29]
	s_cbranch_execz .LBB6_13633
; %bb.13620:                            ;   in Loop: Header=BB6_10567 Depth=3
	v_and_b32_e32 v5, 0x7fffffff, v4
	v_mov_b32_e32 v6, v51
	v_cmp_gt_u64_e32 vcc, s[78:79], v[5:6]
	v_and_b32_sdwa v6, v4, s96 dst_sel:DWORD dst_unused:UNUSED_PAD src0_sel:BYTE_3 src1_sel:DWORD
                                        ; implicit-def: $vgpr23
	s_and_saveexec_b64 s[28:29], vcc
	s_xor_b64 s[34:35], exec, s[28:29]
	s_cbranch_execz .LBB6_13630
; %bb.13621:                            ;   in Loop: Header=BB6_10567 Depth=3
	v_mov_b32_e32 v23, 0
	v_cmp_ne_u32_e32 vcc, 0, v4
	s_and_saveexec_b64 s[36:37], vcc
	s_cbranch_execz .LBB6_13629
; %bb.13622:                            ;   in Loop: Header=BB6_10567 Depth=3
	v_bfe_u32 v9, v4, 23, 8
	v_and_b32_e32 v5, 0x7fffff, v4
	v_cmp_gt_u32_e64 s[28:29], s97, v9
	v_sub_u32_e32 v4, 0x79, v9
	v_cmp_eq_u32_e32 vcc, 0, v9
	v_cndmask_b32_e64 v4, 0, v4, s[28:29]
	v_mov_b32_e32 v13, 0x78
	v_or_b32_e32 v12, 0x800000, v5
	v_cndmask_b32_e32 v23, v4, v13, vcc
	v_cndmask_b32_e32 v4, v12, v5, vcc
	v_add_u32_e32 v12, 20, v23
	v_lshlrev_b64 v[12:13], v12, -1
	v_add_u32_e32 v24, 19, v23
	v_lshlrev_b64 v[24:25], v24, 1
	v_mov_b32_e32 v5, v51
	v_bfi_b32 v13, v13, 0, 0
	v_bfi_b32 v12, v12, 0, v4
	v_cmp_eq_u64_e64 s[28:29], v[12:13], v[24:25]
	v_lshrrev_b64 v[12:13], v23, v[4:5]
	v_mov_b32_e32 v4, v12
	v_mov_b32_e32 v5, v13
	s_and_saveexec_b64 s[38:39], s[28:29]
; %bb.13623:                            ;   in Loop: Header=BB6_10567 Depth=3
	v_bfe_u32 v4, v12, 20, 1
	v_add_co_u32_e64 v4, s[28:29], v12, v4
	v_add_co_u32_e64 v4, s[28:29], -1, v4
; %bb.13624:                            ;   in Loop: Header=BB6_10567 Depth=3
	s_or_b64 exec, exec, s[38:39]
	v_add_u32_e32 v5, 0xffffff81, v9
	v_mov_b32_e32 v9, 0xffffff82
	v_cndmask_b32_e32 v5, v5, v9, vcc
	v_lshrrev_b32_e32 v9, 23, v12
	v_add3_u32 v9, v23, v5, v9
	v_add_u32_e32 v5, 6, v9
	v_and_b32_e32 v4, 0xfffff, v4
	v_add_u32_e32 v12, v4, v12
	v_mov_b32_e32 v13, v51
	v_cmp_ne_u32_e32 vcc, 0, v5
                                        ; implicit-def: $vgpr4
	s_and_saveexec_b64 s[28:29], vcc
	s_xor_b64 s[28:29], exec, s[28:29]
; %bb.13625:                            ;   in Loop: Header=BB6_10567 Depth=3
	v_cmp_lt_u64_e32 vcc, s[88:89], v[12:13]
	v_add_u32_e32 v4, 7, v9
	v_cndmask_b32_e32 v4, v5, v4, vcc
	v_cndmask_b32_e64 v5, 0, 1, vcc
	v_lshrrev_b64 v[12:13], v5, v[12:13]
; %bb.13626:                            ;   in Loop: Header=BB6_10567 Depth=3
	s_andn2_saveexec_b64 s[28:29], s[28:29]
; %bb.13627:                            ;   in Loop: Header=BB6_10567 Depth=3
	v_bfe_u32 v4, v12, 23, 1
; %bb.13628:                            ;   in Loop: Header=BB6_10567 Depth=3
	s_or_b64 exec, exec, s[28:29]
	v_lshrrev_b64 v[12:13], 20, v[12:13]
	v_cmp_gt_i32_e32 vcc, 16, v4
	v_cndmask_b32_e32 v13, 0, v13, vcc
	v_cndmask_b32_e32 v12, 7, v12, vcc
	v_cmp_eq_u32_e32 vcc, 0, v4
	v_min_i32_e32 v4, 15, v4
	v_cmp_eq_u64_e64 s[28:29], 0, v[12:13]
	v_lshlrev_b32_e32 v4, 3, v4
	v_and_b32_e32 v4, 0xf8, v4
	v_and_or_b32 v4, v12, 7, v4
	s_and_b64 s[28:29], vcc, s[28:29]
	v_cndmask_b32_e64 v4, v4, 0, s[28:29]
	v_or_b32_e32 v23, v4, v6
.LBB6_13629:                            ;   in Loop: Header=BB6_10567 Depth=3
	s_or_b64 exec, exec, s[36:37]
                                        ; implicit-def: $vgpr6
.LBB6_13630:                            ;   in Loop: Header=BB6_10567 Depth=3
	s_andn2_saveexec_b64 s[28:29], s[34:35]
; %bb.13631:                            ;   in Loop: Header=BB6_10567 Depth=3
	v_or_b32_e32 v23, 0x7e, v6
; %bb.13632:                            ;   in Loop: Header=BB6_10567 Depth=3
	s_or_b64 exec, exec, s[28:29]
                                        ; implicit-def: $vgpr4
.LBB6_13633:                            ;   in Loop: Header=BB6_10567 Depth=3
	s_andn2_saveexec_b64 s[28:29], s[30:31]
; %bb.13634:                            ;   in Loop: Header=BB6_10567 Depth=3
	v_or_b32_sdwa v23, v4, s86 dst_sel:DWORD dst_unused:UNUSED_PAD src0_sel:BYTE_3 src1_sel:DWORD
; %bb.13635:                            ;   in Loop: Header=BB6_10567 Depth=3
	s_or_b64 exec, exec, s[28:29]
	v_cmp_lt_u32_e32 vcc, s57, v8
	v_mov_b32_e32 v4, 0
	v_mov_b32_e32 v5, 0
	s_and_saveexec_b64 s[28:29], vcc
	s_cbranch_execz .LBB6_13641
; %bb.13636:                            ;   in Loop: Header=BB6_10567 Depth=3
	v_lshrrev_b32_e32 v9, 24, v8
	v_cmp_ne_u32_sdwa vcc, v8, s96 src0_sel:BYTE_3 src1_sel:DWORD
	v_bfrev_b32_e32 v5, 1
	s_and_saveexec_b64 s[30:31], vcc
	s_cbranch_execz .LBB6_13640
; %bb.13637:                            ;   in Loop: Header=BB6_10567 Depth=3
	v_bfe_u32 v6, v8, 24, 7
	v_cmp_ne_u32_e32 vcc, s86, v6
	v_mov_b32_e32 v5, 0x7f800001
	s_and_saveexec_b64 s[34:35], vcc
	s_cbranch_execz .LBB6_13639
; %bb.13638:                            ;   in Loop: Header=BB6_10567 Depth=3
	v_and_b32_e32 v12, 7, v9
	v_ffbh_u32_e32 v5, v12
	v_min_u32_e32 v24, 32, v5
	v_subrev_u32_e32 v5, 28, v24
	v_lshrrev_b32_e32 v13, 3, v6
	v_cmp_gt_u32_e32 vcc, 8, v6
	v_lshlrev_b64 v[5:6], v5, v[9:10]
	v_sub_u32_e32 v6, 29, v24
	v_and_b32_e32 v5, 7, v5
	v_mov_b32_e32 v9, 24
	v_cndmask_b32_e32 v6, v13, v6, vcc
	v_cndmask_b32_e32 v5, v12, v5, vcc
	v_lshlrev_b32_sdwa v8, v9, v8 dst_sel:DWORD dst_unused:UNUSED_PAD src0_sel:DWORD src1_sel:BYTE_3
	v_bfrev_b32_e32 v9, 60
	v_lshlrev_b32_e32 v5, 20, v5
	v_and_b32_e32 v8, 0x80000000, v8
	v_lshl_add_u32 v6, v6, 23, v9
	v_or3_b32 v5, v8, v6, v5
.LBB6_13639:                            ;   in Loop: Header=BB6_10567 Depth=3
	s_or_b64 exec, exec, s[34:35]
.LBB6_13640:                            ;   in Loop: Header=BB6_10567 Depth=3
	s_or_b64 exec, exec, s[30:31]
.LBB6_13641:                            ;   in Loop: Header=BB6_10567 Depth=3
	s_or_b64 exec, exec, s[28:29]
	v_cmp_lt_u32_e32 vcc, s57, v10
	s_and_saveexec_b64 s[28:29], vcc
	s_cbranch_execz .LBB6_13647
; %bb.13642:                            ;   in Loop: Header=BB6_10567 Depth=3
	v_lshrrev_b32_e32 v8, 24, v10
	v_cmp_ne_u32_e32 vcc, s96, v8
	v_bfrev_b32_e32 v4, 1
	s_and_saveexec_b64 s[30:31], vcc
	s_cbranch_execz .LBB6_13646
; %bb.13643:                            ;   in Loop: Header=BB6_10567 Depth=3
	v_bfe_u32 v6, v10, 24, 7
	v_cmp_ne_u32_e32 vcc, s86, v6
	v_mov_b32_e32 v4, 0x7f800001
	s_and_saveexec_b64 s[34:35], vcc
	s_cbranch_execz .LBB6_13645
; %bb.13644:                            ;   in Loop: Header=BB6_10567 Depth=3
	v_and_b32_e32 v4, 7, v8
	v_lshrrev_b32_e32 v9, 3, v6
	v_cmp_gt_u32_e32 vcc, 8, v6
	v_ffbh_u32_e32 v6, v4
	v_min_u32_e32 v6, 32, v6
	v_subrev_u32_e32 v12, 28, v6
	v_lshlrev_b64 v[12:13], v12, v[8:9]
	v_sub_u32_e32 v6, 29, v6
	v_and_b32_e32 v12, 7, v12
	v_cndmask_b32_e32 v6, v9, v6, vcc
	v_cndmask_b32_e32 v4, v4, v12, vcc
	v_lshlrev_b32_e32 v8, 24, v8
	v_bfrev_b32_e32 v9, 60
	v_lshlrev_b32_e32 v4, 20, v4
	v_and_b32_e32 v8, 0x80000000, v8
	v_lshl_add_u32 v6, v6, 23, v9
	v_or3_b32 v4, v8, v6, v4
.LBB6_13645:                            ;   in Loop: Header=BB6_10567 Depth=3
	s_or_b64 exec, exec, s[34:35]
.LBB6_13646:                            ;   in Loop: Header=BB6_10567 Depth=3
	s_or_b64 exec, exec, s[30:31]
.LBB6_13647:                            ;   in Loop: Header=BB6_10567 Depth=3
	s_or_b64 exec, exec, s[28:29]
	v_add_f32_e32 v4, v5, v4
	v_and_b32_e32 v5, 0x7f800000, v4
	v_mov_b32_e32 v6, v51
	v_cmp_ne_u64_e32 vcc, s[76:77], v[5:6]
                                        ; implicit-def: $vgpr6
	s_and_saveexec_b64 s[28:29], vcc
	s_xor_b64 s[30:31], exec, s[28:29]
	s_cbranch_execz .LBB6_13661
; %bb.13648:                            ;   in Loop: Header=BB6_10567 Depth=3
	v_and_b32_e32 v5, 0x7fffffff, v4
	v_mov_b32_e32 v6, v51
	v_cmp_gt_u64_e32 vcc, s[78:79], v[5:6]
	v_and_b32_sdwa v12, v4, s96 dst_sel:DWORD dst_unused:UNUSED_PAD src0_sel:BYTE_3 src1_sel:DWORD
                                        ; implicit-def: $vgpr6
	s_and_saveexec_b64 s[28:29], vcc
	s_xor_b64 s[34:35], exec, s[28:29]
	s_cbranch_execz .LBB6_13658
; %bb.13649:                            ;   in Loop: Header=BB6_10567 Depth=3
	v_mov_b32_e32 v6, 0
	v_cmp_ne_u32_e32 vcc, 0, v4
	s_and_saveexec_b64 s[36:37], vcc
	s_cbranch_execz .LBB6_13657
; %bb.13650:                            ;   in Loop: Header=BB6_10567 Depth=3
	v_bfe_u32 v6, v4, 23, 8
	v_and_b32_e32 v5, 0x7fffff, v4
	v_cmp_gt_u32_e64 s[28:29], s97, v6
	v_sub_u32_e32 v4, 0x79, v6
	v_cmp_eq_u32_e32 vcc, 0, v6
	v_cndmask_b32_e64 v4, 0, v4, s[28:29]
	v_mov_b32_e32 v9, 0x78
	v_or_b32_e32 v8, 0x800000, v5
	v_cndmask_b32_e32 v13, v4, v9, vcc
	v_cndmask_b32_e32 v4, v8, v5, vcc
	v_add_u32_e32 v8, 20, v13
	v_lshlrev_b64 v[8:9], v8, -1
	v_add_u32_e32 v24, 19, v13
	v_lshlrev_b64 v[24:25], v24, 1
	v_mov_b32_e32 v5, v51
	v_bfi_b32 v9, v9, 0, 0
	v_bfi_b32 v8, v8, 0, v4
	v_cmp_eq_u64_e64 s[28:29], v[8:9], v[24:25]
	v_lshrrev_b64 v[8:9], v13, v[4:5]
	v_mov_b32_e32 v4, v8
	v_mov_b32_e32 v5, v9
	s_and_saveexec_b64 s[38:39], s[28:29]
; %bb.13651:                            ;   in Loop: Header=BB6_10567 Depth=3
	v_bfe_u32 v4, v8, 20, 1
	v_add_co_u32_e64 v4, s[28:29], v8, v4
	v_add_co_u32_e64 v4, s[28:29], -1, v4
; %bb.13652:                            ;   in Loop: Header=BB6_10567 Depth=3
	s_or_b64 exec, exec, s[38:39]
	v_add_u32_e32 v5, 0xffffff81, v6
	v_mov_b32_e32 v6, 0xffffff82
	v_cndmask_b32_e32 v5, v5, v6, vcc
	v_lshrrev_b32_e32 v6, 23, v8
	v_add3_u32 v6, v13, v5, v6
	v_add_u32_e32 v5, 6, v6
	v_and_b32_e32 v4, 0xfffff, v4
	v_add_u32_e32 v8, v4, v8
	v_mov_b32_e32 v9, v51
	v_cmp_ne_u32_e32 vcc, 0, v5
                                        ; implicit-def: $vgpr4
	s_and_saveexec_b64 s[28:29], vcc
	s_xor_b64 s[28:29], exec, s[28:29]
; %bb.13653:                            ;   in Loop: Header=BB6_10567 Depth=3
	v_cmp_lt_u64_e32 vcc, s[88:89], v[8:9]
	v_add_u32_e32 v4, 7, v6
	v_cndmask_b32_e32 v4, v5, v4, vcc
	v_cndmask_b32_e64 v5, 0, 1, vcc
	v_lshrrev_b64 v[8:9], v5, v[8:9]
; %bb.13654:                            ;   in Loop: Header=BB6_10567 Depth=3
	s_andn2_saveexec_b64 s[28:29], s[28:29]
; %bb.13655:                            ;   in Loop: Header=BB6_10567 Depth=3
	v_bfe_u32 v4, v8, 23, 1
; %bb.13656:                            ;   in Loop: Header=BB6_10567 Depth=3
	s_or_b64 exec, exec, s[28:29]
	v_lshrrev_b64 v[5:6], 20, v[8:9]
	v_cmp_gt_i32_e32 vcc, 16, v4
	v_cndmask_b32_e32 v6, 0, v6, vcc
	v_cndmask_b32_e32 v5, 7, v5, vcc
	v_cmp_eq_u32_e32 vcc, 0, v4
	v_min_i32_e32 v4, 15, v4
	v_cmp_eq_u64_e64 s[28:29], 0, v[5:6]
	v_lshlrev_b32_e32 v4, 3, v4
	v_and_b32_e32 v4, 0xf8, v4
	v_and_or_b32 v4, v5, 7, v4
	s_and_b64 s[28:29], vcc, s[28:29]
	v_cndmask_b32_e64 v4, v4, 0, s[28:29]
	v_or_b32_e32 v6, v4, v12
.LBB6_13657:                            ;   in Loop: Header=BB6_10567 Depth=3
	s_or_b64 exec, exec, s[36:37]
                                        ; implicit-def: $vgpr12
.LBB6_13658:                            ;   in Loop: Header=BB6_10567 Depth=3
	s_andn2_saveexec_b64 s[28:29], s[34:35]
; %bb.13659:                            ;   in Loop: Header=BB6_10567 Depth=3
	v_or_b32_e32 v6, 0x7e, v12
; %bb.13660:                            ;   in Loop: Header=BB6_10567 Depth=3
	s_or_b64 exec, exec, s[28:29]
                                        ; implicit-def: $vgpr4
.LBB6_13661:                            ;   in Loop: Header=BB6_10567 Depth=3
	s_andn2_saveexec_b64 s[28:29], s[30:31]
; %bb.13662:                            ;   in Loop: Header=BB6_10567 Depth=3
	v_or_b32_sdwa v6, v4, s86 dst_sel:DWORD dst_unused:UNUSED_PAD src0_sel:BYTE_3 src1_sel:DWORD
; %bb.13663:                            ;   in Loop: Header=BB6_10567 Depth=3
	s_or_b64 exec, exec, s[28:29]
	buffer_load_dword v4, off, s[0:3], s33 offset:132 ; 4-byte Folded Reload
	buffer_load_dword v5, off, s[0:3], s33 offset:116 ; 4-byte Folded Reload
	;; [unrolled: 1-line block ×3, first 2 shown]
	v_mov_b32_e32 v9, v51
	v_cmp_ne_u32_e32 vcc, 0, v7
	s_waitcnt vmcnt(2)
	v_lshlrev_b32_e32 v4, 24, v4
	s_waitcnt vmcnt(1)
	v_lshlrev_b32_e32 v5, 16, v5
	s_waitcnt vmcnt(0)
	v_lshl_or_b32 v24, v8, 8, v7
	v_or3_b32 v8, v5, v4, v24
	v_mov_b32_e32 v5, 0
	v_mov_b32_e32 v4, 0
	s_and_saveexec_b64 s[28:29], vcc
	s_cbranch_execz .LBB6_13669
; %bb.13664:                            ;   in Loop: Header=BB6_10567 Depth=3
	v_cmp_ne_u32_e32 vcc, s96, v7
	v_bfrev_b32_e32 v4, 1
	s_and_saveexec_b64 s[30:31], vcc
	s_cbranch_execz .LBB6_13668
; %bb.13665:                            ;   in Loop: Header=BB6_10567 Depth=3
	v_and_b32_e32 v12, 0x7f, v7
	v_cmp_ne_u32_e32 vcc, s86, v12
	v_mov_b32_e32 v4, 0x7f800001
	s_and_saveexec_b64 s[34:35], vcc
	s_cbranch_execz .LBB6_13667
; %bb.13666:                            ;   in Loop: Header=BB6_10567 Depth=3
	v_and_b32_e32 v4, 7, v7
	v_ffbh_u32_e32 v4, v4
	v_min_u32_e32 v4, 32, v4
	v_lshrrev_b32_e32 v7, 3, v12
	v_cmp_gt_u32_e32 vcc, 8, v12
	v_subrev_u32_e32 v12, 28, v4
	v_sub_u32_e32 v4, 29, v4
	v_cndmask_b32_e32 v4, v7, v4, vcc
	v_cndmask_b32_e32 v7, 0, v12, vcc
	v_lshlrev_b64 v[12:13], v7, v[8:9]
	v_lshlrev_b32_e32 v9, 24, v8
	v_lshlrev_b32_e32 v7, 20, v12
	v_bfrev_b32_e32 v12, 60
	v_and_b32_e32 v7, 0x700000, v7
	v_and_b32_e32 v9, 0x80000000, v9
	v_lshl_add_u32 v4, v4, 23, v12
	v_or3_b32 v4, v9, v4, v7
.LBB6_13667:                            ;   in Loop: Header=BB6_10567 Depth=3
	s_or_b64 exec, exec, s[34:35]
.LBB6_13668:                            ;   in Loop: Header=BB6_10567 Depth=3
	s_or_b64 exec, exec, s[30:31]
.LBB6_13669:                            ;   in Loop: Header=BB6_10567 Depth=3
	s_or_b64 exec, exec, s[28:29]
	v_cmp_ne_u16_sdwa vcc, v11, v51 src0_sel:BYTE_0 src1_sel:DWORD
	s_and_saveexec_b64 s[28:29], vcc
	s_cbranch_execz .LBB6_13675
; %bb.13670:                            ;   in Loop: Header=BB6_10567 Depth=3
	v_cmp_ne_u16_sdwa vcc, v11, s96 src0_sel:BYTE_0 src1_sel:DWORD
	v_bfrev_b32_e32 v5, 1
	s_and_saveexec_b64 s[30:31], vcc
	s_cbranch_execz .LBB6_13674
; %bb.13671:                            ;   in Loop: Header=BB6_10567 Depth=3
	v_and_b32_e32 v7, 0x7f, v11
	v_cmp_ne_u32_e32 vcc, s86, v7
	v_mov_b32_e32 v5, 0x7f800001
	s_and_saveexec_b64 s[34:35], vcc
	s_cbranch_execz .LBB6_13673
; %bb.13672:                            ;   in Loop: Header=BB6_10567 Depth=3
	v_and_b32_e32 v5, 7, v11
	v_ffbh_u32_e32 v5, v5
	v_min_u32_e32 v5, 32, v5
	v_lshrrev_b32_e32 v9, 3, v7
	v_cmp_gt_u32_e32 vcc, 8, v7
	v_subrev_u32_e32 v7, 28, v5
	v_mov_b32_e32 v12, v11
	v_mov_b32_e32 v13, v51
	v_cndmask_b32_e32 v7, 0, v7, vcc
	v_lshlrev_b64 v[32:33], v7, v[12:13]
	v_sub_u32_e32 v5, 29, v5
	v_cndmask_b32_e32 v5, v9, v5, vcc
	v_lshlrev_b32_e32 v7, 20, v32
	v_lshlrev_b32_e32 v9, 24, v12
	v_bfrev_b32_e32 v12, 60
	v_and_b32_e32 v7, 0x700000, v7
	v_and_b32_e32 v9, 0x80000000, v9
	v_lshl_add_u32 v5, v5, 23, v12
	v_or3_b32 v5, v9, v5, v7
.LBB6_13673:                            ;   in Loop: Header=BB6_10567 Depth=3
	s_or_b64 exec, exec, s[34:35]
.LBB6_13674:                            ;   in Loop: Header=BB6_10567 Depth=3
	s_or_b64 exec, exec, s[30:31]
.LBB6_13675:                            ;   in Loop: Header=BB6_10567 Depth=3
	s_or_b64 exec, exec, s[28:29]
	v_add_f32_e32 v4, v4, v5
	v_and_b32_e32 v12, 0x7f800000, v4
	v_mov_b32_e32 v13, v51
	v_cmp_ne_u64_e32 vcc, s[76:77], v[12:13]
                                        ; implicit-def: $vgpr7
	s_and_saveexec_b64 s[28:29], vcc
	s_xor_b64 s[30:31], exec, s[28:29]
	s_cbranch_execz .LBB6_13689
; %bb.13676:                            ;   in Loop: Header=BB6_10567 Depth=3
	v_and_b32_e32 v12, 0x7fffffff, v4
	v_mov_b32_e32 v13, v51
	v_cmp_gt_u64_e32 vcc, s[78:79], v[12:13]
	v_and_b32_sdwa v9, v4, s96 dst_sel:DWORD dst_unused:UNUSED_PAD src0_sel:BYTE_3 src1_sel:DWORD
                                        ; implicit-def: $vgpr7
	s_and_saveexec_b64 s[28:29], vcc
	s_xor_b64 s[34:35], exec, s[28:29]
	s_cbranch_execz .LBB6_13686
; %bb.13677:                            ;   in Loop: Header=BB6_10567 Depth=3
	v_mov_b32_e32 v7, 0
	v_cmp_ne_u32_e32 vcc, 0, v4
	s_and_saveexec_b64 s[36:37], vcc
	s_cbranch_execz .LBB6_13685
; %bb.13678:                            ;   in Loop: Header=BB6_10567 Depth=3
	v_bfe_u32 v7, v4, 23, 8
	v_and_b32_e32 v5, 0x7fffff, v4
	v_cmp_gt_u32_e64 s[28:29], s97, v7
	v_sub_u32_e32 v4, 0x79, v7
	v_cmp_eq_u32_e32 vcc, 0, v7
	v_cndmask_b32_e64 v4, 0, v4, s[28:29]
	v_mov_b32_e32 v13, 0x78
	v_or_b32_e32 v12, 0x800000, v5
	v_cndmask_b32_e32 v25, v4, v13, vcc
	v_cndmask_b32_e32 v4, v12, v5, vcc
	v_add_u32_e32 v12, 20, v25
	v_lshlrev_b64 v[12:13], v12, -1
	v_add_u32_e32 v32, 19, v25
	v_lshlrev_b64 v[32:33], v32, 1
	v_mov_b32_e32 v5, v51
	v_bfi_b32 v13, v13, 0, 0
	v_bfi_b32 v12, v12, 0, v4
	v_cmp_eq_u64_e64 s[28:29], v[12:13], v[32:33]
	v_lshrrev_b64 v[12:13], v25, v[4:5]
	v_mov_b32_e32 v4, v12
	v_mov_b32_e32 v5, v13
	s_and_saveexec_b64 s[38:39], s[28:29]
; %bb.13679:                            ;   in Loop: Header=BB6_10567 Depth=3
	v_bfe_u32 v4, v12, 20, 1
	v_add_co_u32_e64 v4, s[28:29], v12, v4
	v_add_co_u32_e64 v4, s[28:29], -1, v4
; %bb.13680:                            ;   in Loop: Header=BB6_10567 Depth=3
	s_or_b64 exec, exec, s[38:39]
	v_add_u32_e32 v5, 0xffffff81, v7
	v_mov_b32_e32 v7, 0xffffff82
	v_cndmask_b32_e32 v5, v5, v7, vcc
	v_lshrrev_b32_e32 v7, 23, v12
	v_add3_u32 v7, v25, v5, v7
	v_add_u32_e32 v5, 6, v7
	v_and_b32_e32 v4, 0xfffff, v4
	v_add_u32_e32 v12, v4, v12
	v_mov_b32_e32 v13, v51
	v_cmp_ne_u32_e32 vcc, 0, v5
                                        ; implicit-def: $vgpr4
	s_and_saveexec_b64 s[28:29], vcc
	s_xor_b64 s[28:29], exec, s[28:29]
; %bb.13681:                            ;   in Loop: Header=BB6_10567 Depth=3
	v_cmp_lt_u64_e32 vcc, s[88:89], v[12:13]
	v_add_u32_e32 v4, 7, v7
	v_cndmask_b32_e32 v4, v5, v4, vcc
	v_cndmask_b32_e64 v5, 0, 1, vcc
	v_lshrrev_b64 v[12:13], v5, v[12:13]
; %bb.13682:                            ;   in Loop: Header=BB6_10567 Depth=3
	s_andn2_saveexec_b64 s[28:29], s[28:29]
; %bb.13683:                            ;   in Loop: Header=BB6_10567 Depth=3
	v_bfe_u32 v4, v12, 23, 1
; %bb.13684:                            ;   in Loop: Header=BB6_10567 Depth=3
	s_or_b64 exec, exec, s[28:29]
	v_lshrrev_b64 v[12:13], 20, v[12:13]
	v_cmp_gt_i32_e32 vcc, 16, v4
	v_cndmask_b32_e32 v13, 0, v13, vcc
	v_cndmask_b32_e32 v12, 7, v12, vcc
	v_cmp_eq_u32_e32 vcc, 0, v4
	v_min_i32_e32 v4, 15, v4
	v_cmp_eq_u64_e64 s[28:29], 0, v[12:13]
	v_lshlrev_b32_e32 v4, 3, v4
	v_and_b32_e32 v4, 0xf8, v4
	v_and_or_b32 v4, v12, 7, v4
	s_and_b64 s[28:29], vcc, s[28:29]
	v_cndmask_b32_e64 v4, v4, 0, s[28:29]
	v_or_b32_e32 v7, v4, v9
.LBB6_13685:                            ;   in Loop: Header=BB6_10567 Depth=3
	s_or_b64 exec, exec, s[36:37]
                                        ; implicit-def: $vgpr9
.LBB6_13686:                            ;   in Loop: Header=BB6_10567 Depth=3
	s_andn2_saveexec_b64 s[28:29], s[34:35]
; %bb.13687:                            ;   in Loop: Header=BB6_10567 Depth=3
	v_or_b32_e32 v7, 0x7e, v9
; %bb.13688:                            ;   in Loop: Header=BB6_10567 Depth=3
	s_or_b64 exec, exec, s[28:29]
                                        ; implicit-def: $vgpr4
.LBB6_13689:                            ;   in Loop: Header=BB6_10567 Depth=3
	s_andn2_saveexec_b64 s[28:29], s[30:31]
; %bb.13690:                            ;   in Loop: Header=BB6_10567 Depth=3
	v_or_b32_sdwa v7, v4, s86 dst_sel:DWORD dst_unused:UNUSED_PAD src0_sel:BYTE_3 src1_sel:DWORD
; %bb.13691:                            ;   in Loop: Header=BB6_10567 Depth=3
	s_or_b64 exec, exec, s[28:29]
	v_lshrrev_b16_e32 v9, 8, v24
	v_cmp_ne_u16_e32 vcc, 0, v9
	v_mov_b32_e32 v4, 0
	v_mov_b32_e32 v5, 0
	s_and_saveexec_b64 s[28:29], vcc
	s_cbranch_execz .LBB6_13697
; %bb.13692:                            ;   in Loop: Header=BB6_10567 Depth=3
	v_cmp_ne_u16_e32 vcc, s96, v9
	v_bfrev_b32_e32 v5, 1
	s_and_saveexec_b64 s[30:31], vcc
	s_cbranch_execz .LBB6_13696
; %bb.13693:                            ;   in Loop: Header=BB6_10567 Depth=3
	v_and_b32_e32 v12, 0x7f, v9
	v_cmp_ne_u32_e32 vcc, s86, v12
	v_mov_b32_e32 v5, 0x7f800001
	s_and_saveexec_b64 s[34:35], vcc
	s_cbranch_execz .LBB6_13695
; %bb.13694:                            ;   in Loop: Header=BB6_10567 Depth=3
	v_and_b32_e32 v5, 7, v9
	v_lshrrev_b32_e32 v25, 3, v12
	v_cmp_gt_u32_e32 vcc, 8, v12
	v_ffbh_u32_e32 v12, v5
	v_min_u32_e32 v32, 32, v12
	v_subrev_u32_e32 v12, 28, v32
	v_lshlrev_b64 v[12:13], v12, v[9:10]
	v_sub_u32_e32 v9, 29, v32
	v_and_b32_e32 v12, 7, v12
	v_cndmask_b32_e32 v9, v25, v9, vcc
	v_cndmask_b32_e32 v5, v5, v12, vcc
	v_lshlrev_b32_e32 v12, 16, v24
	v_bfrev_b32_e32 v13, 60
	v_lshlrev_b32_e32 v5, 20, v5
	v_and_b32_e32 v12, 0x80000000, v12
	v_lshl_add_u32 v9, v9, 23, v13
	v_or3_b32 v5, v12, v9, v5
.LBB6_13695:                            ;   in Loop: Header=BB6_10567 Depth=3
	s_or_b64 exec, exec, s[34:35]
.LBB6_13696:                            ;   in Loop: Header=BB6_10567 Depth=3
	s_or_b64 exec, exec, s[30:31]
.LBB6_13697:                            ;   in Loop: Header=BB6_10567 Depth=3
	s_or_b64 exec, exec, s[28:29]
	v_lshrrev_b16_e32 v9, 8, v11
	v_cmp_ne_u16_e32 vcc, 0, v9
	s_and_saveexec_b64 s[28:29], vcc
	s_cbranch_execz .LBB6_13703
; %bb.13698:                            ;   in Loop: Header=BB6_10567 Depth=3
	v_cmp_ne_u16_e32 vcc, s96, v9
	v_bfrev_b32_e32 v4, 1
	s_and_saveexec_b64 s[30:31], vcc
	s_cbranch_execz .LBB6_13702
; %bb.13699:                            ;   in Loop: Header=BB6_10567 Depth=3
	v_and_b32_e32 v12, 0x7f, v9
	v_cmp_ne_u32_e32 vcc, s86, v12
	v_mov_b32_e32 v4, 0x7f800001
	s_and_saveexec_b64 s[34:35], vcc
	s_cbranch_execz .LBB6_13701
; %bb.13700:                            ;   in Loop: Header=BB6_10567 Depth=3
	v_and_b32_e32 v4, 7, v9
	v_lshrrev_b32_e32 v24, 3, v12
	v_cmp_gt_u32_e32 vcc, 8, v12
	v_ffbh_u32_e32 v12, v4
	v_min_u32_e32 v25, 32, v12
	v_subrev_u32_e32 v12, 28, v25
	v_lshlrev_b64 v[12:13], v12, v[9:10]
	v_sub_u32_e32 v9, 29, v25
	v_and_b32_e32 v12, 7, v12
	v_cndmask_b32_e32 v9, v24, v9, vcc
	v_cndmask_b32_e32 v4, v4, v12, vcc
	v_lshlrev_b32_e32 v12, 16, v11
	v_bfrev_b32_e32 v13, 60
	v_lshlrev_b32_e32 v4, 20, v4
	v_and_b32_e32 v12, 0x80000000, v12
	v_lshl_add_u32 v9, v9, 23, v13
	v_or3_b32 v4, v12, v9, v4
.LBB6_13701:                            ;   in Loop: Header=BB6_10567 Depth=3
	s_or_b64 exec, exec, s[34:35]
.LBB6_13702:                            ;   in Loop: Header=BB6_10567 Depth=3
	s_or_b64 exec, exec, s[30:31]
.LBB6_13703:                            ;   in Loop: Header=BB6_10567 Depth=3
	s_or_b64 exec, exec, s[28:29]
	v_add_f32_e32 v4, v5, v4
	v_and_b32_e32 v12, 0x7f800000, v4
	v_mov_b32_e32 v13, v51
	v_cmp_ne_u64_e32 vcc, s[76:77], v[12:13]
                                        ; implicit-def: $vgpr24
	s_and_saveexec_b64 s[28:29], vcc
	s_xor_b64 s[30:31], exec, s[28:29]
	s_cbranch_execz .LBB6_13717
; %bb.13704:                            ;   in Loop: Header=BB6_10567 Depth=3
	v_and_b32_e32 v12, 0x7fffffff, v4
	v_mov_b32_e32 v13, v51
	v_cmp_gt_u64_e32 vcc, s[78:79], v[12:13]
	v_and_b32_sdwa v9, v4, s96 dst_sel:DWORD dst_unused:UNUSED_PAD src0_sel:BYTE_3 src1_sel:DWORD
                                        ; implicit-def: $vgpr24
	s_and_saveexec_b64 s[28:29], vcc
	s_xor_b64 s[34:35], exec, s[28:29]
	s_cbranch_execz .LBB6_13714
; %bb.13705:                            ;   in Loop: Header=BB6_10567 Depth=3
	v_mov_b32_e32 v24, 0
	v_cmp_ne_u32_e32 vcc, 0, v4
	s_and_saveexec_b64 s[36:37], vcc
	s_cbranch_execz .LBB6_13713
; %bb.13706:                            ;   in Loop: Header=BB6_10567 Depth=3
	v_bfe_u32 v24, v4, 23, 8
	v_and_b32_e32 v5, 0x7fffff, v4
	v_cmp_gt_u32_e64 s[28:29], s97, v24
	v_sub_u32_e32 v4, 0x79, v24
	v_cmp_eq_u32_e32 vcc, 0, v24
	v_cndmask_b32_e64 v4, 0, v4, s[28:29]
	v_mov_b32_e32 v13, 0x78
	v_or_b32_e32 v12, 0x800000, v5
	v_cndmask_b32_e32 v25, v4, v13, vcc
	v_cndmask_b32_e32 v4, v12, v5, vcc
	v_add_u32_e32 v12, 20, v25
	v_lshlrev_b64 v[12:13], v12, -1
	v_add_u32_e32 v32, 19, v25
	v_lshlrev_b64 v[32:33], v32, 1
	v_mov_b32_e32 v5, v51
	v_bfi_b32 v13, v13, 0, 0
	v_bfi_b32 v12, v12, 0, v4
	v_cmp_eq_u64_e64 s[28:29], v[12:13], v[32:33]
	v_lshrrev_b64 v[12:13], v25, v[4:5]
	v_mov_b32_e32 v4, v12
	v_mov_b32_e32 v5, v13
	s_and_saveexec_b64 s[38:39], s[28:29]
; %bb.13707:                            ;   in Loop: Header=BB6_10567 Depth=3
	v_bfe_u32 v4, v12, 20, 1
	v_add_co_u32_e64 v4, s[28:29], v12, v4
	v_add_co_u32_e64 v4, s[28:29], -1, v4
; %bb.13708:                            ;   in Loop: Header=BB6_10567 Depth=3
	s_or_b64 exec, exec, s[38:39]
	v_add_u32_e32 v5, 0xffffff81, v24
	v_mov_b32_e32 v13, 0xffffff82
	v_cndmask_b32_e32 v5, v5, v13, vcc
	v_lshrrev_b32_e32 v13, 23, v12
	v_add3_u32 v24, v25, v5, v13
	v_add_u32_e32 v5, 6, v24
	v_and_b32_e32 v4, 0xfffff, v4
	v_add_u32_e32 v12, v4, v12
	v_mov_b32_e32 v13, v51
	v_cmp_ne_u32_e32 vcc, 0, v5
                                        ; implicit-def: $vgpr4
	s_and_saveexec_b64 s[28:29], vcc
	s_xor_b64 s[28:29], exec, s[28:29]
; %bb.13709:                            ;   in Loop: Header=BB6_10567 Depth=3
	v_cmp_lt_u64_e32 vcc, s[88:89], v[12:13]
	v_add_u32_e32 v4, 7, v24
	v_cndmask_b32_e32 v4, v5, v4, vcc
	v_cndmask_b32_e64 v5, 0, 1, vcc
	v_lshrrev_b64 v[12:13], v5, v[12:13]
; %bb.13710:                            ;   in Loop: Header=BB6_10567 Depth=3
	s_andn2_saveexec_b64 s[28:29], s[28:29]
; %bb.13711:                            ;   in Loop: Header=BB6_10567 Depth=3
	v_bfe_u32 v4, v12, 23, 1
; %bb.13712:                            ;   in Loop: Header=BB6_10567 Depth=3
	s_or_b64 exec, exec, s[28:29]
	v_lshrrev_b64 v[12:13], 20, v[12:13]
	v_cmp_gt_i32_e32 vcc, 16, v4
	v_cndmask_b32_e32 v13, 0, v13, vcc
	v_cndmask_b32_e32 v12, 7, v12, vcc
	v_cmp_eq_u32_e32 vcc, 0, v4
	v_min_i32_e32 v4, 15, v4
	v_cmp_eq_u64_e64 s[28:29], 0, v[12:13]
	v_lshlrev_b32_e32 v4, 3, v4
	v_and_b32_e32 v4, 0xf8, v4
	v_and_or_b32 v4, v12, 7, v4
	s_and_b64 s[28:29], vcc, s[28:29]
	v_cndmask_b32_e64 v4, v4, 0, s[28:29]
	v_or_b32_e32 v24, v4, v9
.LBB6_13713:                            ;   in Loop: Header=BB6_10567 Depth=3
	s_or_b64 exec, exec, s[36:37]
                                        ; implicit-def: $vgpr9
.LBB6_13714:                            ;   in Loop: Header=BB6_10567 Depth=3
	s_andn2_saveexec_b64 s[28:29], s[34:35]
; %bb.13715:                            ;   in Loop: Header=BB6_10567 Depth=3
	v_or_b32_e32 v24, 0x7e, v9
; %bb.13716:                            ;   in Loop: Header=BB6_10567 Depth=3
	s_or_b64 exec, exec, s[28:29]
                                        ; implicit-def: $vgpr4
.LBB6_13717:                            ;   in Loop: Header=BB6_10567 Depth=3
	s_andn2_saveexec_b64 s[28:29], s[30:31]
; %bb.13718:                            ;   in Loop: Header=BB6_10567 Depth=3
	v_or_b32_sdwa v24, v4, s86 dst_sel:DWORD dst_unused:UNUSED_PAD src0_sel:BYTE_3 src1_sel:DWORD
; %bb.13719:                            ;   in Loop: Header=BB6_10567 Depth=3
	s_or_b64 exec, exec, s[28:29]
	v_lshrrev_b32_e32 v9, 16, v8
	v_cmp_ne_u16_sdwa vcc, v9, v51 src0_sel:BYTE_0 src1_sel:DWORD
	v_mov_b32_e32 v4, 0
	v_mov_b32_e32 v5, 0
	s_and_saveexec_b64 s[28:29], vcc
	s_cbranch_execz .LBB6_13725
; %bb.13720:                            ;   in Loop: Header=BB6_10567 Depth=3
	v_cmp_ne_u16_sdwa vcc, v9, s96 src0_sel:BYTE_0 src1_sel:DWORD
	v_bfrev_b32_e32 v5, 1
	s_and_saveexec_b64 s[30:31], vcc
	s_cbranch_execz .LBB6_13724
; %bb.13721:                            ;   in Loop: Header=BB6_10567 Depth=3
	v_bfe_u32 v12, v8, 16, 7
	v_cmp_ne_u32_e32 vcc, s86, v12
	v_mov_b32_e32 v5, 0x7f800001
	s_and_saveexec_b64 s[34:35], vcc
	s_cbranch_execz .LBB6_13723
; %bb.13722:                            ;   in Loop: Header=BB6_10567 Depth=3
	v_and_b32_e32 v5, 7, v9
	v_lshrrev_b32_e32 v25, 3, v12
	v_cmp_gt_u32_e32 vcc, 8, v12
	v_ffbh_u32_e32 v12, v5
	v_min_u32_e32 v32, 32, v12
	v_subrev_u32_e32 v12, 28, v32
	v_lshlrev_b64 v[12:13], v12, v[9:10]
	v_sub_u32_e32 v13, 29, v32
	v_and_b32_e32 v12, 7, v12
	v_cndmask_b32_e32 v13, v25, v13, vcc
	v_cndmask_b32_e32 v5, v5, v12, vcc
	v_lshlrev_b32_e32 v9, 24, v9
	v_bfrev_b32_e32 v12, 60
	v_lshlrev_b32_e32 v5, 20, v5
	v_and_b32_e32 v9, 0x80000000, v9
	v_lshl_add_u32 v12, v13, 23, v12
	v_or3_b32 v5, v9, v12, v5
.LBB6_13723:                            ;   in Loop: Header=BB6_10567 Depth=3
	s_or_b64 exec, exec, s[34:35]
.LBB6_13724:                            ;   in Loop: Header=BB6_10567 Depth=3
	s_or_b64 exec, exec, s[30:31]
.LBB6_13725:                            ;   in Loop: Header=BB6_10567 Depth=3
	s_or_b64 exec, exec, s[28:29]
	v_lshrrev_b32_e32 v9, 16, v11
	v_cmp_ne_u16_sdwa vcc, v9, v51 src0_sel:BYTE_0 src1_sel:DWORD
	s_and_saveexec_b64 s[28:29], vcc
	s_cbranch_execz .LBB6_13731
; %bb.13726:                            ;   in Loop: Header=BB6_10567 Depth=3
	v_cmp_ne_u16_sdwa vcc, v9, s96 src0_sel:BYTE_0 src1_sel:DWORD
	v_bfrev_b32_e32 v4, 1
	s_and_saveexec_b64 s[30:31], vcc
	s_cbranch_execz .LBB6_13730
; %bb.13727:                            ;   in Loop: Header=BB6_10567 Depth=3
	v_bfe_u32 v12, v11, 16, 7
	v_cmp_ne_u32_e32 vcc, s86, v12
	v_mov_b32_e32 v4, 0x7f800001
	s_and_saveexec_b64 s[34:35], vcc
	s_cbranch_execz .LBB6_13729
; %bb.13728:                            ;   in Loop: Header=BB6_10567 Depth=3
	v_and_b32_e32 v4, 7, v9
	v_lshrrev_b32_e32 v25, 3, v12
	v_cmp_gt_u32_e32 vcc, 8, v12
	v_ffbh_u32_e32 v12, v4
	v_min_u32_e32 v32, 32, v12
	v_subrev_u32_e32 v12, 28, v32
	v_lshlrev_b64 v[12:13], v12, v[9:10]
	v_sub_u32_e32 v9, 29, v32
	v_and_b32_e32 v12, 7, v12
	v_cndmask_b32_e32 v9, v25, v9, vcc
	v_cndmask_b32_e32 v4, v4, v12, vcc
	v_lshlrev_b32_e32 v12, 8, v11
	v_bfrev_b32_e32 v13, 60
	v_lshlrev_b32_e32 v4, 20, v4
	v_and_b32_e32 v12, 0x80000000, v12
	v_lshl_add_u32 v9, v9, 23, v13
	v_or3_b32 v4, v12, v9, v4
.LBB6_13729:                            ;   in Loop: Header=BB6_10567 Depth=3
	s_or_b64 exec, exec, s[34:35]
.LBB6_13730:                            ;   in Loop: Header=BB6_10567 Depth=3
	s_or_b64 exec, exec, s[30:31]
.LBB6_13731:                            ;   in Loop: Header=BB6_10567 Depth=3
	s_or_b64 exec, exec, s[28:29]
	v_add_f32_e32 v4, v5, v4
	v_and_b32_e32 v12, 0x7f800000, v4
	v_mov_b32_e32 v13, v51
	v_cmp_ne_u64_e32 vcc, s[76:77], v[12:13]
                                        ; implicit-def: $vgpr12
	s_and_saveexec_b64 s[28:29], vcc
	s_xor_b64 s[30:31], exec, s[28:29]
	s_cbranch_execz .LBB6_13745
; %bb.13732:                            ;   in Loop: Header=BB6_10567 Depth=3
	v_and_b32_e32 v12, 0x7fffffff, v4
	v_mov_b32_e32 v13, v51
	v_cmp_gt_u64_e32 vcc, s[78:79], v[12:13]
	v_and_b32_sdwa v9, v4, s96 dst_sel:DWORD dst_unused:UNUSED_PAD src0_sel:BYTE_3 src1_sel:DWORD
                                        ; implicit-def: $vgpr12
	s_and_saveexec_b64 s[28:29], vcc
	s_xor_b64 s[34:35], exec, s[28:29]
	s_cbranch_execz .LBB6_13742
; %bb.13733:                            ;   in Loop: Header=BB6_10567 Depth=3
	v_mov_b32_e32 v12, 0
	v_cmp_ne_u32_e32 vcc, 0, v4
	s_and_saveexec_b64 s[36:37], vcc
	s_cbranch_execz .LBB6_13741
; %bb.13734:                            ;   in Loop: Header=BB6_10567 Depth=3
	v_bfe_u32 v25, v4, 23, 8
	v_and_b32_e32 v5, 0x7fffff, v4
	v_cmp_gt_u32_e64 s[28:29], s97, v25
	v_sub_u32_e32 v4, 0x79, v25
	v_cmp_eq_u32_e32 vcc, 0, v25
	v_cndmask_b32_e64 v4, 0, v4, s[28:29]
	v_mov_b32_e32 v13, 0x78
	v_or_b32_e32 v12, 0x800000, v5
	v_cndmask_b32_e32 v32, v4, v13, vcc
	v_cndmask_b32_e32 v4, v12, v5, vcc
	v_add_u32_e32 v12, 20, v32
	v_lshlrev_b64 v[12:13], v12, -1
	v_add_u32_e32 v33, 19, v32
	v_mov_b32_e32 v22, v34
	v_lshlrev_b64 v[33:34], v33, 1
	v_mov_b32_e32 v5, v51
	v_bfi_b32 v13, v13, 0, 0
	v_bfi_b32 v12, v12, 0, v4
	v_cmp_eq_u64_e64 s[28:29], v[12:13], v[33:34]
	v_lshrrev_b64 v[12:13], v32, v[4:5]
	v_mov_b32_e32 v4, v12
	v_mov_b32_e32 v5, v13
	s_and_saveexec_b64 s[38:39], s[28:29]
; %bb.13735:                            ;   in Loop: Header=BB6_10567 Depth=3
	v_bfe_u32 v4, v12, 20, 1
	v_add_co_u32_e64 v4, s[28:29], v12, v4
	v_add_co_u32_e64 v4, s[28:29], -1, v4
; %bb.13736:                            ;   in Loop: Header=BB6_10567 Depth=3
	s_or_b64 exec, exec, s[38:39]
	v_add_u32_e32 v5, 0xffffff81, v25
	v_mov_b32_e32 v13, 0xffffff82
	v_cndmask_b32_e32 v5, v5, v13, vcc
	v_lshrrev_b32_e32 v13, 23, v12
	v_add3_u32 v25, v32, v5, v13
	v_add_u32_e32 v5, 6, v25
	v_and_b32_e32 v4, 0xfffff, v4
	v_add_u32_e32 v12, v4, v12
	v_mov_b32_e32 v13, v51
	v_cmp_ne_u32_e32 vcc, 0, v5
                                        ; implicit-def: $vgpr4
	s_and_saveexec_b64 s[28:29], vcc
	s_xor_b64 s[28:29], exec, s[28:29]
; %bb.13737:                            ;   in Loop: Header=BB6_10567 Depth=3
	v_cmp_lt_u64_e32 vcc, s[88:89], v[12:13]
	v_add_u32_e32 v4, 7, v25
	v_cndmask_b32_e32 v4, v5, v4, vcc
	v_cndmask_b32_e64 v5, 0, 1, vcc
	v_lshrrev_b64 v[12:13], v5, v[12:13]
; %bb.13738:                            ;   in Loop: Header=BB6_10567 Depth=3
	s_or_saveexec_b64 s[28:29], s[28:29]
	v_mov_b32_e32 v34, v22
	s_xor_b64 exec, exec, s[28:29]
; %bb.13739:                            ;   in Loop: Header=BB6_10567 Depth=3
	v_bfe_u32 v4, v12, 23, 1
; %bb.13740:                            ;   in Loop: Header=BB6_10567 Depth=3
	s_or_b64 exec, exec, s[28:29]
	v_lshrrev_b64 v[12:13], 20, v[12:13]
	v_cmp_gt_i32_e32 vcc, 16, v4
	v_cndmask_b32_e32 v13, 0, v13, vcc
	v_cndmask_b32_e32 v12, 7, v12, vcc
	v_cmp_eq_u32_e32 vcc, 0, v4
	v_min_i32_e32 v4, 15, v4
	v_cmp_eq_u64_e64 s[28:29], 0, v[12:13]
	v_lshlrev_b32_e32 v4, 3, v4
	v_and_b32_e32 v4, 0xf8, v4
	v_and_or_b32 v4, v12, 7, v4
	s_and_b64 s[28:29], vcc, s[28:29]
	v_cndmask_b32_e64 v4, v4, 0, s[28:29]
	v_or_b32_e32 v12, v4, v9
.LBB6_13741:                            ;   in Loop: Header=BB6_10567 Depth=3
	s_or_b64 exec, exec, s[36:37]
                                        ; implicit-def: $vgpr9
.LBB6_13742:                            ;   in Loop: Header=BB6_10567 Depth=3
	s_andn2_saveexec_b64 s[28:29], s[34:35]
; %bb.13743:                            ;   in Loop: Header=BB6_10567 Depth=3
	v_or_b32_e32 v12, 0x7e, v9
; %bb.13744:                            ;   in Loop: Header=BB6_10567 Depth=3
	s_or_b64 exec, exec, s[28:29]
                                        ; implicit-def: $vgpr4
.LBB6_13745:                            ;   in Loop: Header=BB6_10567 Depth=3
	s_andn2_saveexec_b64 s[28:29], s[30:31]
; %bb.13746:                            ;   in Loop: Header=BB6_10567 Depth=3
	v_or_b32_sdwa v12, v4, s86 dst_sel:DWORD dst_unused:UNUSED_PAD src0_sel:BYTE_3 src1_sel:DWORD
; %bb.13747:                            ;   in Loop: Header=BB6_10567 Depth=3
	s_or_b64 exec, exec, s[28:29]
	v_cmp_lt_u32_e32 vcc, s57, v8
	v_mov_b32_e32 v4, 0
	v_mov_b32_e32 v5, 0
	s_and_saveexec_b64 s[28:29], vcc
	s_cbranch_execz .LBB6_13753
; %bb.13748:                            ;   in Loop: Header=BB6_10567 Depth=3
	v_lshrrev_b32_e32 v9, 24, v8
	v_cmp_ne_u32_sdwa vcc, v8, s96 src0_sel:BYTE_3 src1_sel:DWORD
	v_bfrev_b32_e32 v5, 1
	s_and_saveexec_b64 s[30:31], vcc
	s_cbranch_execz .LBB6_13752
; %bb.13749:                            ;   in Loop: Header=BB6_10567 Depth=3
	v_bfe_u32 v13, v8, 24, 7
	v_cmp_ne_u32_e32 vcc, s86, v13
	v_mov_b32_e32 v5, 0x7f800001
	s_and_saveexec_b64 s[34:35], vcc
	s_cbranch_execz .LBB6_13751
; %bb.13750:                            ;   in Loop: Header=BB6_10567 Depth=3
	v_and_b32_e32 v5, 7, v9
	v_lshrrev_b32_e32 v25, 3, v13
	v_cmp_gt_u32_e32 vcc, 8, v13
	v_ffbh_u32_e32 v13, v5
	v_min_u32_e32 v13, 32, v13
	v_subrev_u32_e32 v32, 28, v13
	v_lshlrev_b64 v[32:33], v32, v[9:10]
	v_sub_u32_e32 v9, 29, v13
	v_and_b32_e32 v13, 7, v32
	v_cndmask_b32_e32 v5, v5, v13, vcc
	v_mov_b32_e32 v13, 24
	v_cndmask_b32_e32 v9, v25, v9, vcc
	v_lshlrev_b32_sdwa v8, v13, v8 dst_sel:DWORD dst_unused:UNUSED_PAD src0_sel:DWORD src1_sel:BYTE_3
	v_bfrev_b32_e32 v13, 60
	v_lshlrev_b32_e32 v5, 20, v5
	v_and_b32_e32 v8, 0x80000000, v8
	v_lshl_add_u32 v9, v9, 23, v13
	v_or3_b32 v5, v8, v9, v5
.LBB6_13751:                            ;   in Loop: Header=BB6_10567 Depth=3
	s_or_b64 exec, exec, s[34:35]
.LBB6_13752:                            ;   in Loop: Header=BB6_10567 Depth=3
	s_or_b64 exec, exec, s[30:31]
.LBB6_13753:                            ;   in Loop: Header=BB6_10567 Depth=3
	s_or_b64 exec, exec, s[28:29]
	v_cmp_lt_u64_e32 vcc, s[56:57], v[10:11]
	s_and_saveexec_b64 s[28:29], vcc
	s_cbranch_execz .LBB6_13759
; %bb.13754:                            ;   in Loop: Header=BB6_10567 Depth=3
	v_lshrrev_b32_e32 v8, 24, v11
	v_cmp_ne_u32_e32 vcc, s96, v8
	v_bfrev_b32_e32 v4, 1
	s_and_saveexec_b64 s[30:31], vcc
	s_cbranch_execz .LBB6_13758
; %bb.13755:                            ;   in Loop: Header=BB6_10567 Depth=3
	v_bfe_u32 v9, v11, 24, 7
	v_cmp_ne_u32_e32 vcc, s86, v9
	v_mov_b32_e32 v4, 0x7f800001
	s_and_saveexec_b64 s[34:35], vcc
	s_cbranch_execz .LBB6_13757
; %bb.13756:                            ;   in Loop: Header=BB6_10567 Depth=3
	v_and_b32_e32 v4, 7, v8
	v_lshrrev_b32_e32 v11, 3, v9
	v_cmp_gt_u32_e32 vcc, 8, v9
	v_ffbh_u32_e32 v9, v4
	v_min_u32_e32 v13, 32, v9
	v_subrev_u32_e32 v9, 28, v13
	v_lshlrev_b64 v[9:10], v9, v[8:9]
	v_sub_u32_e32 v10, 29, v13
	v_and_b32_e32 v9, 7, v9
	v_cndmask_b32_e32 v10, v11, v10, vcc
	v_cndmask_b32_e32 v4, v4, v9, vcc
	v_lshlrev_b32_e32 v8, 24, v8
	v_bfrev_b32_e32 v9, 60
	v_lshlrev_b32_e32 v4, 20, v4
	v_and_b32_e32 v8, 0x80000000, v8
	v_lshl_add_u32 v9, v10, 23, v9
	v_or3_b32 v4, v8, v9, v4
.LBB6_13757:                            ;   in Loop: Header=BB6_10567 Depth=3
	s_or_b64 exec, exec, s[34:35]
.LBB6_13758:                            ;   in Loop: Header=BB6_10567 Depth=3
	s_or_b64 exec, exec, s[30:31]
.LBB6_13759:                            ;   in Loop: Header=BB6_10567 Depth=3
	s_or_b64 exec, exec, s[28:29]
	v_add_f32_e32 v5, v5, v4
	v_and_b32_e32 v8, 0x7f800000, v5
	v_mov_b32_e32 v9, v51
	v_cmp_ne_u64_e32 vcc, s[76:77], v[8:9]
                                        ; implicit-def: $vgpr4
	s_and_saveexec_b64 s[28:29], vcc
	s_xor_b64 s[30:31], exec, s[28:29]
	s_cbranch_execz .LBB6_13773
; %bb.13760:                            ;   in Loop: Header=BB6_10567 Depth=3
	v_and_b32_e32 v8, 0x7fffffff, v5
	v_mov_b32_e32 v9, v51
	v_cmp_gt_u64_e32 vcc, s[78:79], v[8:9]
	v_and_b32_sdwa v10, v5, s96 dst_sel:DWORD dst_unused:UNUSED_PAD src0_sel:BYTE_3 src1_sel:DWORD
                                        ; implicit-def: $vgpr4
	s_and_saveexec_b64 s[28:29], vcc
	s_xor_b64 s[34:35], exec, s[28:29]
	s_cbranch_execz .LBB6_13770
; %bb.13761:                            ;   in Loop: Header=BB6_10567 Depth=3
	v_mov_b32_e32 v4, 0
	v_cmp_ne_u32_e32 vcc, 0, v5
	s_and_saveexec_b64 s[36:37], vcc
	s_cbranch_execz .LBB6_13769
; %bb.13762:                            ;   in Loop: Header=BB6_10567 Depth=3
	v_bfe_u32 v11, v5, 23, 8
	v_and_b32_e32 v4, 0x7fffff, v5
	v_cmp_gt_u32_e64 s[28:29], s97, v11
	v_sub_u32_e32 v5, 0x79, v11
	v_cmp_eq_u32_e32 vcc, 0, v11
	v_cndmask_b32_e64 v5, 0, v5, s[28:29]
	v_mov_b32_e32 v9, 0x78
	v_or_b32_e32 v8, 0x800000, v4
	v_cndmask_b32_e32 v13, v5, v9, vcc
	v_cndmask_b32_e32 v4, v8, v4, vcc
	v_add_u32_e32 v8, 20, v13
	v_lshlrev_b64 v[8:9], v8, -1
	v_add_u32_e32 v25, 19, v13
	v_lshlrev_b64 v[32:33], v25, 1
	v_mov_b32_e32 v5, v51
	v_bfi_b32 v9, v9, 0, 0
	v_bfi_b32 v8, v8, 0, v4
	v_cmp_eq_u64_e64 s[28:29], v[8:9], v[32:33]
	v_lshrrev_b64 v[8:9], v13, v[4:5]
	v_mov_b32_e32 v4, v8
	v_mov_b32_e32 v5, v9
	s_and_saveexec_b64 s[38:39], s[28:29]
; %bb.13763:                            ;   in Loop: Header=BB6_10567 Depth=3
	v_bfe_u32 v4, v8, 20, 1
	v_add_co_u32_e64 v4, s[28:29], v8, v4
	v_add_co_u32_e64 v4, s[28:29], -1, v4
; %bb.13764:                            ;   in Loop: Header=BB6_10567 Depth=3
	s_or_b64 exec, exec, s[38:39]
	v_add_u32_e32 v5, 0xffffff81, v11
	v_mov_b32_e32 v9, 0xffffff82
	v_cndmask_b32_e32 v5, v5, v9, vcc
	v_lshrrev_b32_e32 v9, 23, v8
	v_add3_u32 v11, v13, v5, v9
	v_add_u32_e32 v5, 6, v11
	v_and_b32_e32 v4, 0xfffff, v4
	v_add_u32_e32 v8, v4, v8
	v_mov_b32_e32 v9, v51
	v_cmp_ne_u32_e32 vcc, 0, v5
                                        ; implicit-def: $vgpr4
	s_and_saveexec_b64 s[28:29], vcc
	s_xor_b64 s[28:29], exec, s[28:29]
; %bb.13765:                            ;   in Loop: Header=BB6_10567 Depth=3
	v_cmp_lt_u64_e32 vcc, s[88:89], v[8:9]
	v_add_u32_e32 v4, 7, v11
	v_cndmask_b32_e32 v4, v5, v4, vcc
	v_cndmask_b32_e64 v5, 0, 1, vcc
	v_lshrrev_b64 v[8:9], v5, v[8:9]
; %bb.13766:                            ;   in Loop: Header=BB6_10567 Depth=3
	s_andn2_saveexec_b64 s[28:29], s[28:29]
; %bb.13767:                            ;   in Loop: Header=BB6_10567 Depth=3
	v_bfe_u32 v4, v8, 23, 1
; %bb.13768:                            ;   in Loop: Header=BB6_10567 Depth=3
	s_or_b64 exec, exec, s[28:29]
	v_lshrrev_b64 v[8:9], 20, v[8:9]
	v_cmp_gt_i32_e32 vcc, 16, v4
	v_cndmask_b32_e32 v9, 0, v9, vcc
	v_cndmask_b32_e32 v8, 7, v8, vcc
	v_cmp_eq_u32_e32 vcc, 0, v4
	v_min_i32_e32 v4, 15, v4
	v_cmp_eq_u64_e64 s[28:29], 0, v[8:9]
	v_lshlrev_b32_e32 v4, 3, v4
	v_and_b32_e32 v4, 0xf8, v4
	v_and_or_b32 v4, v8, 7, v4
	s_and_b64 s[28:29], vcc, s[28:29]
	v_cndmask_b32_e64 v4, v4, 0, s[28:29]
	v_or_b32_e32 v4, v4, v10
.LBB6_13769:                            ;   in Loop: Header=BB6_10567 Depth=3
	s_or_b64 exec, exec, s[36:37]
                                        ; implicit-def: $vgpr10
.LBB6_13770:                            ;   in Loop: Header=BB6_10567 Depth=3
	s_andn2_saveexec_b64 s[28:29], s[34:35]
; %bb.13771:                            ;   in Loop: Header=BB6_10567 Depth=3
	v_or_b32_e32 v4, 0x7e, v10
; %bb.13772:                            ;   in Loop: Header=BB6_10567 Depth=3
	s_or_b64 exec, exec, s[28:29]
                                        ; implicit-def: $vgpr5
.LBB6_13773:                            ;   in Loop: Header=BB6_10567 Depth=3
	s_andn2_saveexec_b64 s[28:29], s[30:31]
	s_cbranch_execz .LBB6_10566
; %bb.13774:                            ;   in Loop: Header=BB6_10567 Depth=3
	v_or_b32_sdwa v4, v5, s86 dst_sel:DWORD dst_unused:UNUSED_PAD src0_sel:BYTE_3 src1_sel:DWORD
	s_branch .LBB6_10566
.LBB6_13775:                            ;   in Loop: Header=BB6_10483 Depth=2
	s_or_b64 exec, exec, s[42:43]
	buffer_load_dword v52, off, s[0:3], s33 offset:464 ; 4-byte Folded Reload
	buffer_load_dword v53, off, s[0:3], s33 offset:468 ; 4-byte Folded Reload
	;; [unrolled: 1-line block ×3, first 2 shown]
.LBB6_13776:                            ;   in Loop: Header=BB6_10483 Depth=2
	s_or_b64 exec, exec, s[40:41]
	buffer_load_dword v0, off, s[0:3], s33 offset:364 ; 4-byte Folded Reload
	s_waitcnt vmcnt(1)
	v_lshlrev_b32_e32 v1, 12, v1
	s_mov_b64 s[28:29], 0
	v_mov_b32_e32 v6, 0
                                        ; implicit-def: $vgpr3
                                        ; implicit-def: $vgpr2
	s_waitcnt vmcnt(0)
	v_cmp_ne_u32_e32 vcc, v0, v1
	s_and_saveexec_b64 s[30:31], vcc
	s_cbranch_execz .LBB6_14592
; %bb.13777:                            ;   in Loop: Header=BB6_10483 Depth=2
	buffer_load_dword v0, off, s[0:3], s33 offset:364 ; 4-byte Folded Reload
	buffer_load_dword v2, off, s[0:3], s33 offset:580 ; 4-byte Folded Reload
	s_waitcnt vmcnt(1)
	v_sub_u32_e32 v3, v0, v1
	v_lshlrev_b32_e32 v0, 6, v58
	s_waitcnt vmcnt(0)
	v_sub_u32_e32 v0, v2, v0
	v_ashrrev_i32_e32 v2, 31, v0
	v_lshrrev_b32_e32 v2, 26, v2
	v_add_u32_e32 v2, v0, v2
	v_ashrrev_i32_e32 v5, 6, v2
	v_and_b32_e32 v2, 0xffffffc0, v2
	v_sub_u32_e32 v2, v0, v2
	v_lshlrev_b32_e32 v0, 4, v2
	v_lshl_add_u32 v4, v5, 10, v0
	v_ashrrev_i32_e32 v0, 31, v3
	v_lshrrev_b32_e32 v0, 22, v0
	v_add_u32_e32 v0, v3, v0
	v_ashrrev_i32_e32 v7, 10, v0
	v_and_b32_e32 v0, 0xfffffc00, v0
	v_sub_u32_e32 v6, v3, v4
	v_sub_u32_e32 v3, v3, v0
	v_cmp_lt_i32_e64 s[28:29], 15, v3
	v_addc_co_u32_e64 v7, vcc, 0, v7, s[28:29]
	v_sub_u32_e32 v7, v7, v5
	v_cmp_lt_i32_e32 vcc, 15, v6
	s_and_saveexec_b64 s[34:35], vcc
	s_cbranch_execz .LBB6_14591
; %bb.13778:                            ;   in Loop: Header=BB6_10483 Depth=2
	v_add_u32_e32 v8, v4, v1
	buffer_load_dword v4, off, s[0:3], s33 offset:420 ; 4-byte Folded Reload
	buffer_load_dword v5, off, s[0:3], s33 offset:424 ; 4-byte Folded Reload
	v_ashrrev_i32_e32 v9, 31, v8
	s_trap 2
	s_mov_b64 s[36:37], 0
	s_waitcnt vmcnt(1)
	v_add_co_u32_e32 v20, vcc, v8, v4
	s_waitcnt vmcnt(0)
	v_addc_co_u32_e32 v21, vcc, v9, v5, vcc
	ds_read_b64 v[4:5], v0
	buffer_load_dword v10, off, s[0:3], s33 offset:436 ; 4-byte Folded Reload
	buffer_load_dword v11, off, s[0:3], s33 offset:440 ; 4-byte Folded Reload
	v_add_co_u32_e32 v22, vcc, v8, v52
	v_addc_co_u32_e32 v23, vcc, v9, v53, vcc
	s_waitcnt lgkmcnt(0)
	v_readfirstlane_b32 s9, v4
	s_and_b32 s40, s9, 7
	s_flbit_i32_b32 s40, s40
	s_min_u32 s40, s40, 32
	s_and_b32 s41, s9, 0x7f
	s_bfe_u32 s42, s9, 0x40003
	s_sub_i32 s43, s40, 28
	s_sub_i32 s40, 29, s40
	s_cmp_lt_u32 s41, 8
	s_cselect_b32 s43, s43, 0
	s_cselect_b32 s40, s40, s42
	s_lshl_b32 s42, s9, 24
	s_lshl_b32 s40, s40, 23
	s_and_b32 s42, s42, 0x80000000
	s_add_i32 s40, s40, 0x3c000000
	s_or_b32 s40, s42, s40
	s_cmpk_lg_i32 s41, 0x7f
	s_waitcnt vmcnt(1)
	v_add_co_u32_e32 v12, vcc, v8, v10
	s_waitcnt vmcnt(0)
	v_addc_co_u32_e32 v13, vcc, v9, v11, vcc
	v_add_co_u32_e32 v14, vcc, v4, v8
	v_addc_co_u32_e32 v15, vcc, v5, v9, vcc
	v_lshlrev_b64 v[4:5], s43, v[4:5]
	s_cselect_b64 vcc, -1, 0
	v_lshlrev_b32_e32 v4, 20, v4
	v_and_b32_e32 v4, 0x700000, v4
	v_or_b32_e32 v4, s40, v4
	v_mov_b32_e32 v5, 0x7f800001
	v_cndmask_b32_e32 v24, v5, v4, vcc
	s_and_b32 s9, s9, 0xff
.LBB6_13779:                            ;   Parent Loop BB6_47 Depth=1
                                        ;     Parent Loop BB6_10483 Depth=2
                                        ; =>    This Loop Header: Depth=3
                                        ;         Child Loop BB6_14568 Depth 4
	s_cmpk_lt_i32 s9, 0x80
	s_cbranch_scc1 .LBB6_13783
; %bb.13780:                            ;   in Loop: Header=BB6_13779 Depth=3
	s_and_b32 s42, 0xffff, s9
	s_mov_b64 s[40:41], -1
	s_cmpk_eq_i32 s42, 0x80
	s_cbranch_scc0 .LBB6_13782
; %bb.13781:                            ;   in Loop: Header=BB6_13779 Depth=3
	s_mov_b64 s[40:41], 0
.LBB6_13782:                            ;   in Loop: Header=BB6_13779 Depth=3
	s_brev_b32 s38, 1
	s_branch .LBB6_13785
.LBB6_13783:                            ;   in Loop: Header=BB6_13779 Depth=3
	s_mov_b64 s[40:41], 0
	s_brev_b32 s38, 1
	s_cbranch_execz .LBB6_13785
; %bb.13784:                            ;   in Loop: Header=BB6_13779 Depth=3
	s_and_b32 s40, 0xffff, s9
	s_cmp_lg_u32 s40, 0
	s_mov_b32 s38, 0
	s_cselect_b64 s[40:41], -1, 0
.LBB6_13785:                            ;   in Loop: Header=BB6_13779 Depth=3
	s_andn2_b64 vcc, exec, s[40:41]
	v_mov_b32_e32 v27, s38
	s_cbranch_vccnz .LBB6_13787
; %bb.13786:                            ;   in Loop: Header=BB6_13779 Depth=3
	v_mov_b32_e32 v27, v24
.LBB6_13787:                            ;   in Loop: Header=BB6_13779 Depth=3
	global_load_dwordx4 v[8:11], v[12:13], off glc slc
	v_mov_b32_e32 v4, 0
	s_waitcnt vmcnt(0)
	v_cmp_ne_u16_sdwa s[42:43], v8, v51 src0_sel:BYTE_0 src1_sel:DWORD
	s_and_saveexec_b64 s[40:41], s[42:43]
	s_cbranch_execz .LBB6_13793
; %bb.13788:                            ;   in Loop: Header=BB6_13779 Depth=3
	v_cmp_ne_u16_sdwa vcc, v8, s96 src0_sel:BYTE_0 src1_sel:DWORD
	v_bfrev_b32_e32 v4, 1
	s_and_saveexec_b64 s[42:43], vcc
	s_cbranch_execz .LBB6_13792
; %bb.13789:                            ;   in Loop: Header=BB6_13779 Depth=3
	v_and_b32_e32 v5, 0x7f, v8
	v_cmp_ne_u32_e32 vcc, s86, v5
	v_mov_b32_e32 v4, 0x7f800001
	s_and_saveexec_b64 s[38:39], vcc
	s_cbranch_execz .LBB6_13791
; %bb.13790:                            ;   in Loop: Header=BB6_13779 Depth=3
	v_and_b32_e32 v4, 7, v8
	v_ffbh_u32_e32 v4, v4
	v_min_u32_e32 v4, 32, v4
	v_lshrrev_b32_e32 v16, 3, v5
	v_cmp_gt_u32_e32 vcc, 8, v5
	v_subrev_u32_e32 v5, 28, v4
	v_sub_u32_e32 v4, 29, v4
	v_cndmask_b32_e32 v16, v16, v4, vcc
	v_cndmask_b32_e32 v4, 0, v5, vcc
	v_lshlrev_b64 v[4:5], v4, v[8:9]
	v_lshlrev_b32_e32 v5, 24, v8
	v_lshlrev_b32_e32 v4, 20, v4
	v_bfrev_b32_e32 v17, 60
	v_and_b32_e32 v4, 0x700000, v4
	v_and_b32_e32 v5, 0x80000000, v5
	v_lshl_add_u32 v16, v16, 23, v17
	v_or3_b32 v4, v5, v16, v4
.LBB6_13791:                            ;   in Loop: Header=BB6_13779 Depth=3
	s_or_b64 exec, exec, s[38:39]
.LBB6_13792:                            ;   in Loop: Header=BB6_13779 Depth=3
	s_or_b64 exec, exec, s[42:43]
.LBB6_13793:                            ;   in Loop: Header=BB6_13779 Depth=3
	s_or_b64 exec, exec, s[40:41]
	v_mul_f32_e32 v4, v27, v4
	v_and_b32_e32 v16, 0x7f800000, v4
	v_mov_b32_e32 v17, v51
	v_cmp_ne_u64_e32 vcc, s[76:77], v[16:17]
                                        ; implicit-def: $vgpr25
	s_and_saveexec_b64 s[40:41], vcc
	s_xor_b64 s[42:43], exec, s[40:41]
	s_cbranch_execz .LBB6_13807
; %bb.13794:                            ;   in Loop: Header=BB6_13779 Depth=3
	v_and_b32_e32 v16, 0x7fffffff, v4
	v_mov_b32_e32 v17, v51
	v_cmp_gt_u64_e32 vcc, s[78:79], v[16:17]
	v_and_b32_sdwa v18, v4, s96 dst_sel:DWORD dst_unused:UNUSED_PAD src0_sel:BYTE_3 src1_sel:DWORD
                                        ; implicit-def: $vgpr25
	s_and_saveexec_b64 s[40:41], vcc
	s_xor_b64 s[38:39], exec, s[40:41]
	s_cbranch_execz .LBB6_13804
; %bb.13795:                            ;   in Loop: Header=BB6_13779 Depth=3
	v_mov_b32_e32 v25, 0
	v_cmp_ne_u32_e32 vcc, 0, v4
	s_and_saveexec_b64 s[48:49], vcc
	s_cbranch_execz .LBB6_13803
; %bb.13796:                            ;   in Loop: Header=BB6_13779 Depth=3
	v_bfe_u32 v19, v4, 23, 8
	v_and_b32_e32 v5, 0x7fffff, v4
	v_cmp_gt_u32_e64 s[40:41], s97, v19
	v_sub_u32_e32 v4, 0x79, v19
	v_cmp_eq_u32_e32 vcc, 0, v19
	v_cndmask_b32_e64 v4, 0, v4, s[40:41]
	v_mov_b32_e32 v17, 0x78
	v_or_b32_e32 v16, 0x800000, v5
	v_cndmask_b32_e32 v25, v4, v17, vcc
	v_cndmask_b32_e32 v4, v16, v5, vcc
	v_add_u32_e32 v16, 20, v25
	v_lshlrev_b64 v[16:17], v16, -1
	v_add_u32_e32 v26, 19, v25
	v_lshlrev_b64 v[28:29], v26, 1
	v_mov_b32_e32 v5, v51
	v_bfi_b32 v17, v17, 0, 0
	v_bfi_b32 v16, v16, 0, v4
	v_cmp_eq_u64_e64 s[40:41], v[16:17], v[28:29]
	v_lshrrev_b64 v[16:17], v25, v[4:5]
	v_mov_b32_e32 v4, v16
	v_mov_b32_e32 v5, v17
	s_and_saveexec_b64 s[50:51], s[40:41]
; %bb.13797:                            ;   in Loop: Header=BB6_13779 Depth=3
	v_bfe_u32 v4, v16, 20, 1
	v_add_co_u32_e64 v4, s[40:41], v16, v4
	v_add_co_u32_e64 v4, s[40:41], -1, v4
; %bb.13798:                            ;   in Loop: Header=BB6_13779 Depth=3
	s_or_b64 exec, exec, s[50:51]
	v_add_u32_e32 v5, 0xffffff81, v19
	v_mov_b32_e32 v17, 0xffffff82
	v_cndmask_b32_e32 v5, v5, v17, vcc
	v_lshrrev_b32_e32 v17, 23, v16
	v_add3_u32 v19, v25, v5, v17
	v_add_u32_e32 v5, 6, v19
	v_and_b32_e32 v4, 0xfffff, v4
	v_add_u32_e32 v16, v4, v16
	v_mov_b32_e32 v17, v51
	v_cmp_ne_u32_e32 vcc, 0, v5
                                        ; implicit-def: $vgpr4
	s_and_saveexec_b64 s[40:41], vcc
	s_xor_b64 s[40:41], exec, s[40:41]
; %bb.13799:                            ;   in Loop: Header=BB6_13779 Depth=3
	v_cmp_lt_u64_e32 vcc, s[88:89], v[16:17]
	v_add_u32_e32 v4, 7, v19
	v_cndmask_b32_e32 v4, v5, v4, vcc
	v_cndmask_b32_e64 v5, 0, 1, vcc
	v_lshrrev_b64 v[16:17], v5, v[16:17]
; %bb.13800:                            ;   in Loop: Header=BB6_13779 Depth=3
	s_andn2_saveexec_b64 s[40:41], s[40:41]
; %bb.13801:                            ;   in Loop: Header=BB6_13779 Depth=3
	v_bfe_u32 v4, v16, 23, 1
; %bb.13802:                            ;   in Loop: Header=BB6_13779 Depth=3
	s_or_b64 exec, exec, s[40:41]
	v_lshrrev_b64 v[16:17], 20, v[16:17]
	v_cmp_gt_i32_e32 vcc, 16, v4
	v_cndmask_b32_e32 v17, 0, v17, vcc
	v_cndmask_b32_e32 v16, 7, v16, vcc
	v_cmp_eq_u32_e32 vcc, 0, v4
	v_min_i32_e32 v4, 15, v4
	v_cmp_eq_u64_e64 s[40:41], 0, v[16:17]
	v_lshlrev_b32_e32 v4, 3, v4
	v_and_b32_e32 v4, 0xf8, v4
	v_and_or_b32 v4, v16, 7, v4
	s_and_b64 s[40:41], vcc, s[40:41]
	v_cndmask_b32_e64 v4, v4, 0, s[40:41]
	v_or_b32_e32 v25, v4, v18
.LBB6_13803:                            ;   in Loop: Header=BB6_13779 Depth=3
	s_or_b64 exec, exec, s[48:49]
                                        ; implicit-def: $vgpr18
.LBB6_13804:                            ;   in Loop: Header=BB6_13779 Depth=3
	s_andn2_saveexec_b64 s[40:41], s[38:39]
; %bb.13805:                            ;   in Loop: Header=BB6_13779 Depth=3
	v_or_b32_e32 v25, 0x7e, v18
; %bb.13806:                            ;   in Loop: Header=BB6_13779 Depth=3
	s_or_b64 exec, exec, s[40:41]
                                        ; implicit-def: $vgpr4
.LBB6_13807:                            ;   in Loop: Header=BB6_13779 Depth=3
	s_andn2_saveexec_b64 s[40:41], s[42:43]
; %bb.13808:                            ;   in Loop: Header=BB6_13779 Depth=3
	v_or_b32_sdwa v25, v4, s86 dst_sel:DWORD dst_unused:UNUSED_PAD src0_sel:BYTE_3 src1_sel:DWORD
; %bb.13809:                            ;   in Loop: Header=BB6_13779 Depth=3
	s_or_b64 exec, exec, s[40:41]
	v_lshrrev_b16_e32 v16, 8, v8
	v_cmp_ne_u16_e32 vcc, 0, v16
	v_mov_b32_e32 v4, 0
	s_and_saveexec_b64 s[40:41], vcc
	s_cbranch_execz .LBB6_13815
; %bb.13810:                            ;   in Loop: Header=BB6_13779 Depth=3
	v_cmp_ne_u16_e32 vcc, s96, v16
	v_bfrev_b32_e32 v4, 1
	s_and_saveexec_b64 s[42:43], vcc
	s_cbranch_execz .LBB6_13814
; %bb.13811:                            ;   in Loop: Header=BB6_13779 Depth=3
	v_and_b32_e32 v5, 0x7f, v16
	v_cmp_ne_u32_e32 vcc, s86, v5
	v_mov_b32_e32 v4, 0x7f800001
	s_and_saveexec_b64 s[38:39], vcc
	s_cbranch_execz .LBB6_13813
; %bb.13812:                            ;   in Loop: Header=BB6_13779 Depth=3
	v_and_b32_e32 v17, 7, v16
	v_ffbh_u32_e32 v4, v17
	v_min_u32_e32 v19, 32, v4
	v_subrev_u32_e32 v4, 28, v19
	v_lshrrev_b32_e32 v18, 3, v5
	v_cmp_gt_u32_e32 vcc, 8, v5
	v_lshlrev_b64 v[4:5], v4, v[16:17]
	v_sub_u32_e32 v5, 29, v19
	v_and_b32_e32 v4, 7, v4
	v_cndmask_b32_e32 v5, v18, v5, vcc
	v_cndmask_b32_e32 v4, v17, v4, vcc
	v_lshlrev_b32_e32 v16, 16, v8
	v_bfrev_b32_e32 v17, 60
	v_lshlrev_b32_e32 v4, 20, v4
	v_and_b32_e32 v16, 0x80000000, v16
	v_lshl_add_u32 v5, v5, 23, v17
	v_or3_b32 v4, v16, v5, v4
.LBB6_13813:                            ;   in Loop: Header=BB6_13779 Depth=3
	s_or_b64 exec, exec, s[38:39]
.LBB6_13814:                            ;   in Loop: Header=BB6_13779 Depth=3
	s_or_b64 exec, exec, s[42:43]
.LBB6_13815:                            ;   in Loop: Header=BB6_13779 Depth=3
	s_or_b64 exec, exec, s[40:41]
	v_mul_f32_e32 v4, v27, v4
	v_and_b32_e32 v16, 0x7f800000, v4
	v_mov_b32_e32 v17, v51
	v_cmp_ne_u64_e32 vcc, s[76:77], v[16:17]
                                        ; implicit-def: $vgpr30
	s_and_saveexec_b64 s[40:41], vcc
	s_xor_b64 s[42:43], exec, s[40:41]
	s_cbranch_execz .LBB6_13829
; %bb.13816:                            ;   in Loop: Header=BB6_13779 Depth=3
	v_and_b32_e32 v16, 0x7fffffff, v4
	v_mov_b32_e32 v17, v51
	v_cmp_gt_u64_e32 vcc, s[78:79], v[16:17]
	v_and_b32_sdwa v18, v4, s96 dst_sel:DWORD dst_unused:UNUSED_PAD src0_sel:BYTE_3 src1_sel:DWORD
                                        ; implicit-def: $vgpr30
	s_and_saveexec_b64 s[40:41], vcc
	s_xor_b64 s[38:39], exec, s[40:41]
	s_cbranch_execz .LBB6_13826
; %bb.13817:                            ;   in Loop: Header=BB6_13779 Depth=3
	v_mov_b32_e32 v30, 0
	v_cmp_ne_u32_e32 vcc, 0, v4
	s_and_saveexec_b64 s[48:49], vcc
	s_cbranch_execz .LBB6_13825
; %bb.13818:                            ;   in Loop: Header=BB6_13779 Depth=3
	v_bfe_u32 v19, v4, 23, 8
	v_and_b32_e32 v5, 0x7fffff, v4
	v_cmp_gt_u32_e64 s[40:41], s97, v19
	v_sub_u32_e32 v4, 0x79, v19
	v_cmp_eq_u32_e32 vcc, 0, v19
	v_cndmask_b32_e64 v4, 0, v4, s[40:41]
	v_mov_b32_e32 v17, 0x78
	v_or_b32_e32 v16, 0x800000, v5
	v_cndmask_b32_e32 v26, v4, v17, vcc
	v_cndmask_b32_e32 v4, v16, v5, vcc
	v_add_u32_e32 v16, 20, v26
	v_lshlrev_b64 v[16:17], v16, -1
	v_add_u32_e32 v28, 19, v26
	v_lshlrev_b64 v[28:29], v28, 1
	v_mov_b32_e32 v5, v51
	v_bfi_b32 v17, v17, 0, 0
	v_bfi_b32 v16, v16, 0, v4
	v_cmp_eq_u64_e64 s[40:41], v[16:17], v[28:29]
	v_lshrrev_b64 v[16:17], v26, v[4:5]
	v_mov_b32_e32 v4, v16
	v_mov_b32_e32 v5, v17
	s_and_saveexec_b64 s[50:51], s[40:41]
; %bb.13819:                            ;   in Loop: Header=BB6_13779 Depth=3
	v_bfe_u32 v4, v16, 20, 1
	v_add_co_u32_e64 v4, s[40:41], v16, v4
	v_add_co_u32_e64 v4, s[40:41], -1, v4
; %bb.13820:                            ;   in Loop: Header=BB6_13779 Depth=3
	s_or_b64 exec, exec, s[50:51]
	v_add_u32_e32 v5, 0xffffff81, v19
	v_mov_b32_e32 v17, 0xffffff82
	v_cndmask_b32_e32 v5, v5, v17, vcc
	v_lshrrev_b32_e32 v17, 23, v16
	v_add3_u32 v19, v26, v5, v17
	v_add_u32_e32 v5, 6, v19
	v_and_b32_e32 v4, 0xfffff, v4
	v_add_u32_e32 v16, v4, v16
	v_mov_b32_e32 v17, v51
	v_cmp_ne_u32_e32 vcc, 0, v5
                                        ; implicit-def: $vgpr4
	s_and_saveexec_b64 s[40:41], vcc
	s_xor_b64 s[40:41], exec, s[40:41]
; %bb.13821:                            ;   in Loop: Header=BB6_13779 Depth=3
	v_cmp_lt_u64_e32 vcc, s[88:89], v[16:17]
	v_add_u32_e32 v4, 7, v19
	v_cndmask_b32_e32 v4, v5, v4, vcc
	v_cndmask_b32_e64 v5, 0, 1, vcc
	v_lshrrev_b64 v[16:17], v5, v[16:17]
; %bb.13822:                            ;   in Loop: Header=BB6_13779 Depth=3
	s_andn2_saveexec_b64 s[40:41], s[40:41]
; %bb.13823:                            ;   in Loop: Header=BB6_13779 Depth=3
	v_bfe_u32 v4, v16, 23, 1
; %bb.13824:                            ;   in Loop: Header=BB6_13779 Depth=3
	s_or_b64 exec, exec, s[40:41]
	v_lshrrev_b64 v[16:17], 20, v[16:17]
	v_cmp_gt_i32_e32 vcc, 16, v4
	v_cndmask_b32_e32 v17, 0, v17, vcc
	v_cndmask_b32_e32 v16, 7, v16, vcc
	v_cmp_eq_u32_e32 vcc, 0, v4
	v_min_i32_e32 v4, 15, v4
	v_cmp_eq_u64_e64 s[40:41], 0, v[16:17]
	v_lshlrev_b32_e32 v4, 3, v4
	v_and_b32_e32 v4, 0xf8, v4
	v_and_or_b32 v4, v16, 7, v4
	s_and_b64 s[40:41], vcc, s[40:41]
	v_cndmask_b32_e64 v4, v4, 0, s[40:41]
	v_or_b32_e32 v30, v4, v18
.LBB6_13825:                            ;   in Loop: Header=BB6_13779 Depth=3
	s_or_b64 exec, exec, s[48:49]
                                        ; implicit-def: $vgpr18
.LBB6_13826:                            ;   in Loop: Header=BB6_13779 Depth=3
	s_andn2_saveexec_b64 s[40:41], s[38:39]
; %bb.13827:                            ;   in Loop: Header=BB6_13779 Depth=3
	v_or_b32_e32 v30, 0x7e, v18
; %bb.13828:                            ;   in Loop: Header=BB6_13779 Depth=3
	s_or_b64 exec, exec, s[40:41]
                                        ; implicit-def: $vgpr4
.LBB6_13829:                            ;   in Loop: Header=BB6_13779 Depth=3
	s_andn2_saveexec_b64 s[40:41], s[42:43]
; %bb.13830:                            ;   in Loop: Header=BB6_13779 Depth=3
	v_or_b32_sdwa v30, v4, s86 dst_sel:DWORD dst_unused:UNUSED_PAD src0_sel:BYTE_3 src1_sel:DWORD
; %bb.13831:                            ;   in Loop: Header=BB6_13779 Depth=3
	s_or_b64 exec, exec, s[40:41]
	v_lshrrev_b32_e32 v16, 16, v8
	v_cmp_ne_u16_sdwa s[42:43], v16, v51 src0_sel:BYTE_0 src1_sel:DWORD
	v_mov_b32_e32 v4, 0
	s_and_saveexec_b64 s[40:41], s[42:43]
	s_cbranch_execz .LBB6_13837
; %bb.13832:                            ;   in Loop: Header=BB6_13779 Depth=3
	v_cmp_ne_u16_sdwa vcc, v16, s96 src0_sel:BYTE_0 src1_sel:DWORD
	v_bfrev_b32_e32 v4, 1
	s_and_saveexec_b64 s[42:43], vcc
	s_cbranch_execz .LBB6_13836
; %bb.13833:                            ;   in Loop: Header=BB6_13779 Depth=3
	v_bfe_u32 v5, v8, 16, 7
	v_cmp_ne_u32_e32 vcc, s86, v5
	v_mov_b32_e32 v4, 0x7f800001
	s_and_saveexec_b64 s[38:39], vcc
	s_cbranch_execz .LBB6_13835
; %bb.13834:                            ;   in Loop: Header=BB6_13779 Depth=3
	v_and_b32_e32 v17, 7, v16
	v_ffbh_u32_e32 v4, v17
	v_min_u32_e32 v19, 32, v4
	v_subrev_u32_e32 v4, 28, v19
	v_lshrrev_b32_e32 v18, 3, v5
	v_cmp_gt_u32_e32 vcc, 8, v5
	v_lshlrev_b64 v[4:5], v4, v[16:17]
	v_sub_u32_e32 v5, 29, v19
	v_and_b32_e32 v4, 7, v4
	v_cndmask_b32_e32 v5, v18, v5, vcc
	v_cndmask_b32_e32 v4, v17, v4, vcc
	v_lshlrev_b32_e32 v16, 24, v16
	v_bfrev_b32_e32 v17, 60
	v_lshlrev_b32_e32 v4, 20, v4
	v_and_b32_e32 v16, 0x80000000, v16
	v_lshl_add_u32 v5, v5, 23, v17
	v_or3_b32 v4, v16, v5, v4
.LBB6_13835:                            ;   in Loop: Header=BB6_13779 Depth=3
	s_or_b64 exec, exec, s[38:39]
.LBB6_13836:                            ;   in Loop: Header=BB6_13779 Depth=3
	s_or_b64 exec, exec, s[42:43]
.LBB6_13837:                            ;   in Loop: Header=BB6_13779 Depth=3
	s_or_b64 exec, exec, s[40:41]
	v_mul_f32_e32 v4, v27, v4
	v_and_b32_e32 v16, 0x7f800000, v4
	v_mov_b32_e32 v17, v51
	v_cmp_ne_u64_e32 vcc, s[76:77], v[16:17]
                                        ; implicit-def: $vgpr33
	s_and_saveexec_b64 s[40:41], vcc
	s_xor_b64 s[42:43], exec, s[40:41]
	s_cbranch_execz .LBB6_13851
; %bb.13838:                            ;   in Loop: Header=BB6_13779 Depth=3
	v_and_b32_e32 v16, 0x7fffffff, v4
	v_mov_b32_e32 v17, v51
	v_cmp_gt_u64_e32 vcc, s[78:79], v[16:17]
	v_and_b32_sdwa v18, v4, s96 dst_sel:DWORD dst_unused:UNUSED_PAD src0_sel:BYTE_3 src1_sel:DWORD
                                        ; implicit-def: $vgpr33
	s_and_saveexec_b64 s[40:41], vcc
	s_xor_b64 s[38:39], exec, s[40:41]
	s_cbranch_execz .LBB6_13848
; %bb.13839:                            ;   in Loop: Header=BB6_13779 Depth=3
	v_mov_b32_e32 v33, 0
	v_cmp_ne_u32_e32 vcc, 0, v4
	s_and_saveexec_b64 s[48:49], vcc
	s_cbranch_execz .LBB6_13847
; %bb.13840:                            ;   in Loop: Header=BB6_13779 Depth=3
	v_bfe_u32 v19, v4, 23, 8
	v_and_b32_e32 v5, 0x7fffff, v4
	v_cmp_gt_u32_e64 s[40:41], s97, v19
	v_sub_u32_e32 v4, 0x79, v19
	v_cmp_eq_u32_e32 vcc, 0, v19
	v_cndmask_b32_e64 v4, 0, v4, s[40:41]
	v_mov_b32_e32 v17, 0x78
	v_or_b32_e32 v16, 0x800000, v5
	v_cndmask_b32_e32 v26, v4, v17, vcc
	v_cndmask_b32_e32 v4, v16, v5, vcc
	v_add_u32_e32 v16, 20, v26
	v_lshlrev_b64 v[16:17], v16, -1
	v_add_u32_e32 v28, 19, v26
	v_lshlrev_b64 v[28:29], v28, 1
	v_mov_b32_e32 v5, v51
	v_bfi_b32 v17, v17, 0, 0
	v_bfi_b32 v16, v16, 0, v4
	v_cmp_eq_u64_e64 s[40:41], v[16:17], v[28:29]
	v_lshrrev_b64 v[16:17], v26, v[4:5]
	v_mov_b32_e32 v4, v16
	v_mov_b32_e32 v5, v17
	s_and_saveexec_b64 s[50:51], s[40:41]
; %bb.13841:                            ;   in Loop: Header=BB6_13779 Depth=3
	v_bfe_u32 v4, v16, 20, 1
	v_add_co_u32_e64 v4, s[40:41], v16, v4
	v_add_co_u32_e64 v4, s[40:41], -1, v4
; %bb.13842:                            ;   in Loop: Header=BB6_13779 Depth=3
	s_or_b64 exec, exec, s[50:51]
	v_add_u32_e32 v5, 0xffffff81, v19
	v_mov_b32_e32 v17, 0xffffff82
	v_cndmask_b32_e32 v5, v5, v17, vcc
	v_lshrrev_b32_e32 v17, 23, v16
	v_add3_u32 v19, v26, v5, v17
	v_add_u32_e32 v5, 6, v19
	v_and_b32_e32 v4, 0xfffff, v4
	v_add_u32_e32 v16, v4, v16
	v_mov_b32_e32 v17, v51
	v_cmp_ne_u32_e32 vcc, 0, v5
                                        ; implicit-def: $vgpr4
	s_and_saveexec_b64 s[40:41], vcc
	s_xor_b64 s[40:41], exec, s[40:41]
; %bb.13843:                            ;   in Loop: Header=BB6_13779 Depth=3
	v_cmp_lt_u64_e32 vcc, s[88:89], v[16:17]
	v_add_u32_e32 v4, 7, v19
	v_cndmask_b32_e32 v4, v5, v4, vcc
	v_cndmask_b32_e64 v5, 0, 1, vcc
	v_lshrrev_b64 v[16:17], v5, v[16:17]
; %bb.13844:                            ;   in Loop: Header=BB6_13779 Depth=3
	s_andn2_saveexec_b64 s[40:41], s[40:41]
; %bb.13845:                            ;   in Loop: Header=BB6_13779 Depth=3
	v_bfe_u32 v4, v16, 23, 1
; %bb.13846:                            ;   in Loop: Header=BB6_13779 Depth=3
	s_or_b64 exec, exec, s[40:41]
	v_lshrrev_b64 v[16:17], 20, v[16:17]
	v_cmp_gt_i32_e32 vcc, 16, v4
	v_cndmask_b32_e32 v17, 0, v17, vcc
	v_cndmask_b32_e32 v16, 7, v16, vcc
	v_cmp_eq_u32_e32 vcc, 0, v4
	v_min_i32_e32 v4, 15, v4
	v_cmp_eq_u64_e64 s[40:41], 0, v[16:17]
	v_lshlrev_b32_e32 v4, 3, v4
	v_and_b32_e32 v4, 0xf8, v4
	v_and_or_b32 v4, v16, 7, v4
	s_and_b64 s[40:41], vcc, s[40:41]
	v_cndmask_b32_e64 v4, v4, 0, s[40:41]
	v_or_b32_e32 v33, v4, v18
.LBB6_13847:                            ;   in Loop: Header=BB6_13779 Depth=3
	s_or_b64 exec, exec, s[48:49]
                                        ; implicit-def: $vgpr18
.LBB6_13848:                            ;   in Loop: Header=BB6_13779 Depth=3
	s_andn2_saveexec_b64 s[40:41], s[38:39]
; %bb.13849:                            ;   in Loop: Header=BB6_13779 Depth=3
	v_or_b32_e32 v33, 0x7e, v18
; %bb.13850:                            ;   in Loop: Header=BB6_13779 Depth=3
	s_or_b64 exec, exec, s[40:41]
                                        ; implicit-def: $vgpr4
.LBB6_13851:                            ;   in Loop: Header=BB6_13779 Depth=3
	s_andn2_saveexec_b64 s[40:41], s[42:43]
; %bb.13852:                            ;   in Loop: Header=BB6_13779 Depth=3
	v_or_b32_sdwa v33, v4, s86 dst_sel:DWORD dst_unused:UNUSED_PAD src0_sel:BYTE_3 src1_sel:DWORD
; %bb.13853:                            ;   in Loop: Header=BB6_13779 Depth=3
	s_or_b64 exec, exec, s[40:41]
	v_cmp_lt_u32_e32 vcc, s57, v8
	v_mov_b32_e32 v4, 0
	s_and_saveexec_b64 s[40:41], vcc
	s_cbranch_execz .LBB6_13859
; %bb.13854:                            ;   in Loop: Header=BB6_13779 Depth=3
	v_lshrrev_b32_e32 v16, 24, v8
	v_cmp_ne_u32_e32 vcc, s96, v16
	v_bfrev_b32_e32 v4, 1
	s_and_saveexec_b64 s[42:43], vcc
	s_cbranch_execz .LBB6_13858
; %bb.13855:                            ;   in Loop: Header=BB6_13779 Depth=3
	v_bfe_u32 v5, v8, 24, 7
	v_cmp_ne_u32_e32 vcc, s86, v5
	v_mov_b32_e32 v4, 0x7f800001
	s_and_saveexec_b64 s[38:39], vcc
	s_cbranch_execz .LBB6_13857
; %bb.13856:                            ;   in Loop: Header=BB6_13779 Depth=3
	v_and_b32_e32 v17, 7, v16
	v_ffbh_u32_e32 v4, v17
	v_min_u32_e32 v19, 32, v4
	v_subrev_u32_e32 v4, 28, v19
	v_lshrrev_b32_e32 v18, 3, v5
	v_cmp_gt_u32_e32 vcc, 8, v5
	v_lshlrev_b64 v[4:5], v4, v[16:17]
	v_sub_u32_e32 v5, 29, v19
	v_and_b32_e32 v4, 7, v4
	v_cndmask_b32_e32 v5, v18, v5, vcc
	v_cndmask_b32_e32 v4, v17, v4, vcc
	v_lshlrev_b32_e32 v16, 24, v16
	v_bfrev_b32_e32 v17, 60
	v_lshlrev_b32_e32 v4, 20, v4
	v_and_b32_e32 v16, 0x80000000, v16
	v_lshl_add_u32 v5, v5, 23, v17
	v_or3_b32 v4, v16, v5, v4
.LBB6_13857:                            ;   in Loop: Header=BB6_13779 Depth=3
	s_or_b64 exec, exec, s[38:39]
.LBB6_13858:                            ;   in Loop: Header=BB6_13779 Depth=3
	s_or_b64 exec, exec, s[42:43]
.LBB6_13859:                            ;   in Loop: Header=BB6_13779 Depth=3
	s_or_b64 exec, exec, s[40:41]
	v_mul_f32_e32 v4, v27, v4
	v_and_b32_e32 v16, 0x7f800000, v4
	v_mov_b32_e32 v17, v51
	v_cmp_ne_u64_e32 vcc, s[76:77], v[16:17]
                                        ; implicit-def: $vgpr48
	s_and_saveexec_b64 s[40:41], vcc
	s_xor_b64 s[42:43], exec, s[40:41]
	s_cbranch_execz .LBB6_13873
; %bb.13860:                            ;   in Loop: Header=BB6_13779 Depth=3
	v_and_b32_e32 v16, 0x7fffffff, v4
	v_mov_b32_e32 v17, v51
	v_cmp_gt_u64_e32 vcc, s[78:79], v[16:17]
	v_and_b32_sdwa v18, v4, s96 dst_sel:DWORD dst_unused:UNUSED_PAD src0_sel:BYTE_3 src1_sel:DWORD
                                        ; implicit-def: $vgpr48
	s_and_saveexec_b64 s[40:41], vcc
	s_xor_b64 s[38:39], exec, s[40:41]
	s_cbranch_execz .LBB6_13870
; %bb.13861:                            ;   in Loop: Header=BB6_13779 Depth=3
	v_mov_b32_e32 v48, 0
	v_cmp_ne_u32_e32 vcc, 0, v4
	s_and_saveexec_b64 s[48:49], vcc
	s_cbranch_execz .LBB6_13869
; %bb.13862:                            ;   in Loop: Header=BB6_13779 Depth=3
	v_bfe_u32 v19, v4, 23, 8
	v_and_b32_e32 v5, 0x7fffff, v4
	v_cmp_gt_u32_e64 s[40:41], s97, v19
	v_sub_u32_e32 v4, 0x79, v19
	v_cmp_eq_u32_e32 vcc, 0, v19
	v_cndmask_b32_e64 v4, 0, v4, s[40:41]
	v_mov_b32_e32 v17, 0x78
	v_or_b32_e32 v16, 0x800000, v5
	v_cndmask_b32_e32 v26, v4, v17, vcc
	v_cndmask_b32_e32 v4, v16, v5, vcc
	v_add_u32_e32 v16, 20, v26
	v_lshlrev_b64 v[16:17], v16, -1
	v_add_u32_e32 v28, 19, v26
	v_lshlrev_b64 v[28:29], v28, 1
	v_mov_b32_e32 v5, v51
	v_bfi_b32 v17, v17, 0, 0
	v_bfi_b32 v16, v16, 0, v4
	v_cmp_eq_u64_e64 s[40:41], v[16:17], v[28:29]
	v_lshrrev_b64 v[16:17], v26, v[4:5]
	v_mov_b32_e32 v4, v16
	v_mov_b32_e32 v5, v17
	s_and_saveexec_b64 s[50:51], s[40:41]
; %bb.13863:                            ;   in Loop: Header=BB6_13779 Depth=3
	v_bfe_u32 v4, v16, 20, 1
	v_add_co_u32_e64 v4, s[40:41], v16, v4
	v_add_co_u32_e64 v4, s[40:41], -1, v4
; %bb.13864:                            ;   in Loop: Header=BB6_13779 Depth=3
	s_or_b64 exec, exec, s[50:51]
	v_add_u32_e32 v5, 0xffffff81, v19
	v_mov_b32_e32 v17, 0xffffff82
	v_cndmask_b32_e32 v5, v5, v17, vcc
	v_lshrrev_b32_e32 v17, 23, v16
	v_add3_u32 v19, v26, v5, v17
	v_add_u32_e32 v5, 6, v19
	v_and_b32_e32 v4, 0xfffff, v4
	v_add_u32_e32 v16, v4, v16
	v_mov_b32_e32 v17, v51
	v_cmp_ne_u32_e32 vcc, 0, v5
                                        ; implicit-def: $vgpr4
	s_and_saveexec_b64 s[40:41], vcc
	s_xor_b64 s[40:41], exec, s[40:41]
; %bb.13865:                            ;   in Loop: Header=BB6_13779 Depth=3
	v_cmp_lt_u64_e32 vcc, s[88:89], v[16:17]
	v_add_u32_e32 v4, 7, v19
	v_cndmask_b32_e32 v4, v5, v4, vcc
	v_cndmask_b32_e64 v5, 0, 1, vcc
	v_lshrrev_b64 v[16:17], v5, v[16:17]
; %bb.13866:                            ;   in Loop: Header=BB6_13779 Depth=3
	s_andn2_saveexec_b64 s[40:41], s[40:41]
; %bb.13867:                            ;   in Loop: Header=BB6_13779 Depth=3
	v_bfe_u32 v4, v16, 23, 1
; %bb.13868:                            ;   in Loop: Header=BB6_13779 Depth=3
	s_or_b64 exec, exec, s[40:41]
	v_lshrrev_b64 v[16:17], 20, v[16:17]
	v_cmp_gt_i32_e32 vcc, 16, v4
	v_cndmask_b32_e32 v17, 0, v17, vcc
	v_cndmask_b32_e32 v16, 7, v16, vcc
	v_cmp_eq_u32_e32 vcc, 0, v4
	v_min_i32_e32 v4, 15, v4
	v_cmp_eq_u64_e64 s[40:41], 0, v[16:17]
	v_lshlrev_b32_e32 v4, 3, v4
	v_and_b32_e32 v4, 0xf8, v4
	v_and_or_b32 v4, v16, 7, v4
	s_and_b64 s[40:41], vcc, s[40:41]
	v_cndmask_b32_e64 v4, v4, 0, s[40:41]
	v_or_b32_e32 v48, v4, v18
.LBB6_13869:                            ;   in Loop: Header=BB6_13779 Depth=3
	s_or_b64 exec, exec, s[48:49]
                                        ; implicit-def: $vgpr18
.LBB6_13870:                            ;   in Loop: Header=BB6_13779 Depth=3
	s_andn2_saveexec_b64 s[40:41], s[38:39]
; %bb.13871:                            ;   in Loop: Header=BB6_13779 Depth=3
	v_or_b32_e32 v48, 0x7e, v18
; %bb.13872:                            ;   in Loop: Header=BB6_13779 Depth=3
	s_or_b64 exec, exec, s[40:41]
                                        ; implicit-def: $vgpr4
.LBB6_13873:                            ;   in Loop: Header=BB6_13779 Depth=3
	s_andn2_saveexec_b64 s[40:41], s[42:43]
; %bb.13874:                            ;   in Loop: Header=BB6_13779 Depth=3
	v_or_b32_sdwa v48, v4, s86 dst_sel:DWORD dst_unused:UNUSED_PAD src0_sel:BYTE_3 src1_sel:DWORD
; %bb.13875:                            ;   in Loop: Header=BB6_13779 Depth=3
	s_or_b64 exec, exec, s[40:41]
	v_mov_b32_e32 v16, v9
	v_mov_b32_e32 v17, v51
	v_cmp_ne_u16_sdwa s[42:43], v9, v51 src0_sel:BYTE_0 src1_sel:DWORD
	v_mov_b32_e32 v4, 0
	s_and_saveexec_b64 s[40:41], s[42:43]
	s_cbranch_execz .LBB6_13881
; %bb.13876:                            ;   in Loop: Header=BB6_13779 Depth=3
	v_cmp_ne_u16_sdwa vcc, v9, s96 src0_sel:BYTE_0 src1_sel:DWORD
	v_bfrev_b32_e32 v4, 1
	s_and_saveexec_b64 s[42:43], vcc
	s_cbranch_execz .LBB6_13880
; %bb.13877:                            ;   in Loop: Header=BB6_13779 Depth=3
	v_and_b32_e32 v5, 0x7f, v9
	v_cmp_ne_u32_e32 vcc, s86, v5
	v_mov_b32_e32 v4, 0x7f800001
	s_and_saveexec_b64 s[38:39], vcc
	s_cbranch_execz .LBB6_13879
; %bb.13878:                            ;   in Loop: Header=BB6_13779 Depth=3
	v_and_b32_e32 v4, 7, v9
	v_ffbh_u32_e32 v4, v4
	v_min_u32_e32 v4, 32, v4
	v_lshrrev_b32_e32 v18, 3, v5
	v_cmp_gt_u32_e32 vcc, 8, v5
	v_subrev_u32_e32 v5, 28, v4
	v_sub_u32_e32 v4, 29, v4
	v_cndmask_b32_e32 v18, v18, v4, vcc
	v_cndmask_b32_e32 v4, 0, v5, vcc
	v_lshlrev_b64 v[4:5], v4, v[16:17]
	v_lshlrev_b32_e32 v5, 24, v16
	v_lshlrev_b32_e32 v4, 20, v4
	v_bfrev_b32_e32 v17, 60
	v_and_b32_e32 v4, 0x700000, v4
	v_and_b32_e32 v5, 0x80000000, v5
	v_lshl_add_u32 v17, v18, 23, v17
	v_or3_b32 v4, v5, v17, v4
.LBB6_13879:                            ;   in Loop: Header=BB6_13779 Depth=3
	s_or_b64 exec, exec, s[38:39]
.LBB6_13880:                            ;   in Loop: Header=BB6_13779 Depth=3
	s_or_b64 exec, exec, s[42:43]
.LBB6_13881:                            ;   in Loop: Header=BB6_13779 Depth=3
	s_or_b64 exec, exec, s[40:41]
	v_mul_f32_e32 v4, v27, v4
	v_and_b32_e32 v17, 0x7f800000, v4
	v_mov_b32_e32 v18, v51
	v_cmp_ne_u64_e32 vcc, s[76:77], v[17:18]
                                        ; implicit-def: $vgpr19
	s_and_saveexec_b64 s[40:41], vcc
	s_xor_b64 s[42:43], exec, s[40:41]
	s_cbranch_execz .LBB6_13895
; %bb.13882:                            ;   in Loop: Header=BB6_13779 Depth=3
	v_and_b32_e32 v17, 0x7fffffff, v4
	v_mov_b32_e32 v18, v51
	v_cmp_gt_u64_e32 vcc, s[78:79], v[17:18]
	v_and_b32_sdwa v26, v4, s96 dst_sel:DWORD dst_unused:UNUSED_PAD src0_sel:BYTE_3 src1_sel:DWORD
                                        ; implicit-def: $vgpr19
	s_and_saveexec_b64 s[40:41], vcc
	s_xor_b64 s[38:39], exec, s[40:41]
	s_cbranch_execz .LBB6_13892
; %bb.13883:                            ;   in Loop: Header=BB6_13779 Depth=3
	v_mov_b32_e32 v19, 0
	v_cmp_ne_u32_e32 vcc, 0, v4
	s_and_saveexec_b64 s[48:49], vcc
	s_cbranch_execz .LBB6_13891
; %bb.13884:                            ;   in Loop: Header=BB6_13779 Depth=3
	v_bfe_u32 v19, v4, 23, 8
	v_and_b32_e32 v5, 0x7fffff, v4
	v_cmp_gt_u32_e64 s[40:41], s97, v19
	v_sub_u32_e32 v4, 0x79, v19
	v_cmp_eq_u32_e32 vcc, 0, v19
	v_cndmask_b32_e64 v4, 0, v4, s[40:41]
	v_mov_b32_e32 v18, 0x78
	v_or_b32_e32 v17, 0x800000, v5
	v_cndmask_b32_e32 v28, v4, v18, vcc
	v_cndmask_b32_e32 v4, v17, v5, vcc
	v_add_u32_e32 v17, 20, v28
	v_lshlrev_b64 v[17:18], v17, -1
	v_add_u32_e32 v29, 19, v28
	v_lshlrev_b64 v[31:32], v29, 1
	v_mov_b32_e32 v5, v51
	v_bfi_b32 v18, v18, 0, 0
	v_bfi_b32 v17, v17, 0, v4
	v_cmp_eq_u64_e64 s[40:41], v[17:18], v[31:32]
	v_lshrrev_b64 v[17:18], v28, v[4:5]
	v_mov_b32_e32 v4, v17
	v_mov_b32_e32 v5, v18
	s_and_saveexec_b64 s[50:51], s[40:41]
; %bb.13885:                            ;   in Loop: Header=BB6_13779 Depth=3
	v_bfe_u32 v4, v17, 20, 1
	v_add_co_u32_e64 v4, s[40:41], v17, v4
	v_add_co_u32_e64 v4, s[40:41], -1, v4
; %bb.13886:                            ;   in Loop: Header=BB6_13779 Depth=3
	s_or_b64 exec, exec, s[50:51]
	v_add_u32_e32 v5, 0xffffff81, v19
	v_mov_b32_e32 v18, 0xffffff82
	v_cndmask_b32_e32 v5, v5, v18, vcc
	v_lshrrev_b32_e32 v18, 23, v17
	v_add3_u32 v19, v28, v5, v18
	v_add_u32_e32 v5, 6, v19
	v_and_b32_e32 v4, 0xfffff, v4
	v_add_u32_e32 v17, v4, v17
	v_mov_b32_e32 v18, v51
	v_cmp_ne_u32_e32 vcc, 0, v5
                                        ; implicit-def: $vgpr4
	s_and_saveexec_b64 s[40:41], vcc
	s_xor_b64 s[40:41], exec, s[40:41]
; %bb.13887:                            ;   in Loop: Header=BB6_13779 Depth=3
	v_cmp_lt_u64_e32 vcc, s[88:89], v[17:18]
	v_add_u32_e32 v4, 7, v19
	v_cndmask_b32_e32 v4, v5, v4, vcc
	v_cndmask_b32_e64 v5, 0, 1, vcc
	v_lshrrev_b64 v[17:18], v5, v[17:18]
; %bb.13888:                            ;   in Loop: Header=BB6_13779 Depth=3
	s_andn2_saveexec_b64 s[40:41], s[40:41]
; %bb.13889:                            ;   in Loop: Header=BB6_13779 Depth=3
	v_bfe_u32 v4, v17, 23, 1
; %bb.13890:                            ;   in Loop: Header=BB6_13779 Depth=3
	s_or_b64 exec, exec, s[40:41]
	v_lshrrev_b64 v[17:18], 20, v[17:18]
	v_cmp_gt_i32_e32 vcc, 16, v4
	v_cndmask_b32_e32 v18, 0, v18, vcc
	v_cndmask_b32_e32 v17, 7, v17, vcc
	v_cmp_eq_u32_e32 vcc, 0, v4
	v_min_i32_e32 v4, 15, v4
	v_cmp_eq_u64_e64 s[40:41], 0, v[17:18]
	v_lshlrev_b32_e32 v4, 3, v4
	v_and_b32_e32 v4, 0xf8, v4
	v_and_or_b32 v4, v17, 7, v4
	s_and_b64 s[40:41], vcc, s[40:41]
	v_cndmask_b32_e64 v4, v4, 0, s[40:41]
	v_or_b32_e32 v19, v4, v26
.LBB6_13891:                            ;   in Loop: Header=BB6_13779 Depth=3
	s_or_b64 exec, exec, s[48:49]
                                        ; implicit-def: $vgpr26
.LBB6_13892:                            ;   in Loop: Header=BB6_13779 Depth=3
	s_andn2_saveexec_b64 s[40:41], s[38:39]
; %bb.13893:                            ;   in Loop: Header=BB6_13779 Depth=3
	v_or_b32_e32 v19, 0x7e, v26
; %bb.13894:                            ;   in Loop: Header=BB6_13779 Depth=3
	s_or_b64 exec, exec, s[40:41]
                                        ; implicit-def: $vgpr4
.LBB6_13895:                            ;   in Loop: Header=BB6_13779 Depth=3
	s_andn2_saveexec_b64 s[40:41], s[42:43]
; %bb.13896:                            ;   in Loop: Header=BB6_13779 Depth=3
	v_or_b32_sdwa v19, v4, s86 dst_sel:DWORD dst_unused:UNUSED_PAD src0_sel:BYTE_3 src1_sel:DWORD
; %bb.13897:                            ;   in Loop: Header=BB6_13779 Depth=3
	s_or_b64 exec, exec, s[40:41]
	v_lshrrev_b16_e32 v17, 8, v16
	v_cmp_ne_u16_e32 vcc, 0, v17
	v_mov_b32_e32 v4, 0
	s_and_saveexec_b64 s[40:41], vcc
	s_cbranch_execz .LBB6_13903
; %bb.13898:                            ;   in Loop: Header=BB6_13779 Depth=3
	v_cmp_ne_u16_e32 vcc, s96, v17
	v_bfrev_b32_e32 v4, 1
	s_and_saveexec_b64 s[42:43], vcc
	s_cbranch_execz .LBB6_13902
; %bb.13899:                            ;   in Loop: Header=BB6_13779 Depth=3
	v_and_b32_e32 v5, 0x7f, v17
	v_cmp_ne_u32_e32 vcc, s86, v5
	v_mov_b32_e32 v4, 0x7f800001
	s_and_saveexec_b64 s[38:39], vcc
	s_cbranch_execz .LBB6_13901
; %bb.13900:                            ;   in Loop: Header=BB6_13779 Depth=3
	v_and_b32_e32 v18, 7, v17
	v_ffbh_u32_e32 v4, v18
	v_min_u32_e32 v28, 32, v4
	v_subrev_u32_e32 v4, 28, v28
	v_lshrrev_b32_e32 v26, 3, v5
	v_cmp_gt_u32_e32 vcc, 8, v5
	v_lshlrev_b64 v[4:5], v4, v[17:18]
	v_sub_u32_e32 v5, 29, v28
	v_and_b32_e32 v4, 7, v4
	v_cndmask_b32_e32 v5, v26, v5, vcc
	v_cndmask_b32_e32 v4, v18, v4, vcc
	v_lshlrev_b32_e32 v16, 16, v16
	v_bfrev_b32_e32 v17, 60
	v_lshlrev_b32_e32 v4, 20, v4
	v_and_b32_e32 v16, 0x80000000, v16
	v_lshl_add_u32 v5, v5, 23, v17
	v_or3_b32 v4, v16, v5, v4
.LBB6_13901:                            ;   in Loop: Header=BB6_13779 Depth=3
	s_or_b64 exec, exec, s[38:39]
.LBB6_13902:                            ;   in Loop: Header=BB6_13779 Depth=3
	s_or_b64 exec, exec, s[42:43]
.LBB6_13903:                            ;   in Loop: Header=BB6_13779 Depth=3
	s_or_b64 exec, exec, s[40:41]
	v_mul_f32_e32 v4, v27, v4
	v_and_b32_e32 v16, 0x7f800000, v4
	v_mov_b32_e32 v17, v51
	v_cmp_ne_u64_e32 vcc, s[76:77], v[16:17]
                                        ; implicit-def: $vgpr36
	s_and_saveexec_b64 s[40:41], vcc
	s_xor_b64 s[42:43], exec, s[40:41]
	s_cbranch_execz .LBB6_13917
; %bb.13904:                            ;   in Loop: Header=BB6_13779 Depth=3
	v_and_b32_e32 v16, 0x7fffffff, v4
	v_mov_b32_e32 v17, v51
	v_cmp_gt_u64_e32 vcc, s[78:79], v[16:17]
	v_and_b32_sdwa v18, v4, s96 dst_sel:DWORD dst_unused:UNUSED_PAD src0_sel:BYTE_3 src1_sel:DWORD
                                        ; implicit-def: $vgpr36
	s_and_saveexec_b64 s[40:41], vcc
	s_xor_b64 s[38:39], exec, s[40:41]
	s_cbranch_execz .LBB6_13914
; %bb.13905:                            ;   in Loop: Header=BB6_13779 Depth=3
	v_mov_b32_e32 v36, 0
	v_cmp_ne_u32_e32 vcc, 0, v4
	s_and_saveexec_b64 s[48:49], vcc
	s_cbranch_execz .LBB6_13913
; %bb.13906:                            ;   in Loop: Header=BB6_13779 Depth=3
	v_bfe_u32 v26, v4, 23, 8
	v_and_b32_e32 v5, 0x7fffff, v4
	v_cmp_gt_u32_e64 s[40:41], s97, v26
	v_sub_u32_e32 v4, 0x79, v26
	v_cmp_eq_u32_e32 vcc, 0, v26
	v_cndmask_b32_e64 v4, 0, v4, s[40:41]
	v_mov_b32_e32 v17, 0x78
	v_or_b32_e32 v16, 0x800000, v5
	v_cndmask_b32_e32 v28, v4, v17, vcc
	v_cndmask_b32_e32 v4, v16, v5, vcc
	v_add_u32_e32 v16, 20, v28
	v_lshlrev_b64 v[16:17], v16, -1
	v_add_u32_e32 v29, 19, v28
	v_lshlrev_b64 v[31:32], v29, 1
	v_mov_b32_e32 v5, v51
	v_bfi_b32 v17, v17, 0, 0
	v_bfi_b32 v16, v16, 0, v4
	v_cmp_eq_u64_e64 s[40:41], v[16:17], v[31:32]
	v_lshrrev_b64 v[16:17], v28, v[4:5]
	v_mov_b32_e32 v4, v16
	v_mov_b32_e32 v5, v17
	s_and_saveexec_b64 s[50:51], s[40:41]
; %bb.13907:                            ;   in Loop: Header=BB6_13779 Depth=3
	v_bfe_u32 v4, v16, 20, 1
	v_add_co_u32_e64 v4, s[40:41], v16, v4
	v_add_co_u32_e64 v4, s[40:41], -1, v4
; %bb.13908:                            ;   in Loop: Header=BB6_13779 Depth=3
	s_or_b64 exec, exec, s[50:51]
	v_add_u32_e32 v5, 0xffffff81, v26
	v_mov_b32_e32 v17, 0xffffff82
	v_cndmask_b32_e32 v5, v5, v17, vcc
	v_lshrrev_b32_e32 v17, 23, v16
	v_add3_u32 v26, v28, v5, v17
	v_add_u32_e32 v5, 6, v26
	v_and_b32_e32 v4, 0xfffff, v4
	v_add_u32_e32 v16, v4, v16
	v_mov_b32_e32 v17, v51
	v_cmp_ne_u32_e32 vcc, 0, v5
                                        ; implicit-def: $vgpr4
	s_and_saveexec_b64 s[40:41], vcc
	s_xor_b64 s[40:41], exec, s[40:41]
; %bb.13909:                            ;   in Loop: Header=BB6_13779 Depth=3
	v_cmp_lt_u64_e32 vcc, s[88:89], v[16:17]
	v_add_u32_e32 v4, 7, v26
	v_cndmask_b32_e32 v4, v5, v4, vcc
	v_cndmask_b32_e64 v5, 0, 1, vcc
	v_lshrrev_b64 v[16:17], v5, v[16:17]
; %bb.13910:                            ;   in Loop: Header=BB6_13779 Depth=3
	s_andn2_saveexec_b64 s[40:41], s[40:41]
; %bb.13911:                            ;   in Loop: Header=BB6_13779 Depth=3
	v_bfe_u32 v4, v16, 23, 1
; %bb.13912:                            ;   in Loop: Header=BB6_13779 Depth=3
	s_or_b64 exec, exec, s[40:41]
	v_lshrrev_b64 v[16:17], 20, v[16:17]
	v_cmp_gt_i32_e32 vcc, 16, v4
	v_cndmask_b32_e32 v17, 0, v17, vcc
	v_cndmask_b32_e32 v16, 7, v16, vcc
	v_cmp_eq_u32_e32 vcc, 0, v4
	v_min_i32_e32 v4, 15, v4
	v_cmp_eq_u64_e64 s[40:41], 0, v[16:17]
	v_lshlrev_b32_e32 v4, 3, v4
	v_and_b32_e32 v4, 0xf8, v4
	v_and_or_b32 v4, v16, 7, v4
	s_and_b64 s[40:41], vcc, s[40:41]
	v_cndmask_b32_e64 v4, v4, 0, s[40:41]
	v_or_b32_e32 v36, v4, v18
.LBB6_13913:                            ;   in Loop: Header=BB6_13779 Depth=3
	s_or_b64 exec, exec, s[48:49]
                                        ; implicit-def: $vgpr18
.LBB6_13914:                            ;   in Loop: Header=BB6_13779 Depth=3
	s_andn2_saveexec_b64 s[40:41], s[38:39]
; %bb.13915:                            ;   in Loop: Header=BB6_13779 Depth=3
	v_or_b32_e32 v36, 0x7e, v18
; %bb.13916:                            ;   in Loop: Header=BB6_13779 Depth=3
	s_or_b64 exec, exec, s[40:41]
                                        ; implicit-def: $vgpr4
.LBB6_13917:                            ;   in Loop: Header=BB6_13779 Depth=3
	s_andn2_saveexec_b64 s[40:41], s[42:43]
; %bb.13918:                            ;   in Loop: Header=BB6_13779 Depth=3
	v_or_b32_sdwa v36, v4, s86 dst_sel:DWORD dst_unused:UNUSED_PAD src0_sel:BYTE_3 src1_sel:DWORD
; %bb.13919:                            ;   in Loop: Header=BB6_13779 Depth=3
	s_or_b64 exec, exec, s[40:41]
	v_lshrrev_b32_e32 v16, 16, v9
	v_cmp_ne_u16_sdwa s[42:43], v16, v51 src0_sel:BYTE_0 src1_sel:DWORD
	v_mov_b32_e32 v4, 0
	s_and_saveexec_b64 s[40:41], s[42:43]
	s_cbranch_execz .LBB6_13925
; %bb.13920:                            ;   in Loop: Header=BB6_13779 Depth=3
	v_cmp_ne_u16_sdwa vcc, v16, s96 src0_sel:BYTE_0 src1_sel:DWORD
	v_bfrev_b32_e32 v4, 1
	s_and_saveexec_b64 s[42:43], vcc
	s_cbranch_execz .LBB6_13924
; %bb.13921:                            ;   in Loop: Header=BB6_13779 Depth=3
	v_bfe_u32 v5, v9, 16, 7
	v_cmp_ne_u32_e32 vcc, s86, v5
	v_mov_b32_e32 v4, 0x7f800001
	s_and_saveexec_b64 s[38:39], vcc
	s_cbranch_execz .LBB6_13923
; %bb.13922:                            ;   in Loop: Header=BB6_13779 Depth=3
	v_and_b32_e32 v17, 7, v16
	v_ffbh_u32_e32 v4, v17
	v_min_u32_e32 v26, 32, v4
	v_subrev_u32_e32 v4, 28, v26
	v_lshrrev_b32_e32 v18, 3, v5
	v_cmp_gt_u32_e32 vcc, 8, v5
	v_lshlrev_b64 v[4:5], v4, v[16:17]
	v_sub_u32_e32 v5, 29, v26
	v_and_b32_e32 v4, 7, v4
	v_cndmask_b32_e32 v5, v18, v5, vcc
	v_cndmask_b32_e32 v4, v17, v4, vcc
	v_lshlrev_b32_e32 v16, 24, v16
	v_bfrev_b32_e32 v17, 60
	v_lshlrev_b32_e32 v4, 20, v4
	v_and_b32_e32 v16, 0x80000000, v16
	v_lshl_add_u32 v5, v5, 23, v17
	v_or3_b32 v4, v16, v5, v4
.LBB6_13923:                            ;   in Loop: Header=BB6_13779 Depth=3
	s_or_b64 exec, exec, s[38:39]
.LBB6_13924:                            ;   in Loop: Header=BB6_13779 Depth=3
	s_or_b64 exec, exec, s[42:43]
.LBB6_13925:                            ;   in Loop: Header=BB6_13779 Depth=3
	s_or_b64 exec, exec, s[40:41]
	v_mul_f32_e32 v4, v27, v4
	v_and_b32_e32 v16, 0x7f800000, v4
	v_mov_b32_e32 v17, v51
	v_cmp_ne_u64_e32 vcc, s[76:77], v[16:17]
                                        ; implicit-def: $vgpr38
	s_and_saveexec_b64 s[40:41], vcc
	s_xor_b64 s[42:43], exec, s[40:41]
	s_cbranch_execz .LBB6_13939
; %bb.13926:                            ;   in Loop: Header=BB6_13779 Depth=3
	v_and_b32_e32 v16, 0x7fffffff, v4
	v_mov_b32_e32 v17, v51
	v_cmp_gt_u64_e32 vcc, s[78:79], v[16:17]
	v_and_b32_sdwa v18, v4, s96 dst_sel:DWORD dst_unused:UNUSED_PAD src0_sel:BYTE_3 src1_sel:DWORD
                                        ; implicit-def: $vgpr38
	s_and_saveexec_b64 s[40:41], vcc
	s_xor_b64 s[38:39], exec, s[40:41]
	s_cbranch_execz .LBB6_13936
; %bb.13927:                            ;   in Loop: Header=BB6_13779 Depth=3
	v_mov_b32_e32 v38, 0
	v_cmp_ne_u32_e32 vcc, 0, v4
	s_and_saveexec_b64 s[48:49], vcc
	s_cbranch_execz .LBB6_13935
; %bb.13928:                            ;   in Loop: Header=BB6_13779 Depth=3
	v_bfe_u32 v26, v4, 23, 8
	v_and_b32_e32 v5, 0x7fffff, v4
	v_cmp_gt_u32_e64 s[40:41], s97, v26
	v_sub_u32_e32 v4, 0x79, v26
	v_cmp_eq_u32_e32 vcc, 0, v26
	v_cndmask_b32_e64 v4, 0, v4, s[40:41]
	v_mov_b32_e32 v17, 0x78
	v_or_b32_e32 v16, 0x800000, v5
	v_cndmask_b32_e32 v28, v4, v17, vcc
	v_cndmask_b32_e32 v4, v16, v5, vcc
	v_add_u32_e32 v16, 20, v28
	v_lshlrev_b64 v[16:17], v16, -1
	v_add_u32_e32 v29, 19, v28
	v_lshlrev_b64 v[31:32], v29, 1
	v_mov_b32_e32 v5, v51
	v_bfi_b32 v17, v17, 0, 0
	v_bfi_b32 v16, v16, 0, v4
	v_cmp_eq_u64_e64 s[40:41], v[16:17], v[31:32]
	v_lshrrev_b64 v[16:17], v28, v[4:5]
	v_mov_b32_e32 v4, v16
	v_mov_b32_e32 v5, v17
	s_and_saveexec_b64 s[50:51], s[40:41]
; %bb.13929:                            ;   in Loop: Header=BB6_13779 Depth=3
	v_bfe_u32 v4, v16, 20, 1
	v_add_co_u32_e64 v4, s[40:41], v16, v4
	v_add_co_u32_e64 v4, s[40:41], -1, v4
; %bb.13930:                            ;   in Loop: Header=BB6_13779 Depth=3
	s_or_b64 exec, exec, s[50:51]
	v_add_u32_e32 v5, 0xffffff81, v26
	v_mov_b32_e32 v17, 0xffffff82
	v_cndmask_b32_e32 v5, v5, v17, vcc
	v_lshrrev_b32_e32 v17, 23, v16
	v_add3_u32 v26, v28, v5, v17
	v_add_u32_e32 v5, 6, v26
	v_and_b32_e32 v4, 0xfffff, v4
	v_add_u32_e32 v16, v4, v16
	v_mov_b32_e32 v17, v51
	v_cmp_ne_u32_e32 vcc, 0, v5
                                        ; implicit-def: $vgpr4
	s_and_saveexec_b64 s[40:41], vcc
	s_xor_b64 s[40:41], exec, s[40:41]
; %bb.13931:                            ;   in Loop: Header=BB6_13779 Depth=3
	v_cmp_lt_u64_e32 vcc, s[88:89], v[16:17]
	v_add_u32_e32 v4, 7, v26
	v_cndmask_b32_e32 v4, v5, v4, vcc
	v_cndmask_b32_e64 v5, 0, 1, vcc
	v_lshrrev_b64 v[16:17], v5, v[16:17]
; %bb.13932:                            ;   in Loop: Header=BB6_13779 Depth=3
	s_andn2_saveexec_b64 s[40:41], s[40:41]
; %bb.13933:                            ;   in Loop: Header=BB6_13779 Depth=3
	v_bfe_u32 v4, v16, 23, 1
; %bb.13934:                            ;   in Loop: Header=BB6_13779 Depth=3
	s_or_b64 exec, exec, s[40:41]
	v_lshrrev_b64 v[16:17], 20, v[16:17]
	v_cmp_gt_i32_e32 vcc, 16, v4
	v_cndmask_b32_e32 v17, 0, v17, vcc
	v_cndmask_b32_e32 v16, 7, v16, vcc
	v_cmp_eq_u32_e32 vcc, 0, v4
	v_min_i32_e32 v4, 15, v4
	v_cmp_eq_u64_e64 s[40:41], 0, v[16:17]
	v_lshlrev_b32_e32 v4, 3, v4
	v_and_b32_e32 v4, 0xf8, v4
	v_and_or_b32 v4, v16, 7, v4
	s_and_b64 s[40:41], vcc, s[40:41]
	v_cndmask_b32_e64 v4, v4, 0, s[40:41]
	v_or_b32_e32 v38, v4, v18
.LBB6_13935:                            ;   in Loop: Header=BB6_13779 Depth=3
	s_or_b64 exec, exec, s[48:49]
                                        ; implicit-def: $vgpr18
.LBB6_13936:                            ;   in Loop: Header=BB6_13779 Depth=3
	s_andn2_saveexec_b64 s[40:41], s[38:39]
; %bb.13937:                            ;   in Loop: Header=BB6_13779 Depth=3
	v_or_b32_e32 v38, 0x7e, v18
; %bb.13938:                            ;   in Loop: Header=BB6_13779 Depth=3
	s_or_b64 exec, exec, s[40:41]
                                        ; implicit-def: $vgpr4
.LBB6_13939:                            ;   in Loop: Header=BB6_13779 Depth=3
	s_andn2_saveexec_b64 s[40:41], s[42:43]
; %bb.13940:                            ;   in Loop: Header=BB6_13779 Depth=3
	v_or_b32_sdwa v38, v4, s86 dst_sel:DWORD dst_unused:UNUSED_PAD src0_sel:BYTE_3 src1_sel:DWORD
; %bb.13941:                            ;   in Loop: Header=BB6_13779 Depth=3
	s_or_b64 exec, exec, s[40:41]
	v_cmp_lt_u64_e32 vcc, s[56:57], v[8:9]
	v_mov_b32_e32 v4, 0
	s_and_saveexec_b64 s[40:41], vcc
	s_cbranch_execz .LBB6_13947
; %bb.13942:                            ;   in Loop: Header=BB6_13779 Depth=3
	v_lshrrev_b32_e32 v8, 24, v9
	v_cmp_ne_u32_e32 vcc, s96, v8
	v_bfrev_b32_e32 v4, 1
	s_and_saveexec_b64 s[42:43], vcc
	s_cbranch_execz .LBB6_13946
; %bb.13943:                            ;   in Loop: Header=BB6_13779 Depth=3
	v_bfe_u32 v5, v9, 24, 7
	v_cmp_ne_u32_e32 vcc, s86, v5
	v_mov_b32_e32 v4, 0x7f800001
	s_and_saveexec_b64 s[38:39], vcc
	s_cbranch_execz .LBB6_13945
; %bb.13944:                            ;   in Loop: Header=BB6_13779 Depth=3
	v_and_b32_e32 v9, 7, v8
	v_ffbh_u32_e32 v4, v9
	v_min_u32_e32 v17, 32, v4
	v_subrev_u32_e32 v4, 28, v17
	v_lshrrev_b32_e32 v16, 3, v5
	v_cmp_gt_u32_e32 vcc, 8, v5
	v_lshlrev_b64 v[4:5], v4, v[8:9]
	v_sub_u32_e32 v5, 29, v17
	v_and_b32_e32 v4, 7, v4
	v_cndmask_b32_e32 v5, v16, v5, vcc
	v_cndmask_b32_e32 v4, v9, v4, vcc
	v_lshlrev_b32_e32 v8, 24, v8
	v_bfrev_b32_e32 v9, 60
	v_lshlrev_b32_e32 v4, 20, v4
	v_and_b32_e32 v8, 0x80000000, v8
	v_lshl_add_u32 v5, v5, 23, v9
	v_or3_b32 v4, v8, v5, v4
.LBB6_13945:                            ;   in Loop: Header=BB6_13779 Depth=3
	s_or_b64 exec, exec, s[38:39]
.LBB6_13946:                            ;   in Loop: Header=BB6_13779 Depth=3
	s_or_b64 exec, exec, s[42:43]
.LBB6_13947:                            ;   in Loop: Header=BB6_13779 Depth=3
	s_or_b64 exec, exec, s[40:41]
	v_mul_f32_e32 v4, v27, v4
	v_and_b32_e32 v8, 0x7f800000, v4
	v_mov_b32_e32 v9, v51
	v_cmp_ne_u64_e32 vcc, s[76:77], v[8:9]
                                        ; implicit-def: $vgpr39
	s_and_saveexec_b64 s[40:41], vcc
	s_xor_b64 s[42:43], exec, s[40:41]
	s_cbranch_execz .LBB6_13961
; %bb.13948:                            ;   in Loop: Header=BB6_13779 Depth=3
	v_and_b32_e32 v8, 0x7fffffff, v4
	v_mov_b32_e32 v9, v51
	v_cmp_gt_u64_e32 vcc, s[78:79], v[8:9]
	v_and_b32_sdwa v16, v4, s96 dst_sel:DWORD dst_unused:UNUSED_PAD src0_sel:BYTE_3 src1_sel:DWORD
                                        ; implicit-def: $vgpr39
	s_and_saveexec_b64 s[40:41], vcc
	s_xor_b64 s[38:39], exec, s[40:41]
	s_cbranch_execz .LBB6_13958
; %bb.13949:                            ;   in Loop: Header=BB6_13779 Depth=3
	v_mov_b32_e32 v39, 0
	v_cmp_ne_u32_e32 vcc, 0, v4
	s_and_saveexec_b64 s[48:49], vcc
	s_cbranch_execz .LBB6_13957
; %bb.13950:                            ;   in Loop: Header=BB6_13779 Depth=3
	v_bfe_u32 v17, v4, 23, 8
	v_and_b32_e32 v5, 0x7fffff, v4
	v_cmp_gt_u32_e64 s[40:41], s97, v17
	v_sub_u32_e32 v4, 0x79, v17
	v_cmp_eq_u32_e32 vcc, 0, v17
	v_cndmask_b32_e64 v4, 0, v4, s[40:41]
	v_mov_b32_e32 v9, 0x78
	v_or_b32_e32 v8, 0x800000, v5
	v_cndmask_b32_e32 v18, v4, v9, vcc
	v_cndmask_b32_e32 v4, v8, v5, vcc
	v_add_u32_e32 v8, 20, v18
	v_lshlrev_b64 v[8:9], v8, -1
	v_add_u32_e32 v26, 19, v18
	v_lshlrev_b64 v[28:29], v26, 1
	v_mov_b32_e32 v5, v51
	v_bfi_b32 v9, v9, 0, 0
	v_bfi_b32 v8, v8, 0, v4
	v_cmp_eq_u64_e64 s[40:41], v[8:9], v[28:29]
	v_lshrrev_b64 v[8:9], v18, v[4:5]
	v_mov_b32_e32 v4, v8
	v_mov_b32_e32 v5, v9
	s_and_saveexec_b64 s[50:51], s[40:41]
; %bb.13951:                            ;   in Loop: Header=BB6_13779 Depth=3
	v_bfe_u32 v4, v8, 20, 1
	v_add_co_u32_e64 v4, s[40:41], v8, v4
	v_add_co_u32_e64 v4, s[40:41], -1, v4
; %bb.13952:                            ;   in Loop: Header=BB6_13779 Depth=3
	s_or_b64 exec, exec, s[50:51]
	v_add_u32_e32 v5, 0xffffff81, v17
	v_mov_b32_e32 v9, 0xffffff82
	v_cndmask_b32_e32 v5, v5, v9, vcc
	v_lshrrev_b32_e32 v9, 23, v8
	v_add3_u32 v17, v18, v5, v9
	v_add_u32_e32 v5, 6, v17
	v_and_b32_e32 v4, 0xfffff, v4
	v_add_u32_e32 v8, v4, v8
	v_mov_b32_e32 v9, v51
	v_cmp_ne_u32_e32 vcc, 0, v5
                                        ; implicit-def: $vgpr4
	s_and_saveexec_b64 s[40:41], vcc
	s_xor_b64 s[40:41], exec, s[40:41]
; %bb.13953:                            ;   in Loop: Header=BB6_13779 Depth=3
	v_cmp_lt_u64_e32 vcc, s[88:89], v[8:9]
	v_add_u32_e32 v4, 7, v17
	v_cndmask_b32_e32 v4, v5, v4, vcc
	v_cndmask_b32_e64 v5, 0, 1, vcc
	v_lshrrev_b64 v[8:9], v5, v[8:9]
; %bb.13954:                            ;   in Loop: Header=BB6_13779 Depth=3
	s_andn2_saveexec_b64 s[40:41], s[40:41]
; %bb.13955:                            ;   in Loop: Header=BB6_13779 Depth=3
	v_bfe_u32 v4, v8, 23, 1
; %bb.13956:                            ;   in Loop: Header=BB6_13779 Depth=3
	s_or_b64 exec, exec, s[40:41]
	v_lshrrev_b64 v[8:9], 20, v[8:9]
	v_cmp_gt_i32_e32 vcc, 16, v4
	v_cndmask_b32_e32 v9, 0, v9, vcc
	v_cndmask_b32_e32 v8, 7, v8, vcc
	v_cmp_eq_u32_e32 vcc, 0, v4
	v_min_i32_e32 v4, 15, v4
	v_cmp_eq_u64_e64 s[40:41], 0, v[8:9]
	v_lshlrev_b32_e32 v4, 3, v4
	v_and_b32_e32 v4, 0xf8, v4
	v_and_or_b32 v4, v8, 7, v4
	s_and_b64 s[40:41], vcc, s[40:41]
	v_cndmask_b32_e64 v4, v4, 0, s[40:41]
	v_or_b32_e32 v39, v4, v16
.LBB6_13957:                            ;   in Loop: Header=BB6_13779 Depth=3
	s_or_b64 exec, exec, s[48:49]
                                        ; implicit-def: $vgpr16
.LBB6_13958:                            ;   in Loop: Header=BB6_13779 Depth=3
	s_andn2_saveexec_b64 s[40:41], s[38:39]
; %bb.13959:                            ;   in Loop: Header=BB6_13779 Depth=3
	v_or_b32_e32 v39, 0x7e, v16
; %bb.13960:                            ;   in Loop: Header=BB6_13779 Depth=3
	s_or_b64 exec, exec, s[40:41]
                                        ; implicit-def: $vgpr4
.LBB6_13961:                            ;   in Loop: Header=BB6_13779 Depth=3
	s_andn2_saveexec_b64 s[40:41], s[42:43]
; %bb.13962:                            ;   in Loop: Header=BB6_13779 Depth=3
	v_or_b32_sdwa v39, v4, s86 dst_sel:DWORD dst_unused:UNUSED_PAD src0_sel:BYTE_3 src1_sel:DWORD
; %bb.13963:                            ;   in Loop: Header=BB6_13779 Depth=3
	s_or_b64 exec, exec, s[40:41]
	v_cmp_ne_u16_sdwa s[42:43], v10, v51 src0_sel:BYTE_0 src1_sel:DWORD
	v_mov_b32_e32 v4, 0
	s_and_saveexec_b64 s[40:41], s[42:43]
	s_cbranch_execz .LBB6_13969
; %bb.13964:                            ;   in Loop: Header=BB6_13779 Depth=3
	v_cmp_ne_u16_sdwa vcc, v10, s96 src0_sel:BYTE_0 src1_sel:DWORD
	v_bfrev_b32_e32 v4, 1
	s_and_saveexec_b64 s[42:43], vcc
	s_cbranch_execz .LBB6_13968
; %bb.13965:                            ;   in Loop: Header=BB6_13779 Depth=3
	v_and_b32_e32 v5, 0x7f, v10
	v_cmp_ne_u32_e32 vcc, s86, v5
	v_mov_b32_e32 v4, 0x7f800001
	s_and_saveexec_b64 s[38:39], vcc
	s_cbranch_execz .LBB6_13967
; %bb.13966:                            ;   in Loop: Header=BB6_13779 Depth=3
	v_and_b32_e32 v4, 7, v10
	v_ffbh_u32_e32 v4, v4
	v_min_u32_e32 v4, 32, v4
	v_lshrrev_b32_e32 v8, 3, v5
	v_cmp_gt_u32_e32 vcc, 8, v5
	v_subrev_u32_e32 v5, 28, v4
	v_sub_u32_e32 v4, 29, v4
	v_cndmask_b32_e32 v8, v8, v4, vcc
	v_cndmask_b32_e32 v4, 0, v5, vcc
	v_lshlrev_b64 v[4:5], v4, v[10:11]
	v_lshlrev_b32_e32 v5, 24, v10
	v_lshlrev_b32_e32 v4, 20, v4
	v_bfrev_b32_e32 v9, 60
	v_and_b32_e32 v4, 0x700000, v4
	v_and_b32_e32 v5, 0x80000000, v5
	v_lshl_add_u32 v8, v8, 23, v9
	v_or3_b32 v4, v5, v8, v4
.LBB6_13967:                            ;   in Loop: Header=BB6_13779 Depth=3
	s_or_b64 exec, exec, s[38:39]
.LBB6_13968:                            ;   in Loop: Header=BB6_13779 Depth=3
	s_or_b64 exec, exec, s[42:43]
.LBB6_13969:                            ;   in Loop: Header=BB6_13779 Depth=3
	s_or_b64 exec, exec, s[40:41]
	v_mul_f32_e32 v4, v27, v4
	v_and_b32_e32 v8, 0x7f800000, v4
	v_mov_b32_e32 v9, v51
	v_cmp_ne_u64_e32 vcc, s[76:77], v[8:9]
                                        ; implicit-def: $vgpr28
	s_and_saveexec_b64 s[40:41], vcc
	s_xor_b64 s[42:43], exec, s[40:41]
	s_cbranch_execz .LBB6_13983
; %bb.13970:                            ;   in Loop: Header=BB6_13779 Depth=3
	v_and_b32_e32 v8, 0x7fffffff, v4
	v_mov_b32_e32 v9, v51
	v_cmp_gt_u64_e32 vcc, s[78:79], v[8:9]
	v_and_b32_sdwa v16, v4, s96 dst_sel:DWORD dst_unused:UNUSED_PAD src0_sel:BYTE_3 src1_sel:DWORD
                                        ; implicit-def: $vgpr28
	s_and_saveexec_b64 s[40:41], vcc
	s_xor_b64 s[38:39], exec, s[40:41]
	s_cbranch_execz .LBB6_13980
; %bb.13971:                            ;   in Loop: Header=BB6_13779 Depth=3
	v_mov_b32_e32 v28, 0
	v_cmp_ne_u32_e32 vcc, 0, v4
	s_and_saveexec_b64 s[48:49], vcc
	s_cbranch_execz .LBB6_13979
; %bb.13972:                            ;   in Loop: Header=BB6_13779 Depth=3
	v_bfe_u32 v17, v4, 23, 8
	v_and_b32_e32 v5, 0x7fffff, v4
	v_cmp_gt_u32_e64 s[40:41], s97, v17
	v_sub_u32_e32 v4, 0x79, v17
	v_cmp_eq_u32_e32 vcc, 0, v17
	v_cndmask_b32_e64 v4, 0, v4, s[40:41]
	v_mov_b32_e32 v9, 0x78
	v_or_b32_e32 v8, 0x800000, v5
	v_cndmask_b32_e32 v18, v4, v9, vcc
	v_cndmask_b32_e32 v4, v8, v5, vcc
	v_add_u32_e32 v8, 20, v18
	v_lshlrev_b64 v[8:9], v8, -1
	v_add_u32_e32 v26, 19, v18
	v_lshlrev_b64 v[28:29], v26, 1
	v_mov_b32_e32 v5, v51
	v_bfi_b32 v9, v9, 0, 0
	v_bfi_b32 v8, v8, 0, v4
	v_cmp_eq_u64_e64 s[40:41], v[8:9], v[28:29]
	v_lshrrev_b64 v[8:9], v18, v[4:5]
	v_mov_b32_e32 v4, v8
	v_mov_b32_e32 v5, v9
	s_and_saveexec_b64 s[50:51], s[40:41]
; %bb.13973:                            ;   in Loop: Header=BB6_13779 Depth=3
	v_bfe_u32 v4, v8, 20, 1
	v_add_co_u32_e64 v4, s[40:41], v8, v4
	v_add_co_u32_e64 v4, s[40:41], -1, v4
; %bb.13974:                            ;   in Loop: Header=BB6_13779 Depth=3
	s_or_b64 exec, exec, s[50:51]
	v_add_u32_e32 v5, 0xffffff81, v17
	v_mov_b32_e32 v9, 0xffffff82
	v_cndmask_b32_e32 v5, v5, v9, vcc
	v_lshrrev_b32_e32 v9, 23, v8
	v_add3_u32 v17, v18, v5, v9
	v_add_u32_e32 v5, 6, v17
	v_and_b32_e32 v4, 0xfffff, v4
	v_add_u32_e32 v8, v4, v8
	v_mov_b32_e32 v9, v51
	v_cmp_ne_u32_e32 vcc, 0, v5
                                        ; implicit-def: $vgpr4
	s_and_saveexec_b64 s[40:41], vcc
	s_xor_b64 s[40:41], exec, s[40:41]
; %bb.13975:                            ;   in Loop: Header=BB6_13779 Depth=3
	v_cmp_lt_u64_e32 vcc, s[88:89], v[8:9]
	v_add_u32_e32 v4, 7, v17
	v_cndmask_b32_e32 v4, v5, v4, vcc
	v_cndmask_b32_e64 v5, 0, 1, vcc
	v_lshrrev_b64 v[8:9], v5, v[8:9]
; %bb.13976:                            ;   in Loop: Header=BB6_13779 Depth=3
	s_andn2_saveexec_b64 s[40:41], s[40:41]
; %bb.13977:                            ;   in Loop: Header=BB6_13779 Depth=3
	v_bfe_u32 v4, v8, 23, 1
; %bb.13978:                            ;   in Loop: Header=BB6_13779 Depth=3
	s_or_b64 exec, exec, s[40:41]
	v_lshrrev_b64 v[8:9], 20, v[8:9]
	v_cmp_gt_i32_e32 vcc, 16, v4
	v_cndmask_b32_e32 v9, 0, v9, vcc
	v_cndmask_b32_e32 v8, 7, v8, vcc
	v_cmp_eq_u32_e32 vcc, 0, v4
	v_min_i32_e32 v4, 15, v4
	v_cmp_eq_u64_e64 s[40:41], 0, v[8:9]
	v_lshlrev_b32_e32 v4, 3, v4
	v_and_b32_e32 v4, 0xf8, v4
	v_and_or_b32 v4, v8, 7, v4
	s_and_b64 s[40:41], vcc, s[40:41]
	v_cndmask_b32_e64 v4, v4, 0, s[40:41]
	v_or_b32_e32 v28, v4, v16
.LBB6_13979:                            ;   in Loop: Header=BB6_13779 Depth=3
	s_or_b64 exec, exec, s[48:49]
                                        ; implicit-def: $vgpr16
.LBB6_13980:                            ;   in Loop: Header=BB6_13779 Depth=3
	s_andn2_saveexec_b64 s[40:41], s[38:39]
; %bb.13981:                            ;   in Loop: Header=BB6_13779 Depth=3
	v_or_b32_e32 v28, 0x7e, v16
; %bb.13982:                            ;   in Loop: Header=BB6_13779 Depth=3
	s_or_b64 exec, exec, s[40:41]
                                        ; implicit-def: $vgpr4
.LBB6_13983:                            ;   in Loop: Header=BB6_13779 Depth=3
	s_andn2_saveexec_b64 s[40:41], s[42:43]
; %bb.13984:                            ;   in Loop: Header=BB6_13779 Depth=3
	v_or_b32_sdwa v28, v4, s86 dst_sel:DWORD dst_unused:UNUSED_PAD src0_sel:BYTE_3 src1_sel:DWORD
; %bb.13985:                            ;   in Loop: Header=BB6_13779 Depth=3
	s_or_b64 exec, exec, s[40:41]
	v_lshrrev_b16_e32 v8, 8, v10
	v_cmp_ne_u16_e32 vcc, 0, v8
	v_mov_b32_e32 v4, 0
	s_and_saveexec_b64 s[40:41], vcc
	s_cbranch_execz .LBB6_13991
; %bb.13986:                            ;   in Loop: Header=BB6_13779 Depth=3
	v_cmp_ne_u16_e32 vcc, s96, v8
	v_bfrev_b32_e32 v4, 1
	s_and_saveexec_b64 s[42:43], vcc
	s_cbranch_execz .LBB6_13990
; %bb.13987:                            ;   in Loop: Header=BB6_13779 Depth=3
	v_and_b32_e32 v5, 0x7f, v8
	v_cmp_ne_u32_e32 vcc, s86, v5
	v_mov_b32_e32 v4, 0x7f800001
	s_and_saveexec_b64 s[38:39], vcc
	s_cbranch_execz .LBB6_13989
; %bb.13988:                            ;   in Loop: Header=BB6_13779 Depth=3
	v_and_b32_e32 v9, 7, v8
	v_ffbh_u32_e32 v4, v9
	v_min_u32_e32 v17, 32, v4
	v_subrev_u32_e32 v4, 28, v17
	v_lshrrev_b32_e32 v16, 3, v5
	v_cmp_gt_u32_e32 vcc, 8, v5
	v_lshlrev_b64 v[4:5], v4, v[8:9]
	v_sub_u32_e32 v5, 29, v17
	v_and_b32_e32 v4, 7, v4
	v_cndmask_b32_e32 v5, v16, v5, vcc
	v_cndmask_b32_e32 v4, v9, v4, vcc
	v_lshlrev_b32_e32 v8, 16, v10
	v_bfrev_b32_e32 v9, 60
	v_lshlrev_b32_e32 v4, 20, v4
	v_and_b32_e32 v8, 0x80000000, v8
	v_lshl_add_u32 v5, v5, 23, v9
	v_or3_b32 v4, v8, v5, v4
.LBB6_13989:                            ;   in Loop: Header=BB6_13779 Depth=3
	s_or_b64 exec, exec, s[38:39]
.LBB6_13990:                            ;   in Loop: Header=BB6_13779 Depth=3
	s_or_b64 exec, exec, s[42:43]
.LBB6_13991:                            ;   in Loop: Header=BB6_13779 Depth=3
	s_or_b64 exec, exec, s[40:41]
	v_mul_f32_e32 v4, v27, v4
	v_and_b32_e32 v8, 0x7f800000, v4
	v_mov_b32_e32 v9, v51
	v_cmp_ne_u64_e32 vcc, s[76:77], v[8:9]
                                        ; implicit-def: $vgpr32
	s_and_saveexec_b64 s[40:41], vcc
	s_xor_b64 s[42:43], exec, s[40:41]
	s_cbranch_execz .LBB6_14005
; %bb.13992:                            ;   in Loop: Header=BB6_13779 Depth=3
	v_and_b32_e32 v8, 0x7fffffff, v4
	v_mov_b32_e32 v9, v51
	v_cmp_gt_u64_e32 vcc, s[78:79], v[8:9]
	v_and_b32_sdwa v16, v4, s96 dst_sel:DWORD dst_unused:UNUSED_PAD src0_sel:BYTE_3 src1_sel:DWORD
                                        ; implicit-def: $vgpr32
	s_and_saveexec_b64 s[40:41], vcc
	s_xor_b64 s[38:39], exec, s[40:41]
	s_cbranch_execz .LBB6_14002
; %bb.13993:                            ;   in Loop: Header=BB6_13779 Depth=3
	v_mov_b32_e32 v32, 0
	v_cmp_ne_u32_e32 vcc, 0, v4
	s_and_saveexec_b64 s[48:49], vcc
	s_cbranch_execz .LBB6_14001
; %bb.13994:                            ;   in Loop: Header=BB6_13779 Depth=3
	v_bfe_u32 v17, v4, 23, 8
	v_and_b32_e32 v5, 0x7fffff, v4
	v_cmp_gt_u32_e64 s[40:41], s97, v17
	v_sub_u32_e32 v4, 0x79, v17
	v_cmp_eq_u32_e32 vcc, 0, v17
	v_cndmask_b32_e64 v4, 0, v4, s[40:41]
	v_mov_b32_e32 v9, 0x78
	v_or_b32_e32 v8, 0x800000, v5
	v_cndmask_b32_e32 v18, v4, v9, vcc
	v_cndmask_b32_e32 v4, v8, v5, vcc
	v_add_u32_e32 v8, 20, v18
	v_lshlrev_b64 v[8:9], v8, -1
	v_add_u32_e32 v26, 19, v18
	v_lshlrev_b64 v[31:32], v26, 1
	v_mov_b32_e32 v5, v51
	v_bfi_b32 v9, v9, 0, 0
	v_bfi_b32 v8, v8, 0, v4
	v_cmp_eq_u64_e64 s[40:41], v[8:9], v[31:32]
	v_lshrrev_b64 v[8:9], v18, v[4:5]
	v_mov_b32_e32 v4, v8
	v_mov_b32_e32 v5, v9
	s_and_saveexec_b64 s[50:51], s[40:41]
; %bb.13995:                            ;   in Loop: Header=BB6_13779 Depth=3
	v_bfe_u32 v4, v8, 20, 1
	v_add_co_u32_e64 v4, s[40:41], v8, v4
	v_add_co_u32_e64 v4, s[40:41], -1, v4
; %bb.13996:                            ;   in Loop: Header=BB6_13779 Depth=3
	s_or_b64 exec, exec, s[50:51]
	v_add_u32_e32 v5, 0xffffff81, v17
	v_mov_b32_e32 v9, 0xffffff82
	v_cndmask_b32_e32 v5, v5, v9, vcc
	v_lshrrev_b32_e32 v9, 23, v8
	v_add3_u32 v17, v18, v5, v9
	v_add_u32_e32 v5, 6, v17
	v_and_b32_e32 v4, 0xfffff, v4
	v_add_u32_e32 v8, v4, v8
	v_mov_b32_e32 v9, v51
	v_cmp_ne_u32_e32 vcc, 0, v5
                                        ; implicit-def: $vgpr4
	s_and_saveexec_b64 s[40:41], vcc
	s_xor_b64 s[40:41], exec, s[40:41]
; %bb.13997:                            ;   in Loop: Header=BB6_13779 Depth=3
	v_cmp_lt_u64_e32 vcc, s[88:89], v[8:9]
	v_add_u32_e32 v4, 7, v17
	v_cndmask_b32_e32 v4, v5, v4, vcc
	v_cndmask_b32_e64 v5, 0, 1, vcc
	v_lshrrev_b64 v[8:9], v5, v[8:9]
; %bb.13998:                            ;   in Loop: Header=BB6_13779 Depth=3
	s_andn2_saveexec_b64 s[40:41], s[40:41]
; %bb.13999:                            ;   in Loop: Header=BB6_13779 Depth=3
	v_bfe_u32 v4, v8, 23, 1
; %bb.14000:                            ;   in Loop: Header=BB6_13779 Depth=3
	s_or_b64 exec, exec, s[40:41]
	v_lshrrev_b64 v[8:9], 20, v[8:9]
	v_cmp_gt_i32_e32 vcc, 16, v4
	v_cndmask_b32_e32 v9, 0, v9, vcc
	v_cndmask_b32_e32 v8, 7, v8, vcc
	v_cmp_eq_u32_e32 vcc, 0, v4
	v_min_i32_e32 v4, 15, v4
	v_cmp_eq_u64_e64 s[40:41], 0, v[8:9]
	v_lshlrev_b32_e32 v4, 3, v4
	v_and_b32_e32 v4, 0xf8, v4
	v_and_or_b32 v4, v8, 7, v4
	s_and_b64 s[40:41], vcc, s[40:41]
	v_cndmask_b32_e64 v4, v4, 0, s[40:41]
	v_or_b32_e32 v32, v4, v16
.LBB6_14001:                            ;   in Loop: Header=BB6_13779 Depth=3
	s_or_b64 exec, exec, s[48:49]
                                        ; implicit-def: $vgpr16
.LBB6_14002:                            ;   in Loop: Header=BB6_13779 Depth=3
	s_andn2_saveexec_b64 s[40:41], s[38:39]
; %bb.14003:                            ;   in Loop: Header=BB6_13779 Depth=3
	v_or_b32_e32 v32, 0x7e, v16
; %bb.14004:                            ;   in Loop: Header=BB6_13779 Depth=3
	s_or_b64 exec, exec, s[40:41]
                                        ; implicit-def: $vgpr4
.LBB6_14005:                            ;   in Loop: Header=BB6_13779 Depth=3
	s_andn2_saveexec_b64 s[40:41], s[42:43]
; %bb.14006:                            ;   in Loop: Header=BB6_13779 Depth=3
	v_or_b32_sdwa v32, v4, s86 dst_sel:DWORD dst_unused:UNUSED_PAD src0_sel:BYTE_3 src1_sel:DWORD
; %bb.14007:                            ;   in Loop: Header=BB6_13779 Depth=3
	s_or_b64 exec, exec, s[40:41]
	v_lshrrev_b32_e32 v8, 16, v10
	v_cmp_ne_u16_sdwa s[42:43], v8, v51 src0_sel:BYTE_0 src1_sel:DWORD
	v_mov_b32_e32 v4, 0
	s_and_saveexec_b64 s[40:41], s[42:43]
	s_cbranch_execz .LBB6_14013
; %bb.14008:                            ;   in Loop: Header=BB6_13779 Depth=3
	v_cmp_ne_u16_sdwa vcc, v8, s96 src0_sel:BYTE_0 src1_sel:DWORD
	v_bfrev_b32_e32 v4, 1
	s_and_saveexec_b64 s[42:43], vcc
	s_cbranch_execz .LBB6_14012
; %bb.14009:                            ;   in Loop: Header=BB6_13779 Depth=3
	v_bfe_u32 v5, v10, 16, 7
	v_cmp_ne_u32_e32 vcc, s86, v5
	v_mov_b32_e32 v4, 0x7f800001
	s_and_saveexec_b64 s[38:39], vcc
	s_cbranch_execz .LBB6_14011
; %bb.14010:                            ;   in Loop: Header=BB6_13779 Depth=3
	v_and_b32_e32 v9, 7, v8
	v_ffbh_u32_e32 v4, v9
	v_min_u32_e32 v17, 32, v4
	v_subrev_u32_e32 v4, 28, v17
	v_lshrrev_b32_e32 v16, 3, v5
	v_cmp_gt_u32_e32 vcc, 8, v5
	v_lshlrev_b64 v[4:5], v4, v[8:9]
	v_sub_u32_e32 v5, 29, v17
	v_and_b32_e32 v4, 7, v4
	v_cndmask_b32_e32 v5, v16, v5, vcc
	v_cndmask_b32_e32 v4, v9, v4, vcc
	v_lshlrev_b32_e32 v8, 24, v8
	v_bfrev_b32_e32 v9, 60
	v_lshlrev_b32_e32 v4, 20, v4
	v_and_b32_e32 v8, 0x80000000, v8
	v_lshl_add_u32 v5, v5, 23, v9
	v_or3_b32 v4, v8, v5, v4
.LBB6_14011:                            ;   in Loop: Header=BB6_13779 Depth=3
	s_or_b64 exec, exec, s[38:39]
.LBB6_14012:                            ;   in Loop: Header=BB6_13779 Depth=3
	s_or_b64 exec, exec, s[42:43]
.LBB6_14013:                            ;   in Loop: Header=BB6_13779 Depth=3
	s_or_b64 exec, exec, s[40:41]
	v_mul_f32_e32 v4, v27, v4
	v_and_b32_e32 v8, 0x7f800000, v4
	v_mov_b32_e32 v9, v51
	v_cmp_ne_u64_e32 vcc, s[76:77], v[8:9]
                                        ; implicit-def: $vgpr35
	s_and_saveexec_b64 s[40:41], vcc
	s_xor_b64 s[42:43], exec, s[40:41]
	s_cbranch_execz .LBB6_14027
; %bb.14014:                            ;   in Loop: Header=BB6_13779 Depth=3
	v_and_b32_e32 v8, 0x7fffffff, v4
	v_mov_b32_e32 v9, v51
	v_cmp_gt_u64_e32 vcc, s[78:79], v[8:9]
	v_and_b32_sdwa v16, v4, s96 dst_sel:DWORD dst_unused:UNUSED_PAD src0_sel:BYTE_3 src1_sel:DWORD
                                        ; implicit-def: $vgpr35
	s_and_saveexec_b64 s[40:41], vcc
	s_xor_b64 s[38:39], exec, s[40:41]
	s_cbranch_execz .LBB6_14024
; %bb.14015:                            ;   in Loop: Header=BB6_13779 Depth=3
	v_mov_b32_e32 v35, 0
	v_cmp_ne_u32_e32 vcc, 0, v4
	s_and_saveexec_b64 s[48:49], vcc
	s_cbranch_execz .LBB6_14023
; %bb.14016:                            ;   in Loop: Header=BB6_13779 Depth=3
	v_bfe_u32 v17, v4, 23, 8
	v_and_b32_e32 v5, 0x7fffff, v4
	v_cmp_gt_u32_e64 s[40:41], s97, v17
	v_sub_u32_e32 v4, 0x79, v17
	v_cmp_eq_u32_e32 vcc, 0, v17
	v_cndmask_b32_e64 v4, 0, v4, s[40:41]
	v_mov_b32_e32 v9, 0x78
	v_or_b32_e32 v8, 0x800000, v5
	v_cndmask_b32_e32 v18, v4, v9, vcc
	v_cndmask_b32_e32 v4, v8, v5, vcc
	v_add_u32_e32 v8, 20, v18
	v_lshlrev_b64 v[8:9], v8, -1
	v_add_u32_e32 v26, 19, v18
	v_lshlrev_b64 v[34:35], v26, 1
	v_mov_b32_e32 v5, v51
	v_bfi_b32 v9, v9, 0, 0
	v_bfi_b32 v8, v8, 0, v4
	v_cmp_eq_u64_e64 s[40:41], v[8:9], v[34:35]
	v_lshrrev_b64 v[8:9], v18, v[4:5]
	v_mov_b32_e32 v4, v8
	v_mov_b32_e32 v5, v9
	s_and_saveexec_b64 s[50:51], s[40:41]
; %bb.14017:                            ;   in Loop: Header=BB6_13779 Depth=3
	v_bfe_u32 v4, v8, 20, 1
	v_add_co_u32_e64 v4, s[40:41], v8, v4
	v_add_co_u32_e64 v4, s[40:41], -1, v4
; %bb.14018:                            ;   in Loop: Header=BB6_13779 Depth=3
	s_or_b64 exec, exec, s[50:51]
	v_add_u32_e32 v5, 0xffffff81, v17
	v_mov_b32_e32 v9, 0xffffff82
	v_cndmask_b32_e32 v5, v5, v9, vcc
	v_lshrrev_b32_e32 v9, 23, v8
	v_add3_u32 v17, v18, v5, v9
	v_add_u32_e32 v5, 6, v17
	v_and_b32_e32 v4, 0xfffff, v4
	v_add_u32_e32 v8, v4, v8
	v_mov_b32_e32 v9, v51
	v_cmp_ne_u32_e32 vcc, 0, v5
                                        ; implicit-def: $vgpr4
	s_and_saveexec_b64 s[40:41], vcc
	s_xor_b64 s[40:41], exec, s[40:41]
; %bb.14019:                            ;   in Loop: Header=BB6_13779 Depth=3
	v_cmp_lt_u64_e32 vcc, s[88:89], v[8:9]
	v_add_u32_e32 v4, 7, v17
	v_cndmask_b32_e32 v4, v5, v4, vcc
	v_cndmask_b32_e64 v5, 0, 1, vcc
	v_lshrrev_b64 v[8:9], v5, v[8:9]
; %bb.14020:                            ;   in Loop: Header=BB6_13779 Depth=3
	s_andn2_saveexec_b64 s[40:41], s[40:41]
; %bb.14021:                            ;   in Loop: Header=BB6_13779 Depth=3
	v_bfe_u32 v4, v8, 23, 1
; %bb.14022:                            ;   in Loop: Header=BB6_13779 Depth=3
	s_or_b64 exec, exec, s[40:41]
	v_lshrrev_b64 v[8:9], 20, v[8:9]
	v_cmp_gt_i32_e32 vcc, 16, v4
	v_cndmask_b32_e32 v9, 0, v9, vcc
	v_cndmask_b32_e32 v8, 7, v8, vcc
	v_cmp_eq_u32_e32 vcc, 0, v4
	v_min_i32_e32 v4, 15, v4
	v_cmp_eq_u64_e64 s[40:41], 0, v[8:9]
	v_lshlrev_b32_e32 v4, 3, v4
	v_and_b32_e32 v4, 0xf8, v4
	v_and_or_b32 v4, v8, 7, v4
	s_and_b64 s[40:41], vcc, s[40:41]
	v_cndmask_b32_e64 v4, v4, 0, s[40:41]
	v_or_b32_e32 v35, v4, v16
.LBB6_14023:                            ;   in Loop: Header=BB6_13779 Depth=3
	s_or_b64 exec, exec, s[48:49]
                                        ; implicit-def: $vgpr16
.LBB6_14024:                            ;   in Loop: Header=BB6_13779 Depth=3
	s_andn2_saveexec_b64 s[40:41], s[38:39]
; %bb.14025:                            ;   in Loop: Header=BB6_13779 Depth=3
	v_or_b32_e32 v35, 0x7e, v16
; %bb.14026:                            ;   in Loop: Header=BB6_13779 Depth=3
	s_or_b64 exec, exec, s[40:41]
                                        ; implicit-def: $vgpr4
.LBB6_14027:                            ;   in Loop: Header=BB6_13779 Depth=3
	s_andn2_saveexec_b64 s[40:41], s[42:43]
; %bb.14028:                            ;   in Loop: Header=BB6_13779 Depth=3
	v_or_b32_sdwa v35, v4, s86 dst_sel:DWORD dst_unused:UNUSED_PAD src0_sel:BYTE_3 src1_sel:DWORD
; %bb.14029:                            ;   in Loop: Header=BB6_13779 Depth=3
	s_or_b64 exec, exec, s[40:41]
	v_cmp_lt_u32_e32 vcc, s57, v10
	v_mov_b32_e32 v4, 0
	s_and_saveexec_b64 s[40:41], vcc
	s_cbranch_execz .LBB6_14035
; %bb.14030:                            ;   in Loop: Header=BB6_13779 Depth=3
	v_lshrrev_b32_e32 v8, 24, v10
	v_cmp_ne_u32_e32 vcc, s96, v8
	v_bfrev_b32_e32 v4, 1
	s_and_saveexec_b64 s[42:43], vcc
	s_cbranch_execz .LBB6_14034
; %bb.14031:                            ;   in Loop: Header=BB6_13779 Depth=3
	v_bfe_u32 v5, v10, 24, 7
	v_cmp_ne_u32_e32 vcc, s86, v5
	v_mov_b32_e32 v4, 0x7f800001
	s_and_saveexec_b64 s[38:39], vcc
	s_cbranch_execz .LBB6_14033
; %bb.14032:                            ;   in Loop: Header=BB6_13779 Depth=3
	v_and_b32_e32 v9, 7, v8
	v_ffbh_u32_e32 v4, v9
	v_min_u32_e32 v17, 32, v4
	v_subrev_u32_e32 v4, 28, v17
	v_lshrrev_b32_e32 v16, 3, v5
	v_cmp_gt_u32_e32 vcc, 8, v5
	v_lshlrev_b64 v[4:5], v4, v[8:9]
	v_sub_u32_e32 v5, 29, v17
	v_and_b32_e32 v4, 7, v4
	v_cndmask_b32_e32 v5, v16, v5, vcc
	v_cndmask_b32_e32 v4, v9, v4, vcc
	v_lshlrev_b32_e32 v8, 24, v8
	v_bfrev_b32_e32 v9, 60
	v_lshlrev_b32_e32 v4, 20, v4
	v_and_b32_e32 v8, 0x80000000, v8
	v_lshl_add_u32 v5, v5, 23, v9
	v_or3_b32 v4, v8, v5, v4
.LBB6_14033:                            ;   in Loop: Header=BB6_13779 Depth=3
	s_or_b64 exec, exec, s[38:39]
.LBB6_14034:                            ;   in Loop: Header=BB6_13779 Depth=3
	s_or_b64 exec, exec, s[42:43]
.LBB6_14035:                            ;   in Loop: Header=BB6_13779 Depth=3
	s_or_b64 exec, exec, s[40:41]
	v_mul_f32_e32 v4, v27, v4
	v_and_b32_e32 v8, 0x7f800000, v4
	v_mov_b32_e32 v9, v51
	v_cmp_ne_u64_e32 vcc, s[76:77], v[8:9]
                                        ; implicit-def: $vgpr37
	s_and_saveexec_b64 s[40:41], vcc
	s_xor_b64 s[42:43], exec, s[40:41]
	s_cbranch_execz .LBB6_14049
; %bb.14036:                            ;   in Loop: Header=BB6_13779 Depth=3
	v_and_b32_e32 v8, 0x7fffffff, v4
	v_mov_b32_e32 v9, v51
	v_cmp_gt_u64_e32 vcc, s[78:79], v[8:9]
	v_and_b32_sdwa v16, v4, s96 dst_sel:DWORD dst_unused:UNUSED_PAD src0_sel:BYTE_3 src1_sel:DWORD
                                        ; implicit-def: $vgpr37
	s_and_saveexec_b64 s[40:41], vcc
	s_xor_b64 s[38:39], exec, s[40:41]
	s_cbranch_execz .LBB6_14046
; %bb.14037:                            ;   in Loop: Header=BB6_13779 Depth=3
	v_mov_b32_e32 v37, 0
	v_cmp_ne_u32_e32 vcc, 0, v4
	s_and_saveexec_b64 s[48:49], vcc
	s_cbranch_execz .LBB6_14045
; %bb.14038:                            ;   in Loop: Header=BB6_13779 Depth=3
	v_bfe_u32 v17, v4, 23, 8
	v_and_b32_e32 v5, 0x7fffff, v4
	v_cmp_gt_u32_e64 s[40:41], s97, v17
	v_sub_u32_e32 v4, 0x79, v17
	v_cmp_eq_u32_e32 vcc, 0, v17
	v_cndmask_b32_e64 v4, 0, v4, s[40:41]
	v_mov_b32_e32 v9, 0x78
	v_or_b32_e32 v8, 0x800000, v5
	v_cndmask_b32_e32 v18, v4, v9, vcc
	v_cndmask_b32_e32 v4, v8, v5, vcc
	v_add_u32_e32 v8, 20, v18
	v_lshlrev_b64 v[8:9], v8, -1
	v_add_u32_e32 v26, 19, v18
	v_lshlrev_b64 v[49:50], v26, 1
	v_mov_b32_e32 v5, v51
	v_bfi_b32 v9, v9, 0, 0
	v_bfi_b32 v8, v8, 0, v4
	v_cmp_eq_u64_e64 s[40:41], v[8:9], v[49:50]
	v_lshrrev_b64 v[8:9], v18, v[4:5]
	v_mov_b32_e32 v4, v8
	v_mov_b32_e32 v5, v9
	s_and_saveexec_b64 s[50:51], s[40:41]
; %bb.14039:                            ;   in Loop: Header=BB6_13779 Depth=3
	v_bfe_u32 v4, v8, 20, 1
	v_add_co_u32_e64 v4, s[40:41], v8, v4
	v_add_co_u32_e64 v4, s[40:41], -1, v4
; %bb.14040:                            ;   in Loop: Header=BB6_13779 Depth=3
	s_or_b64 exec, exec, s[50:51]
	v_add_u32_e32 v5, 0xffffff81, v17
	v_mov_b32_e32 v9, 0xffffff82
	v_cndmask_b32_e32 v5, v5, v9, vcc
	v_lshrrev_b32_e32 v9, 23, v8
	v_add3_u32 v17, v18, v5, v9
	v_add_u32_e32 v5, 6, v17
	v_and_b32_e32 v4, 0xfffff, v4
	v_add_u32_e32 v8, v4, v8
	v_mov_b32_e32 v9, v51
	v_cmp_ne_u32_e32 vcc, 0, v5
                                        ; implicit-def: $vgpr4
	s_and_saveexec_b64 s[40:41], vcc
	s_xor_b64 s[40:41], exec, s[40:41]
; %bb.14041:                            ;   in Loop: Header=BB6_13779 Depth=3
	v_cmp_lt_u64_e32 vcc, s[88:89], v[8:9]
	v_add_u32_e32 v4, 7, v17
	v_cndmask_b32_e32 v4, v5, v4, vcc
	v_cndmask_b32_e64 v5, 0, 1, vcc
	v_lshrrev_b64 v[8:9], v5, v[8:9]
; %bb.14042:                            ;   in Loop: Header=BB6_13779 Depth=3
	s_andn2_saveexec_b64 s[40:41], s[40:41]
; %bb.14043:                            ;   in Loop: Header=BB6_13779 Depth=3
	v_bfe_u32 v4, v8, 23, 1
; %bb.14044:                            ;   in Loop: Header=BB6_13779 Depth=3
	s_or_b64 exec, exec, s[40:41]
	v_lshrrev_b64 v[8:9], 20, v[8:9]
	v_cmp_gt_i32_e32 vcc, 16, v4
	v_cndmask_b32_e32 v9, 0, v9, vcc
	v_cndmask_b32_e32 v8, 7, v8, vcc
	v_cmp_eq_u32_e32 vcc, 0, v4
	v_min_i32_e32 v4, 15, v4
	v_cmp_eq_u64_e64 s[40:41], 0, v[8:9]
	v_lshlrev_b32_e32 v4, 3, v4
	v_and_b32_e32 v4, 0xf8, v4
	v_and_or_b32 v4, v8, 7, v4
	s_and_b64 s[40:41], vcc, s[40:41]
	v_cndmask_b32_e64 v4, v4, 0, s[40:41]
	v_or_b32_e32 v37, v4, v16
.LBB6_14045:                            ;   in Loop: Header=BB6_13779 Depth=3
	s_or_b64 exec, exec, s[48:49]
                                        ; implicit-def: $vgpr16
.LBB6_14046:                            ;   in Loop: Header=BB6_13779 Depth=3
	s_andn2_saveexec_b64 s[40:41], s[38:39]
; %bb.14047:                            ;   in Loop: Header=BB6_13779 Depth=3
	v_or_b32_e32 v37, 0x7e, v16
; %bb.14048:                            ;   in Loop: Header=BB6_13779 Depth=3
	s_or_b64 exec, exec, s[40:41]
                                        ; implicit-def: $vgpr4
.LBB6_14049:                            ;   in Loop: Header=BB6_13779 Depth=3
	s_andn2_saveexec_b64 s[40:41], s[42:43]
; %bb.14050:                            ;   in Loop: Header=BB6_13779 Depth=3
	v_or_b32_sdwa v37, v4, s86 dst_sel:DWORD dst_unused:UNUSED_PAD src0_sel:BYTE_3 src1_sel:DWORD
; %bb.14051:                            ;   in Loop: Header=BB6_13779 Depth=3
	s_or_b64 exec, exec, s[40:41]
	v_mov_b32_e32 v8, v11
	v_mov_b32_e32 v9, v51
	v_cmp_ne_u16_sdwa s[42:43], v11, v51 src0_sel:BYTE_0 src1_sel:DWORD
	v_mov_b32_e32 v4, 0
	s_and_saveexec_b64 s[40:41], s[42:43]
	s_cbranch_execz .LBB6_14057
; %bb.14052:                            ;   in Loop: Header=BB6_13779 Depth=3
	v_cmp_ne_u16_sdwa vcc, v11, s96 src0_sel:BYTE_0 src1_sel:DWORD
	v_bfrev_b32_e32 v4, 1
	s_and_saveexec_b64 s[42:43], vcc
	s_cbranch_execz .LBB6_14056
; %bb.14053:                            ;   in Loop: Header=BB6_13779 Depth=3
	v_and_b32_e32 v5, 0x7f, v11
	v_cmp_ne_u32_e32 vcc, s86, v5
	v_mov_b32_e32 v4, 0x7f800001
	s_and_saveexec_b64 s[38:39], vcc
	s_cbranch_execz .LBB6_14055
; %bb.14054:                            ;   in Loop: Header=BB6_13779 Depth=3
	v_and_b32_e32 v4, 7, v11
	v_ffbh_u32_e32 v4, v4
	v_min_u32_e32 v4, 32, v4
	v_lshrrev_b32_e32 v16, 3, v5
	v_cmp_gt_u32_e32 vcc, 8, v5
	v_subrev_u32_e32 v5, 28, v4
	v_sub_u32_e32 v4, 29, v4
	v_cndmask_b32_e32 v16, v16, v4, vcc
	v_cndmask_b32_e32 v4, 0, v5, vcc
	v_lshlrev_b64 v[4:5], v4, v[8:9]
	v_lshlrev_b32_e32 v5, 24, v8
	v_lshlrev_b32_e32 v4, 20, v4
	v_bfrev_b32_e32 v9, 60
	v_and_b32_e32 v4, 0x700000, v4
	v_and_b32_e32 v5, 0x80000000, v5
	v_lshl_add_u32 v9, v16, 23, v9
	v_or3_b32 v4, v5, v9, v4
.LBB6_14055:                            ;   in Loop: Header=BB6_13779 Depth=3
	s_or_b64 exec, exec, s[38:39]
.LBB6_14056:                            ;   in Loop: Header=BB6_13779 Depth=3
	s_or_b64 exec, exec, s[42:43]
.LBB6_14057:                            ;   in Loop: Header=BB6_13779 Depth=3
	s_or_b64 exec, exec, s[40:41]
	v_mul_f32_e32 v4, v27, v4
	v_and_b32_e32 v16, 0x7f800000, v4
	v_mov_b32_e32 v17, v51
	v_cmp_ne_u64_e32 vcc, s[76:77], v[16:17]
                                        ; implicit-def: $vgpr26
	s_and_saveexec_b64 s[40:41], vcc
	s_xor_b64 s[42:43], exec, s[40:41]
	s_cbranch_execz .LBB6_14071
; %bb.14058:                            ;   in Loop: Header=BB6_13779 Depth=3
	v_and_b32_e32 v16, 0x7fffffff, v4
	v_mov_b32_e32 v17, v51
	v_cmp_gt_u64_e32 vcc, s[78:79], v[16:17]
	v_and_b32_sdwa v9, v4, s96 dst_sel:DWORD dst_unused:UNUSED_PAD src0_sel:BYTE_3 src1_sel:DWORD
                                        ; implicit-def: $vgpr26
	s_and_saveexec_b64 s[40:41], vcc
	s_xor_b64 s[38:39], exec, s[40:41]
	s_cbranch_execz .LBB6_14068
; %bb.14059:                            ;   in Loop: Header=BB6_13779 Depth=3
	v_mov_b32_e32 v26, 0
	v_cmp_ne_u32_e32 vcc, 0, v4
	s_and_saveexec_b64 s[48:49], vcc
	s_cbranch_execz .LBB6_14067
; %bb.14060:                            ;   in Loop: Header=BB6_13779 Depth=3
	v_bfe_u32 v18, v4, 23, 8
	v_and_b32_e32 v5, 0x7fffff, v4
	v_cmp_gt_u32_e64 s[40:41], s97, v18
	v_sub_u32_e32 v4, 0x79, v18
	v_cmp_eq_u32_e32 vcc, 0, v18
	v_cndmask_b32_e64 v4, 0, v4, s[40:41]
	v_mov_b32_e32 v17, 0x78
	v_or_b32_e32 v16, 0x800000, v5
	v_cndmask_b32_e32 v26, v4, v17, vcc
	v_cndmask_b32_e32 v4, v16, v5, vcc
	v_add_u32_e32 v16, 20, v26
	v_lshlrev_b64 v[16:17], v16, -1
	v_add_u32_e32 v29, 19, v26
	v_lshlrev_b64 v[49:50], v29, 1
	v_mov_b32_e32 v5, v51
	v_bfi_b32 v17, v17, 0, 0
	v_bfi_b32 v16, v16, 0, v4
	v_cmp_eq_u64_e64 s[40:41], v[16:17], v[49:50]
	v_lshrrev_b64 v[16:17], v26, v[4:5]
	v_mov_b32_e32 v4, v16
	v_mov_b32_e32 v5, v17
	s_and_saveexec_b64 s[50:51], s[40:41]
; %bb.14061:                            ;   in Loop: Header=BB6_13779 Depth=3
	v_bfe_u32 v4, v16, 20, 1
	v_add_co_u32_e64 v4, s[40:41], v16, v4
	v_add_co_u32_e64 v4, s[40:41], -1, v4
; %bb.14062:                            ;   in Loop: Header=BB6_13779 Depth=3
	s_or_b64 exec, exec, s[50:51]
	v_add_u32_e32 v5, 0xffffff81, v18
	v_mov_b32_e32 v17, 0xffffff82
	v_cndmask_b32_e32 v5, v5, v17, vcc
	v_lshrrev_b32_e32 v17, 23, v16
	v_add3_u32 v18, v26, v5, v17
	v_add_u32_e32 v5, 6, v18
	v_and_b32_e32 v4, 0xfffff, v4
	v_add_u32_e32 v16, v4, v16
	v_mov_b32_e32 v17, v51
	v_cmp_ne_u32_e32 vcc, 0, v5
                                        ; implicit-def: $vgpr4
	s_and_saveexec_b64 s[40:41], vcc
	s_xor_b64 s[40:41], exec, s[40:41]
; %bb.14063:                            ;   in Loop: Header=BB6_13779 Depth=3
	v_cmp_lt_u64_e32 vcc, s[88:89], v[16:17]
	v_add_u32_e32 v4, 7, v18
	v_cndmask_b32_e32 v4, v5, v4, vcc
	v_cndmask_b32_e64 v5, 0, 1, vcc
	v_lshrrev_b64 v[16:17], v5, v[16:17]
; %bb.14064:                            ;   in Loop: Header=BB6_13779 Depth=3
	s_andn2_saveexec_b64 s[40:41], s[40:41]
; %bb.14065:                            ;   in Loop: Header=BB6_13779 Depth=3
	v_bfe_u32 v4, v16, 23, 1
; %bb.14066:                            ;   in Loop: Header=BB6_13779 Depth=3
	s_or_b64 exec, exec, s[40:41]
	v_lshrrev_b64 v[16:17], 20, v[16:17]
	v_cmp_gt_i32_e32 vcc, 16, v4
	v_cndmask_b32_e32 v17, 0, v17, vcc
	v_cndmask_b32_e32 v16, 7, v16, vcc
	v_cmp_eq_u32_e32 vcc, 0, v4
	v_min_i32_e32 v4, 15, v4
	v_cmp_eq_u64_e64 s[40:41], 0, v[16:17]
	v_lshlrev_b32_e32 v4, 3, v4
	v_and_b32_e32 v4, 0xf8, v4
	v_and_or_b32 v4, v16, 7, v4
	s_and_b64 s[40:41], vcc, s[40:41]
	v_cndmask_b32_e64 v4, v4, 0, s[40:41]
	v_or_b32_e32 v26, v4, v9
.LBB6_14067:                            ;   in Loop: Header=BB6_13779 Depth=3
	s_or_b64 exec, exec, s[48:49]
                                        ; implicit-def: $vgpr9
.LBB6_14068:                            ;   in Loop: Header=BB6_13779 Depth=3
	s_andn2_saveexec_b64 s[40:41], s[38:39]
; %bb.14069:                            ;   in Loop: Header=BB6_13779 Depth=3
	v_or_b32_e32 v26, 0x7e, v9
; %bb.14070:                            ;   in Loop: Header=BB6_13779 Depth=3
	s_or_b64 exec, exec, s[40:41]
                                        ; implicit-def: $vgpr4
.LBB6_14071:                            ;   in Loop: Header=BB6_13779 Depth=3
	s_andn2_saveexec_b64 s[40:41], s[42:43]
; %bb.14072:                            ;   in Loop: Header=BB6_13779 Depth=3
	v_or_b32_sdwa v26, v4, s86 dst_sel:DWORD dst_unused:UNUSED_PAD src0_sel:BYTE_3 src1_sel:DWORD
; %bb.14073:                            ;   in Loop: Header=BB6_13779 Depth=3
	s_or_b64 exec, exec, s[40:41]
	v_lshrrev_b16_e32 v9, 8, v8
	v_cmp_ne_u16_e32 vcc, 0, v9
	v_mov_b32_e32 v4, 0
	s_and_saveexec_b64 s[40:41], vcc
	s_cbranch_execz .LBB6_14079
; %bb.14074:                            ;   in Loop: Header=BB6_13779 Depth=3
	v_cmp_ne_u16_e32 vcc, s96, v9
	v_bfrev_b32_e32 v4, 1
	s_and_saveexec_b64 s[42:43], vcc
	s_cbranch_execz .LBB6_14078
; %bb.14075:                            ;   in Loop: Header=BB6_13779 Depth=3
	v_and_b32_e32 v5, 0x7f, v9
	v_cmp_ne_u32_e32 vcc, s86, v5
	v_mov_b32_e32 v4, 0x7f800001
	s_and_saveexec_b64 s[38:39], vcc
	s_cbranch_execz .LBB6_14077
; %bb.14076:                            ;   in Loop: Header=BB6_13779 Depth=3
	v_and_b32_e32 v16, 7, v9
	v_ffbh_u32_e32 v4, v16
	v_min_u32_e32 v18, 32, v4
	v_subrev_u32_e32 v4, 28, v18
	v_lshrrev_b32_e32 v17, 3, v5
	v_cmp_gt_u32_e32 vcc, 8, v5
	v_lshlrev_b64 v[4:5], v4, v[9:10]
	v_sub_u32_e32 v5, 29, v18
	v_and_b32_e32 v4, 7, v4
	v_cndmask_b32_e32 v5, v17, v5, vcc
	v_cndmask_b32_e32 v4, v16, v4, vcc
	v_lshlrev_b32_e32 v8, 16, v8
	v_bfrev_b32_e32 v9, 60
	v_lshlrev_b32_e32 v4, 20, v4
	v_and_b32_e32 v8, 0x80000000, v8
	v_lshl_add_u32 v5, v5, 23, v9
	v_or3_b32 v4, v8, v5, v4
.LBB6_14077:                            ;   in Loop: Header=BB6_13779 Depth=3
	s_or_b64 exec, exec, s[38:39]
.LBB6_14078:                            ;   in Loop: Header=BB6_13779 Depth=3
	s_or_b64 exec, exec, s[42:43]
.LBB6_14079:                            ;   in Loop: Header=BB6_13779 Depth=3
	s_or_b64 exec, exec, s[40:41]
	v_mul_f32_e32 v4, v27, v4
	v_and_b32_e32 v8, 0x7f800000, v4
	v_mov_b32_e32 v9, v51
	v_cmp_ne_u64_e32 vcc, s[76:77], v[8:9]
                                        ; implicit-def: $vgpr29
	s_and_saveexec_b64 s[40:41], vcc
	s_xor_b64 s[42:43], exec, s[40:41]
	s_cbranch_execz .LBB6_14093
; %bb.14080:                            ;   in Loop: Header=BB6_13779 Depth=3
	v_and_b32_e32 v8, 0x7fffffff, v4
	v_mov_b32_e32 v9, v51
	v_cmp_gt_u64_e32 vcc, s[78:79], v[8:9]
	v_and_b32_sdwa v16, v4, s96 dst_sel:DWORD dst_unused:UNUSED_PAD src0_sel:BYTE_3 src1_sel:DWORD
                                        ; implicit-def: $vgpr29
	s_and_saveexec_b64 s[40:41], vcc
	s_xor_b64 s[38:39], exec, s[40:41]
	s_cbranch_execz .LBB6_14090
; %bb.14081:                            ;   in Loop: Header=BB6_13779 Depth=3
	v_mov_b32_e32 v29, 0
	v_cmp_ne_u32_e32 vcc, 0, v4
	s_and_saveexec_b64 s[48:49], vcc
	s_cbranch_execz .LBB6_14089
; %bb.14082:                            ;   in Loop: Header=BB6_13779 Depth=3
	v_bfe_u32 v17, v4, 23, 8
	v_and_b32_e32 v5, 0x7fffff, v4
	v_cmp_gt_u32_e64 s[40:41], s97, v17
	v_sub_u32_e32 v4, 0x79, v17
	v_cmp_eq_u32_e32 vcc, 0, v17
	v_cndmask_b32_e64 v4, 0, v4, s[40:41]
	v_mov_b32_e32 v9, 0x78
	v_or_b32_e32 v8, 0x800000, v5
	v_cndmask_b32_e32 v18, v4, v9, vcc
	v_cndmask_b32_e32 v4, v8, v5, vcc
	v_add_u32_e32 v8, 20, v18
	v_lshlrev_b64 v[8:9], v8, -1
	v_add_u32_e32 v29, 19, v18
	v_lshlrev_b64 v[49:50], v29, 1
	v_mov_b32_e32 v5, v51
	v_bfi_b32 v9, v9, 0, 0
	v_bfi_b32 v8, v8, 0, v4
	v_cmp_eq_u64_e64 s[40:41], v[8:9], v[49:50]
	v_lshrrev_b64 v[8:9], v18, v[4:5]
	v_mov_b32_e32 v4, v8
	v_mov_b32_e32 v5, v9
	s_and_saveexec_b64 s[50:51], s[40:41]
; %bb.14083:                            ;   in Loop: Header=BB6_13779 Depth=3
	v_bfe_u32 v4, v8, 20, 1
	v_add_co_u32_e64 v4, s[40:41], v8, v4
	v_add_co_u32_e64 v4, s[40:41], -1, v4
; %bb.14084:                            ;   in Loop: Header=BB6_13779 Depth=3
	s_or_b64 exec, exec, s[50:51]
	v_add_u32_e32 v5, 0xffffff81, v17
	v_mov_b32_e32 v9, 0xffffff82
	v_cndmask_b32_e32 v5, v5, v9, vcc
	v_lshrrev_b32_e32 v9, 23, v8
	v_add3_u32 v17, v18, v5, v9
	v_add_u32_e32 v5, 6, v17
	v_and_b32_e32 v4, 0xfffff, v4
	v_add_u32_e32 v8, v4, v8
	v_mov_b32_e32 v9, v51
	v_cmp_ne_u32_e32 vcc, 0, v5
                                        ; implicit-def: $vgpr4
	s_and_saveexec_b64 s[40:41], vcc
	s_xor_b64 s[40:41], exec, s[40:41]
; %bb.14085:                            ;   in Loop: Header=BB6_13779 Depth=3
	v_cmp_lt_u64_e32 vcc, s[88:89], v[8:9]
	v_add_u32_e32 v4, 7, v17
	v_cndmask_b32_e32 v4, v5, v4, vcc
	v_cndmask_b32_e64 v5, 0, 1, vcc
	v_lshrrev_b64 v[8:9], v5, v[8:9]
; %bb.14086:                            ;   in Loop: Header=BB6_13779 Depth=3
	s_andn2_saveexec_b64 s[40:41], s[40:41]
; %bb.14087:                            ;   in Loop: Header=BB6_13779 Depth=3
	v_bfe_u32 v4, v8, 23, 1
; %bb.14088:                            ;   in Loop: Header=BB6_13779 Depth=3
	s_or_b64 exec, exec, s[40:41]
	v_lshrrev_b64 v[8:9], 20, v[8:9]
	v_cmp_gt_i32_e32 vcc, 16, v4
	v_cndmask_b32_e32 v9, 0, v9, vcc
	v_cndmask_b32_e32 v8, 7, v8, vcc
	v_cmp_eq_u32_e32 vcc, 0, v4
	v_min_i32_e32 v4, 15, v4
	v_cmp_eq_u64_e64 s[40:41], 0, v[8:9]
	v_lshlrev_b32_e32 v4, 3, v4
	v_and_b32_e32 v4, 0xf8, v4
	v_and_or_b32 v4, v8, 7, v4
	s_and_b64 s[40:41], vcc, s[40:41]
	v_cndmask_b32_e64 v4, v4, 0, s[40:41]
	v_or_b32_e32 v29, v4, v16
.LBB6_14089:                            ;   in Loop: Header=BB6_13779 Depth=3
	s_or_b64 exec, exec, s[48:49]
                                        ; implicit-def: $vgpr16
.LBB6_14090:                            ;   in Loop: Header=BB6_13779 Depth=3
	s_andn2_saveexec_b64 s[40:41], s[38:39]
; %bb.14091:                            ;   in Loop: Header=BB6_13779 Depth=3
	v_or_b32_e32 v29, 0x7e, v16
; %bb.14092:                            ;   in Loop: Header=BB6_13779 Depth=3
	s_or_b64 exec, exec, s[40:41]
                                        ; implicit-def: $vgpr4
.LBB6_14093:                            ;   in Loop: Header=BB6_13779 Depth=3
	s_andn2_saveexec_b64 s[40:41], s[42:43]
; %bb.14094:                            ;   in Loop: Header=BB6_13779 Depth=3
	v_or_b32_sdwa v29, v4, s86 dst_sel:DWORD dst_unused:UNUSED_PAD src0_sel:BYTE_3 src1_sel:DWORD
; %bb.14095:                            ;   in Loop: Header=BB6_13779 Depth=3
	s_or_b64 exec, exec, s[40:41]
	v_lshrrev_b32_e32 v8, 16, v11
	v_cmp_ne_u16_sdwa s[42:43], v8, v51 src0_sel:BYTE_0 src1_sel:DWORD
	v_mov_b32_e32 v4, 0
	s_and_saveexec_b64 s[40:41], s[42:43]
	s_cbranch_execz .LBB6_14101
; %bb.14096:                            ;   in Loop: Header=BB6_13779 Depth=3
	v_cmp_ne_u16_sdwa vcc, v8, s96 src0_sel:BYTE_0 src1_sel:DWORD
	v_bfrev_b32_e32 v4, 1
	s_and_saveexec_b64 s[42:43], vcc
	s_cbranch_execz .LBB6_14100
; %bb.14097:                            ;   in Loop: Header=BB6_13779 Depth=3
	v_bfe_u32 v5, v11, 16, 7
	v_cmp_ne_u32_e32 vcc, s86, v5
	v_mov_b32_e32 v4, 0x7f800001
	s_and_saveexec_b64 s[38:39], vcc
	s_cbranch_execz .LBB6_14099
; %bb.14098:                            ;   in Loop: Header=BB6_13779 Depth=3
	v_and_b32_e32 v9, 7, v8
	v_ffbh_u32_e32 v4, v9
	v_min_u32_e32 v17, 32, v4
	v_subrev_u32_e32 v4, 28, v17
	v_lshrrev_b32_e32 v16, 3, v5
	v_cmp_gt_u32_e32 vcc, 8, v5
	v_lshlrev_b64 v[4:5], v4, v[8:9]
	v_sub_u32_e32 v5, 29, v17
	v_and_b32_e32 v4, 7, v4
	v_cndmask_b32_e32 v5, v16, v5, vcc
	v_cndmask_b32_e32 v4, v9, v4, vcc
	v_lshlrev_b32_e32 v8, 24, v8
	v_bfrev_b32_e32 v9, 60
	v_lshlrev_b32_e32 v4, 20, v4
	v_and_b32_e32 v8, 0x80000000, v8
	v_lshl_add_u32 v5, v5, 23, v9
	v_or3_b32 v4, v8, v5, v4
.LBB6_14099:                            ;   in Loop: Header=BB6_13779 Depth=3
	s_or_b64 exec, exec, s[38:39]
.LBB6_14100:                            ;   in Loop: Header=BB6_13779 Depth=3
	s_or_b64 exec, exec, s[42:43]
.LBB6_14101:                            ;   in Loop: Header=BB6_13779 Depth=3
	s_or_b64 exec, exec, s[40:41]
	v_mul_f32_e32 v4, v27, v4
	v_and_b32_e32 v8, 0x7f800000, v4
	v_mov_b32_e32 v9, v51
	v_cmp_ne_u64_e32 vcc, s[76:77], v[8:9]
                                        ; implicit-def: $vgpr31
	s_and_saveexec_b64 s[40:41], vcc
	s_xor_b64 s[42:43], exec, s[40:41]
	s_cbranch_execz .LBB6_14115
; %bb.14102:                            ;   in Loop: Header=BB6_13779 Depth=3
	v_and_b32_e32 v8, 0x7fffffff, v4
	v_mov_b32_e32 v9, v51
	v_cmp_gt_u64_e32 vcc, s[78:79], v[8:9]
	v_and_b32_sdwa v16, v4, s96 dst_sel:DWORD dst_unused:UNUSED_PAD src0_sel:BYTE_3 src1_sel:DWORD
                                        ; implicit-def: $vgpr31
	s_and_saveexec_b64 s[40:41], vcc
	s_xor_b64 s[38:39], exec, s[40:41]
	s_cbranch_execz .LBB6_14112
; %bb.14103:                            ;   in Loop: Header=BB6_13779 Depth=3
	v_mov_b32_e32 v31, 0
	v_cmp_ne_u32_e32 vcc, 0, v4
	s_and_saveexec_b64 s[48:49], vcc
	s_cbranch_execz .LBB6_14111
; %bb.14104:                            ;   in Loop: Header=BB6_13779 Depth=3
	v_bfe_u32 v17, v4, 23, 8
	v_and_b32_e32 v5, 0x7fffff, v4
	v_cmp_gt_u32_e64 s[40:41], s97, v17
	v_sub_u32_e32 v4, 0x79, v17
	v_cmp_eq_u32_e32 vcc, 0, v17
	v_cndmask_b32_e64 v4, 0, v4, s[40:41]
	v_mov_b32_e32 v9, 0x78
	v_or_b32_e32 v8, 0x800000, v5
	v_cndmask_b32_e32 v18, v4, v9, vcc
	v_cndmask_b32_e32 v4, v8, v5, vcc
	v_add_u32_e32 v8, 20, v18
	v_lshlrev_b64 v[8:9], v8, -1
	v_add_u32_e32 v31, 19, v18
	v_lshlrev_b64 v[49:50], v31, 1
	v_mov_b32_e32 v5, v51
	v_bfi_b32 v9, v9, 0, 0
	v_bfi_b32 v8, v8, 0, v4
	v_cmp_eq_u64_e64 s[40:41], v[8:9], v[49:50]
	v_lshrrev_b64 v[8:9], v18, v[4:5]
	v_mov_b32_e32 v4, v8
	v_mov_b32_e32 v5, v9
	s_and_saveexec_b64 s[50:51], s[40:41]
; %bb.14105:                            ;   in Loop: Header=BB6_13779 Depth=3
	v_bfe_u32 v4, v8, 20, 1
	v_add_co_u32_e64 v4, s[40:41], v8, v4
	v_add_co_u32_e64 v4, s[40:41], -1, v4
; %bb.14106:                            ;   in Loop: Header=BB6_13779 Depth=3
	s_or_b64 exec, exec, s[50:51]
	v_add_u32_e32 v5, 0xffffff81, v17
	v_mov_b32_e32 v9, 0xffffff82
	v_cndmask_b32_e32 v5, v5, v9, vcc
	v_lshrrev_b32_e32 v9, 23, v8
	v_add3_u32 v17, v18, v5, v9
	v_add_u32_e32 v5, 6, v17
	v_and_b32_e32 v4, 0xfffff, v4
	v_add_u32_e32 v8, v4, v8
	v_mov_b32_e32 v9, v51
	v_cmp_ne_u32_e32 vcc, 0, v5
                                        ; implicit-def: $vgpr4
	s_and_saveexec_b64 s[40:41], vcc
	s_xor_b64 s[40:41], exec, s[40:41]
; %bb.14107:                            ;   in Loop: Header=BB6_13779 Depth=3
	v_cmp_lt_u64_e32 vcc, s[88:89], v[8:9]
	v_add_u32_e32 v4, 7, v17
	v_cndmask_b32_e32 v4, v5, v4, vcc
	v_cndmask_b32_e64 v5, 0, 1, vcc
	v_lshrrev_b64 v[8:9], v5, v[8:9]
; %bb.14108:                            ;   in Loop: Header=BB6_13779 Depth=3
	s_andn2_saveexec_b64 s[40:41], s[40:41]
; %bb.14109:                            ;   in Loop: Header=BB6_13779 Depth=3
	v_bfe_u32 v4, v8, 23, 1
; %bb.14110:                            ;   in Loop: Header=BB6_13779 Depth=3
	s_or_b64 exec, exec, s[40:41]
	v_lshrrev_b64 v[8:9], 20, v[8:9]
	v_cmp_gt_i32_e32 vcc, 16, v4
	v_cndmask_b32_e32 v9, 0, v9, vcc
	v_cndmask_b32_e32 v8, 7, v8, vcc
	v_cmp_eq_u32_e32 vcc, 0, v4
	v_min_i32_e32 v4, 15, v4
	v_cmp_eq_u64_e64 s[40:41], 0, v[8:9]
	v_lshlrev_b32_e32 v4, 3, v4
	v_and_b32_e32 v4, 0xf8, v4
	v_and_or_b32 v4, v8, 7, v4
	s_and_b64 s[40:41], vcc, s[40:41]
	v_cndmask_b32_e64 v4, v4, 0, s[40:41]
	v_or_b32_e32 v31, v4, v16
.LBB6_14111:                            ;   in Loop: Header=BB6_13779 Depth=3
	s_or_b64 exec, exec, s[48:49]
                                        ; implicit-def: $vgpr16
.LBB6_14112:                            ;   in Loop: Header=BB6_13779 Depth=3
	s_andn2_saveexec_b64 s[40:41], s[38:39]
; %bb.14113:                            ;   in Loop: Header=BB6_13779 Depth=3
	v_or_b32_e32 v31, 0x7e, v16
; %bb.14114:                            ;   in Loop: Header=BB6_13779 Depth=3
	s_or_b64 exec, exec, s[40:41]
                                        ; implicit-def: $vgpr4
.LBB6_14115:                            ;   in Loop: Header=BB6_13779 Depth=3
	s_andn2_saveexec_b64 s[40:41], s[42:43]
; %bb.14116:                            ;   in Loop: Header=BB6_13779 Depth=3
	v_or_b32_sdwa v31, v4, s86 dst_sel:DWORD dst_unused:UNUSED_PAD src0_sel:BYTE_3 src1_sel:DWORD
; %bb.14117:                            ;   in Loop: Header=BB6_13779 Depth=3
	s_or_b64 exec, exec, s[40:41]
	v_cmp_lt_u64_e32 vcc, s[56:57], v[10:11]
	v_mov_b32_e32 v4, 0
	s_and_saveexec_b64 s[40:41], vcc
	s_cbranch_execz .LBB6_14123
; %bb.14118:                            ;   in Loop: Header=BB6_13779 Depth=3
	v_lshrrev_b32_e32 v8, 24, v11
	v_cmp_ne_u32_e32 vcc, s96, v8
	v_bfrev_b32_e32 v4, 1
	s_and_saveexec_b64 s[42:43], vcc
	s_cbranch_execz .LBB6_14122
; %bb.14119:                            ;   in Loop: Header=BB6_13779 Depth=3
	v_bfe_u32 v5, v11, 24, 7
	v_cmp_ne_u32_e32 vcc, s86, v5
	v_mov_b32_e32 v4, 0x7f800001
	s_and_saveexec_b64 s[38:39], vcc
	s_cbranch_execz .LBB6_14121
; %bb.14120:                            ;   in Loop: Header=BB6_13779 Depth=3
	v_and_b32_e32 v9, 7, v8
	v_ffbh_u32_e32 v4, v9
	v_min_u32_e32 v11, 32, v4
	v_subrev_u32_e32 v4, 28, v11
	v_lshrrev_b32_e32 v10, 3, v5
	v_cmp_gt_u32_e32 vcc, 8, v5
	v_lshlrev_b64 v[4:5], v4, v[8:9]
	v_sub_u32_e32 v5, 29, v11
	v_and_b32_e32 v4, 7, v4
	v_cndmask_b32_e32 v5, v10, v5, vcc
	v_cndmask_b32_e32 v4, v9, v4, vcc
	v_lshlrev_b32_e32 v8, 24, v8
	v_bfrev_b32_e32 v9, 60
	v_lshlrev_b32_e32 v4, 20, v4
	v_and_b32_e32 v8, 0x80000000, v8
	v_lshl_add_u32 v5, v5, 23, v9
	v_or3_b32 v4, v8, v5, v4
.LBB6_14121:                            ;   in Loop: Header=BB6_13779 Depth=3
	s_or_b64 exec, exec, s[38:39]
.LBB6_14122:                            ;   in Loop: Header=BB6_13779 Depth=3
	s_or_b64 exec, exec, s[42:43]
.LBB6_14123:                            ;   in Loop: Header=BB6_13779 Depth=3
	s_or_b64 exec, exec, s[40:41]
	v_mul_f32_e32 v4, v27, v4
	v_and_b32_e32 v8, 0x7f800000, v4
	v_mov_b32_e32 v9, v51
	v_cmp_ne_u64_e32 vcc, s[76:77], v[8:9]
                                        ; implicit-def: $vgpr34
	s_and_saveexec_b64 s[40:41], vcc
	s_xor_b64 s[42:43], exec, s[40:41]
	s_cbranch_execz .LBB6_14137
; %bb.14124:                            ;   in Loop: Header=BB6_13779 Depth=3
	v_and_b32_e32 v8, 0x7fffffff, v4
	v_mov_b32_e32 v9, v51
	v_cmp_gt_u64_e32 vcc, s[78:79], v[8:9]
	v_and_b32_sdwa v10, v4, s96 dst_sel:DWORD dst_unused:UNUSED_PAD src0_sel:BYTE_3 src1_sel:DWORD
                                        ; implicit-def: $vgpr34
	s_and_saveexec_b64 s[40:41], vcc
	s_xor_b64 s[38:39], exec, s[40:41]
	s_cbranch_execz .LBB6_14134
; %bb.14125:                            ;   in Loop: Header=BB6_13779 Depth=3
	v_mov_b32_e32 v34, 0
	v_cmp_ne_u32_e32 vcc, 0, v4
	s_and_saveexec_b64 s[48:49], vcc
	s_cbranch_execz .LBB6_14133
; %bb.14126:                            ;   in Loop: Header=BB6_13779 Depth=3
	v_bfe_u32 v11, v4, 23, 8
	v_and_b32_e32 v5, 0x7fffff, v4
	v_cmp_gt_u32_e64 s[40:41], s97, v11
	v_sub_u32_e32 v4, 0x79, v11
	v_cmp_eq_u32_e32 vcc, 0, v11
	v_cndmask_b32_e64 v4, 0, v4, s[40:41]
	v_mov_b32_e32 v9, 0x78
	v_or_b32_e32 v8, 0x800000, v5
	v_cndmask_b32_e32 v16, v4, v9, vcc
	v_cndmask_b32_e32 v4, v8, v5, vcc
	v_add_u32_e32 v8, 20, v16
	v_lshlrev_b64 v[8:9], v8, -1
	v_add_u32_e32 v17, 19, v16
	v_lshlrev_b64 v[17:18], v17, 1
	v_mov_b32_e32 v5, v51
	v_bfi_b32 v9, v9, 0, 0
	v_bfi_b32 v8, v8, 0, v4
	v_cmp_eq_u64_e64 s[40:41], v[8:9], v[17:18]
	v_lshrrev_b64 v[8:9], v16, v[4:5]
	v_mov_b32_e32 v4, v8
	v_mov_b32_e32 v5, v9
	s_and_saveexec_b64 s[50:51], s[40:41]
; %bb.14127:                            ;   in Loop: Header=BB6_13779 Depth=3
	v_bfe_u32 v4, v8, 20, 1
	v_add_co_u32_e64 v4, s[40:41], v8, v4
	v_add_co_u32_e64 v4, s[40:41], -1, v4
; %bb.14128:                            ;   in Loop: Header=BB6_13779 Depth=3
	s_or_b64 exec, exec, s[50:51]
	v_add_u32_e32 v5, 0xffffff81, v11
	v_mov_b32_e32 v9, 0xffffff82
	v_cndmask_b32_e32 v5, v5, v9, vcc
	v_lshrrev_b32_e32 v9, 23, v8
	v_add3_u32 v11, v16, v5, v9
	v_add_u32_e32 v5, 6, v11
	v_and_b32_e32 v4, 0xfffff, v4
	v_add_u32_e32 v8, v4, v8
	v_mov_b32_e32 v9, v51
	v_cmp_ne_u32_e32 vcc, 0, v5
                                        ; implicit-def: $vgpr4
	s_and_saveexec_b64 s[40:41], vcc
	s_xor_b64 s[40:41], exec, s[40:41]
; %bb.14129:                            ;   in Loop: Header=BB6_13779 Depth=3
	v_cmp_lt_u64_e32 vcc, s[88:89], v[8:9]
	v_add_u32_e32 v4, 7, v11
	v_cndmask_b32_e32 v4, v5, v4, vcc
	v_cndmask_b32_e64 v5, 0, 1, vcc
	v_lshrrev_b64 v[8:9], v5, v[8:9]
; %bb.14130:                            ;   in Loop: Header=BB6_13779 Depth=3
	s_andn2_saveexec_b64 s[40:41], s[40:41]
; %bb.14131:                            ;   in Loop: Header=BB6_13779 Depth=3
	v_bfe_u32 v4, v8, 23, 1
; %bb.14132:                            ;   in Loop: Header=BB6_13779 Depth=3
	s_or_b64 exec, exec, s[40:41]
	v_lshrrev_b64 v[8:9], 20, v[8:9]
	v_cmp_gt_i32_e32 vcc, 16, v4
	v_cndmask_b32_e32 v9, 0, v9, vcc
	v_cndmask_b32_e32 v8, 7, v8, vcc
	v_cmp_eq_u32_e32 vcc, 0, v4
	v_min_i32_e32 v4, 15, v4
	v_cmp_eq_u64_e64 s[40:41], 0, v[8:9]
	v_lshlrev_b32_e32 v4, 3, v4
	v_and_b32_e32 v4, 0xf8, v4
	v_and_or_b32 v4, v8, 7, v4
	s_and_b64 s[40:41], vcc, s[40:41]
	v_cndmask_b32_e64 v4, v4, 0, s[40:41]
	v_or_b32_e32 v34, v4, v10
.LBB6_14133:                            ;   in Loop: Header=BB6_13779 Depth=3
	s_or_b64 exec, exec, s[48:49]
                                        ; implicit-def: $vgpr10
.LBB6_14134:                            ;   in Loop: Header=BB6_13779 Depth=3
	s_andn2_saveexec_b64 s[40:41], s[38:39]
; %bb.14135:                            ;   in Loop: Header=BB6_13779 Depth=3
	v_or_b32_e32 v34, 0x7e, v10
; %bb.14136:                            ;   in Loop: Header=BB6_13779 Depth=3
	s_or_b64 exec, exec, s[40:41]
                                        ; implicit-def: $vgpr4
.LBB6_14137:                            ;   in Loop: Header=BB6_13779 Depth=3
	s_andn2_saveexec_b64 s[40:41], s[42:43]
; %bb.14138:                            ;   in Loop: Header=BB6_13779 Depth=3
	v_or_b32_sdwa v34, v4, s86 dst_sel:DWORD dst_unused:UNUSED_PAD src0_sel:BYTE_3 src1_sel:DWORD
; %bb.14139:                            ;   in Loop: Header=BB6_13779 Depth=3
	s_or_b64 exec, exec, s[40:41]
	global_load_dwordx4 v[8:11], v[14:15], off glc slc
	v_lshl_or_b32 v27, v30, 8, v25
	v_lshlrev_b32_e32 v4, 16, v33
	v_lshlrev_b32_e32 v5, 24, v48
	v_or3_b32 v16, v4, v5, v27
	v_mov_b32_e32 v17, v51
	v_cmp_ne_u32_e32 vcc, 0, v25
	v_mov_b32_e32 v4, 0
	s_and_saveexec_b64 s[40:41], vcc
	s_cbranch_execz .LBB6_14145
; %bb.14140:                            ;   in Loop: Header=BB6_13779 Depth=3
	v_cmp_ne_u32_e32 vcc, s96, v25
	v_bfrev_b32_e32 v4, 1
	s_and_saveexec_b64 s[42:43], vcc
	s_cbranch_execz .LBB6_14144
; %bb.14141:                            ;   in Loop: Header=BB6_13779 Depth=3
	v_and_b32_e32 v5, 0x7f, v25
	v_cmp_ne_u32_e32 vcc, s86, v5
	v_mov_b32_e32 v4, 0x7f800001
	s_and_saveexec_b64 s[38:39], vcc
	s_cbranch_execz .LBB6_14143
; %bb.14142:                            ;   in Loop: Header=BB6_13779 Depth=3
	v_and_b32_e32 v4, 7, v25
	v_ffbh_u32_e32 v4, v4
	v_min_u32_e32 v4, 32, v4
	v_lshrrev_b32_e32 v18, 3, v5
	v_cmp_gt_u32_e32 vcc, 8, v5
	v_subrev_u32_e32 v5, 28, v4
	v_sub_u32_e32 v4, 29, v4
	v_cndmask_b32_e32 v18, v18, v4, vcc
	v_cndmask_b32_e32 v4, 0, v5, vcc
	v_lshlrev_b64 v[4:5], v4, v[16:17]
	v_lshlrev_b32_e32 v5, 24, v16
	v_lshlrev_b32_e32 v4, 20, v4
	v_bfrev_b32_e32 v17, 60
	v_and_b32_e32 v4, 0x700000, v4
	v_and_b32_e32 v5, 0x80000000, v5
	v_lshl_add_u32 v17, v18, 23, v17
	v_or3_b32 v4, v5, v17, v4
.LBB6_14143:                            ;   in Loop: Header=BB6_13779 Depth=3
	s_or_b64 exec, exec, s[38:39]
.LBB6_14144:                            ;   in Loop: Header=BB6_13779 Depth=3
	s_or_b64 exec, exec, s[42:43]
.LBB6_14145:                            ;   in Loop: Header=BB6_13779 Depth=3
	s_or_b64 exec, exec, s[40:41]
	s_waitcnt vmcnt(0)
	v_cmp_gt_i16_sdwa s[42:43], v8, s86 src0_sel:BYTE_0 src1_sel:DWORD
	s_mov_b64 s[40:41], 0
	s_and_saveexec_b64 vcc, s[42:43]
	s_xor_b64 s[42:43], exec, vcc
	s_cbranch_execz .LBB6_14570
; %bb.14146:                            ;   in Loop: Header=BB6_13779 Depth=3
	v_cmp_eq_u16_sdwa s[38:39], v8, s96 src0_sel:BYTE_0 src1_sel:DWORD
	s_mov_b64 s[40:41], -1
	s_and_saveexec_b64 vcc, s[38:39]
; %bb.14147:                            ;   in Loop: Header=BB6_13779 Depth=3
	s_xor_b64 s[40:41], exec, -1
; %bb.14148:                            ;   in Loop: Header=BB6_13779 Depth=3
	s_or_b64 exec, exec, vcc
	s_and_b64 s[40:41], s[40:41], exec
	s_or_saveexec_b64 s[42:43], s[42:43]
	v_bfrev_b32_e32 v5, 1
	s_xor_b64 exec, exec, s[42:43]
	s_cbranch_execnz .LBB6_14571
.LBB6_14149:                            ;   in Loop: Header=BB6_13779 Depth=3
	s_or_b64 exec, exec, s[42:43]
	s_and_saveexec_b64 s[42:43], s[40:41]
	s_cbranch_execz .LBB6_14151
.LBB6_14150:                            ;   in Loop: Header=BB6_13779 Depth=3
	v_and_b32_e32 v5, 7, v8
	v_ffbh_u32_e32 v5, v5
	v_and_b32_e32 v25, 0x7f, v8
	v_min_u32_e32 v5, 32, v5
	v_bfe_u32 v17, v8, 3, 4
	v_subrev_u32_e32 v18, 28, v5
	v_sub_u32_e32 v5, 29, v5
	v_cmp_gt_u32_e32 vcc, 8, v25
	v_cndmask_b32_e32 v5, v17, v5, vcc
	v_cndmask_b32_e32 v17, 0, v18, vcc
	v_lshlrev_b64 v[17:18], v17, v[8:9]
	v_lshlrev_b32_e32 v18, 24, v8
	v_lshlrev_b32_e32 v17, 20, v17
	v_bfrev_b32_e32 v30, 60
	v_and_b32_e32 v17, 0x700000, v17
	v_and_b32_e32 v18, 0x80000000, v18
	v_lshl_add_u32 v5, v5, 23, v30
	v_or3_b32 v5, v18, v5, v17
	v_cmp_ne_u32_e32 vcc, s86, v25
	v_mov_b32_e32 v17, 0x7f800001
	v_cndmask_b32_e32 v5, v17, v5, vcc
.LBB6_14151:                            ;   in Loop: Header=BB6_13779 Depth=3
	s_or_b64 exec, exec, s[42:43]
	v_add_f32_e32 v4, v4, v5
	v_and_b32_e32 v17, 0x7f800000, v4
	v_mov_b32_e32 v18, v51
	v_cmp_ne_u64_e32 vcc, s[76:77], v[17:18]
                                        ; implicit-def: $vgpr25
	s_and_saveexec_b64 s[40:41], vcc
	s_xor_b64 s[42:43], exec, s[40:41]
	s_cbranch_execz .LBB6_14165
; %bb.14152:                            ;   in Loop: Header=BB6_13779 Depth=3
	v_and_b32_e32 v17, 0x7fffffff, v4
	v_mov_b32_e32 v18, v51
	v_cmp_gt_u64_e32 vcc, s[78:79], v[17:18]
	v_and_b32_sdwa v30, v4, s96 dst_sel:DWORD dst_unused:UNUSED_PAD src0_sel:BYTE_3 src1_sel:DWORD
                                        ; implicit-def: $vgpr25
	s_and_saveexec_b64 s[40:41], vcc
	s_xor_b64 s[38:39], exec, s[40:41]
	s_cbranch_execz .LBB6_14162
; %bb.14153:                            ;   in Loop: Header=BB6_13779 Depth=3
	v_mov_b32_e32 v25, 0
	v_cmp_ne_u32_e32 vcc, 0, v4
	s_and_saveexec_b64 s[48:49], vcc
	s_cbranch_execz .LBB6_14161
; %bb.14154:                            ;   in Loop: Header=BB6_13779 Depth=3
	v_bfe_u32 v25, v4, 23, 8
	v_and_b32_e32 v5, 0x7fffff, v4
	v_cmp_gt_u32_e64 s[40:41], s97, v25
	v_sub_u32_e32 v4, 0x79, v25
	v_cmp_eq_u32_e32 vcc, 0, v25
	v_cndmask_b32_e64 v4, 0, v4, s[40:41]
	v_mov_b32_e32 v18, 0x78
	v_or_b32_e32 v17, 0x800000, v5
	v_cndmask_b32_e32 v33, v4, v18, vcc
	v_cndmask_b32_e32 v4, v17, v5, vcc
	v_add_u32_e32 v17, 20, v33
	v_lshlrev_b64 v[17:18], v17, -1
	v_add_u32_e32 v48, 19, v33
	v_lshlrev_b64 v[48:49], v48, 1
	v_mov_b32_e32 v5, v51
	v_bfi_b32 v18, v18, 0, 0
	v_bfi_b32 v17, v17, 0, v4
	v_cmp_eq_u64_e64 s[40:41], v[17:18], v[48:49]
	v_lshrrev_b64 v[17:18], v33, v[4:5]
	v_mov_b32_e32 v4, v17
	v_mov_b32_e32 v5, v18
	s_and_saveexec_b64 s[50:51], s[40:41]
; %bb.14155:                            ;   in Loop: Header=BB6_13779 Depth=3
	v_bfe_u32 v4, v17, 20, 1
	v_add_co_u32_e64 v4, s[40:41], v17, v4
	v_add_co_u32_e64 v4, s[40:41], -1, v4
; %bb.14156:                            ;   in Loop: Header=BB6_13779 Depth=3
	s_or_b64 exec, exec, s[50:51]
	v_add_u32_e32 v5, 0xffffff81, v25
	v_mov_b32_e32 v18, 0xffffff82
	v_cndmask_b32_e32 v5, v5, v18, vcc
	v_lshrrev_b32_e32 v18, 23, v17
	v_add3_u32 v25, v33, v5, v18
	v_add_u32_e32 v5, 6, v25
	v_and_b32_e32 v4, 0xfffff, v4
	v_add_u32_e32 v17, v4, v17
	v_mov_b32_e32 v18, v51
	v_cmp_ne_u32_e32 vcc, 0, v5
                                        ; implicit-def: $vgpr4
	s_and_saveexec_b64 s[40:41], vcc
	s_xor_b64 s[40:41], exec, s[40:41]
; %bb.14157:                            ;   in Loop: Header=BB6_13779 Depth=3
	v_cmp_lt_u64_e32 vcc, s[88:89], v[17:18]
	v_add_u32_e32 v4, 7, v25
	v_cndmask_b32_e32 v4, v5, v4, vcc
	v_cndmask_b32_e64 v5, 0, 1, vcc
	v_lshrrev_b64 v[17:18], v5, v[17:18]
; %bb.14158:                            ;   in Loop: Header=BB6_13779 Depth=3
	s_andn2_saveexec_b64 s[40:41], s[40:41]
; %bb.14159:                            ;   in Loop: Header=BB6_13779 Depth=3
	v_bfe_u32 v4, v17, 23, 1
; %bb.14160:                            ;   in Loop: Header=BB6_13779 Depth=3
	s_or_b64 exec, exec, s[40:41]
	v_lshrrev_b64 v[17:18], 20, v[17:18]
	v_cmp_gt_i32_e32 vcc, 16, v4
	v_cndmask_b32_e32 v18, 0, v18, vcc
	v_cndmask_b32_e32 v17, 7, v17, vcc
	v_cmp_eq_u32_e32 vcc, 0, v4
	v_min_i32_e32 v4, 15, v4
	v_cmp_eq_u64_e64 s[40:41], 0, v[17:18]
	v_lshlrev_b32_e32 v4, 3, v4
	v_and_b32_e32 v4, 0xf8, v4
	v_and_or_b32 v4, v17, 7, v4
	s_and_b64 s[40:41], vcc, s[40:41]
	v_cndmask_b32_e64 v4, v4, 0, s[40:41]
	v_or_b32_e32 v25, v4, v30
.LBB6_14161:                            ;   in Loop: Header=BB6_13779 Depth=3
	s_or_b64 exec, exec, s[48:49]
                                        ; implicit-def: $vgpr30
.LBB6_14162:                            ;   in Loop: Header=BB6_13779 Depth=3
	s_andn2_saveexec_b64 s[40:41], s[38:39]
; %bb.14163:                            ;   in Loop: Header=BB6_13779 Depth=3
	v_or_b32_e32 v25, 0x7e, v30
; %bb.14164:                            ;   in Loop: Header=BB6_13779 Depth=3
	s_or_b64 exec, exec, s[40:41]
                                        ; implicit-def: $vgpr4
.LBB6_14165:                            ;   in Loop: Header=BB6_13779 Depth=3
	s_andn2_saveexec_b64 s[40:41], s[42:43]
; %bb.14166:                            ;   in Loop: Header=BB6_13779 Depth=3
	v_or_b32_sdwa v25, v4, s86 dst_sel:DWORD dst_unused:UNUSED_PAD src0_sel:BYTE_3 src1_sel:DWORD
; %bb.14167:                            ;   in Loop: Header=BB6_13779 Depth=3
	s_or_b64 exec, exec, s[40:41]
	v_lshrrev_b16_e32 v17, 8, v27
	v_cmp_ne_u16_e32 vcc, 0, v17
	v_mov_b32_e32 v4, 0
	s_and_saveexec_b64 s[40:41], vcc
	s_cbranch_execz .LBB6_14173
; %bb.14168:                            ;   in Loop: Header=BB6_13779 Depth=3
	v_cmp_ne_u16_e32 vcc, s96, v17
	v_bfrev_b32_e32 v4, 1
	s_and_saveexec_b64 s[42:43], vcc
	s_cbranch_execz .LBB6_14172
; %bb.14169:                            ;   in Loop: Header=BB6_13779 Depth=3
	v_and_b32_e32 v5, 0x7f, v17
	v_cmp_ne_u32_e32 vcc, s86, v5
	v_mov_b32_e32 v4, 0x7f800001
	s_and_saveexec_b64 s[38:39], vcc
	s_cbranch_execz .LBB6_14171
; %bb.14170:                            ;   in Loop: Header=BB6_13779 Depth=3
	v_and_b32_e32 v18, 7, v17
	v_ffbh_u32_e32 v4, v18
	v_min_u32_e32 v33, 32, v4
	v_subrev_u32_e32 v4, 28, v33
	v_lshrrev_b32_e32 v30, 3, v5
	v_cmp_gt_u32_e32 vcc, 8, v5
	v_lshlrev_b64 v[4:5], v4, v[17:18]
	v_sub_u32_e32 v5, 29, v33
	v_and_b32_e32 v4, 7, v4
	v_cndmask_b32_e32 v5, v30, v5, vcc
	v_cndmask_b32_e32 v4, v18, v4, vcc
	v_lshlrev_b32_e32 v17, 16, v27
	v_bfrev_b32_e32 v18, 60
	v_lshlrev_b32_e32 v4, 20, v4
	v_and_b32_e32 v17, 0x80000000, v17
	v_lshl_add_u32 v5, v5, 23, v18
	v_or3_b32 v4, v17, v5, v4
.LBB6_14171:                            ;   in Loop: Header=BB6_13779 Depth=3
	s_or_b64 exec, exec, s[38:39]
.LBB6_14172:                            ;   in Loop: Header=BB6_13779 Depth=3
	s_or_b64 exec, exec, s[42:43]
.LBB6_14173:                            ;   in Loop: Header=BB6_13779 Depth=3
	s_or_b64 exec, exec, s[40:41]
	v_lshrrev_b16_e32 v17, 8, v8
	v_cmp_lt_i16_e32 vcc, s86, v17
	s_mov_b64 s[40:41], 0
	s_and_saveexec_b64 s[42:43], vcc
	s_xor_b64 s[42:43], exec, s[42:43]
	s_cbranch_execz .LBB6_14572
; %bb.14174:                            ;   in Loop: Header=BB6_13779 Depth=3
	v_cmp_eq_u16_e32 vcc, s96, v17
	s_mov_b64 s[40:41], -1
	s_and_saveexec_b64 s[38:39], vcc
; %bb.14175:                            ;   in Loop: Header=BB6_13779 Depth=3
	s_xor_b64 s[40:41], exec, -1
; %bb.14176:                            ;   in Loop: Header=BB6_13779 Depth=3
	s_or_b64 exec, exec, s[38:39]
	s_and_b64 s[40:41], s[40:41], exec
	s_or_saveexec_b64 s[42:43], s[42:43]
	v_bfrev_b32_e32 v5, 1
	s_xor_b64 exec, exec, s[42:43]
	s_cbranch_execnz .LBB6_14573
.LBB6_14177:                            ;   in Loop: Header=BB6_13779 Depth=3
	s_or_b64 exec, exec, s[42:43]
	s_and_saveexec_b64 s[42:43], s[40:41]
	s_cbranch_execz .LBB6_14179
.LBB6_14178:                            ;   in Loop: Header=BB6_13779 Depth=3
	v_and_b32_e32 v5, 7, v17
	v_ffbh_u32_e32 v33, v5
	v_min_u32_e32 v33, 32, v33
	v_mov_b32_e32 v18, v51
	v_subrev_u32_e32 v48, 28, v33
	v_lshlrev_b64 v[48:49], v48, v[17:18]
	v_and_b32_e32 v27, 0x7f, v17
	v_bfe_u32 v30, v17, 3, 4
	v_sub_u32_e32 v18, 29, v33
	v_and_b32_e32 v33, 7, v48
	v_cmp_gt_u32_e32 vcc, 8, v27
	v_cndmask_b32_e32 v18, v30, v18, vcc
	v_cndmask_b32_e32 v5, v5, v33, vcc
	v_lshlrev_b32_e32 v17, 24, v17
	v_bfrev_b32_e32 v30, 60
	v_lshlrev_b32_e32 v5, 20, v5
	v_and_b32_e32 v17, 0x80000000, v17
	v_lshl_add_u32 v18, v18, 23, v30
	v_or3_b32 v5, v17, v18, v5
	v_cmp_ne_u32_e32 vcc, s86, v27
	v_mov_b32_e32 v17, 0x7f800001
	v_cndmask_b32_e32 v5, v17, v5, vcc
.LBB6_14179:                            ;   in Loop: Header=BB6_13779 Depth=3
	s_or_b64 exec, exec, s[42:43]
	v_add_f32_e32 v4, v4, v5
	v_and_b32_e32 v17, 0x7f800000, v4
	v_mov_b32_e32 v18, v51
	v_cmp_ne_u64_e32 vcc, s[76:77], v[17:18]
                                        ; implicit-def: $vgpr27
	s_and_saveexec_b64 s[40:41], vcc
	s_xor_b64 s[42:43], exec, s[40:41]
	s_cbranch_execz .LBB6_14193
; %bb.14180:                            ;   in Loop: Header=BB6_13779 Depth=3
	v_and_b32_e32 v17, 0x7fffffff, v4
	v_mov_b32_e32 v18, v51
	v_cmp_gt_u64_e32 vcc, s[78:79], v[17:18]
	v_and_b32_sdwa v30, v4, s96 dst_sel:DWORD dst_unused:UNUSED_PAD src0_sel:BYTE_3 src1_sel:DWORD
                                        ; implicit-def: $vgpr27
	s_and_saveexec_b64 s[40:41], vcc
	s_xor_b64 s[38:39], exec, s[40:41]
	s_cbranch_execz .LBB6_14190
; %bb.14181:                            ;   in Loop: Header=BB6_13779 Depth=3
	v_mov_b32_e32 v27, 0
	v_cmp_ne_u32_e32 vcc, 0, v4
	s_and_saveexec_b64 s[48:49], vcc
	s_cbranch_execz .LBB6_14189
; %bb.14182:                            ;   in Loop: Header=BB6_13779 Depth=3
	v_bfe_u32 v27, v4, 23, 8
	v_and_b32_e32 v5, 0x7fffff, v4
	v_cmp_gt_u32_e64 s[40:41], s97, v27
	v_sub_u32_e32 v4, 0x79, v27
	v_cmp_eq_u32_e32 vcc, 0, v27
	v_cndmask_b32_e64 v4, 0, v4, s[40:41]
	v_mov_b32_e32 v18, 0x78
	v_or_b32_e32 v17, 0x800000, v5
	v_cndmask_b32_e32 v33, v4, v18, vcc
	v_cndmask_b32_e32 v4, v17, v5, vcc
	v_add_u32_e32 v17, 20, v33
	v_lshlrev_b64 v[17:18], v17, -1
	v_add_u32_e32 v48, 19, v33
	v_lshlrev_b64 v[48:49], v48, 1
	v_mov_b32_e32 v5, v51
	v_bfi_b32 v18, v18, 0, 0
	v_bfi_b32 v17, v17, 0, v4
	v_cmp_eq_u64_e64 s[40:41], v[17:18], v[48:49]
	v_lshrrev_b64 v[17:18], v33, v[4:5]
	v_mov_b32_e32 v4, v17
	v_mov_b32_e32 v5, v18
	s_and_saveexec_b64 s[50:51], s[40:41]
; %bb.14183:                            ;   in Loop: Header=BB6_13779 Depth=3
	v_bfe_u32 v4, v17, 20, 1
	v_add_co_u32_e64 v4, s[40:41], v17, v4
	v_add_co_u32_e64 v4, s[40:41], -1, v4
; %bb.14184:                            ;   in Loop: Header=BB6_13779 Depth=3
	s_or_b64 exec, exec, s[50:51]
	v_add_u32_e32 v5, 0xffffff81, v27
	v_mov_b32_e32 v18, 0xffffff82
	v_cndmask_b32_e32 v5, v5, v18, vcc
	v_lshrrev_b32_e32 v18, 23, v17
	v_add3_u32 v27, v33, v5, v18
	v_add_u32_e32 v5, 6, v27
	v_and_b32_e32 v4, 0xfffff, v4
	v_add_u32_e32 v17, v4, v17
	v_mov_b32_e32 v18, v51
	v_cmp_ne_u32_e32 vcc, 0, v5
                                        ; implicit-def: $vgpr4
	s_and_saveexec_b64 s[40:41], vcc
	s_xor_b64 s[40:41], exec, s[40:41]
; %bb.14185:                            ;   in Loop: Header=BB6_13779 Depth=3
	v_cmp_lt_u64_e32 vcc, s[88:89], v[17:18]
	v_add_u32_e32 v4, 7, v27
	v_cndmask_b32_e32 v4, v5, v4, vcc
	v_cndmask_b32_e64 v5, 0, 1, vcc
	v_lshrrev_b64 v[17:18], v5, v[17:18]
; %bb.14186:                            ;   in Loop: Header=BB6_13779 Depth=3
	s_andn2_saveexec_b64 s[40:41], s[40:41]
; %bb.14187:                            ;   in Loop: Header=BB6_13779 Depth=3
	v_bfe_u32 v4, v17, 23, 1
; %bb.14188:                            ;   in Loop: Header=BB6_13779 Depth=3
	s_or_b64 exec, exec, s[40:41]
	v_lshrrev_b64 v[17:18], 20, v[17:18]
	v_cmp_gt_i32_e32 vcc, 16, v4
	v_cndmask_b32_e32 v18, 0, v18, vcc
	v_cndmask_b32_e32 v17, 7, v17, vcc
	v_cmp_eq_u32_e32 vcc, 0, v4
	v_min_i32_e32 v4, 15, v4
	v_cmp_eq_u64_e64 s[40:41], 0, v[17:18]
	v_lshlrev_b32_e32 v4, 3, v4
	v_and_b32_e32 v4, 0xf8, v4
	v_and_or_b32 v4, v17, 7, v4
	s_and_b64 s[40:41], vcc, s[40:41]
	v_cndmask_b32_e64 v4, v4, 0, s[40:41]
	v_or_b32_e32 v27, v4, v30
.LBB6_14189:                            ;   in Loop: Header=BB6_13779 Depth=3
	s_or_b64 exec, exec, s[48:49]
                                        ; implicit-def: $vgpr30
.LBB6_14190:                            ;   in Loop: Header=BB6_13779 Depth=3
	s_andn2_saveexec_b64 s[40:41], s[38:39]
; %bb.14191:                            ;   in Loop: Header=BB6_13779 Depth=3
	v_or_b32_e32 v27, 0x7e, v30
; %bb.14192:                            ;   in Loop: Header=BB6_13779 Depth=3
	s_or_b64 exec, exec, s[40:41]
                                        ; implicit-def: $vgpr4
.LBB6_14193:                            ;   in Loop: Header=BB6_13779 Depth=3
	s_andn2_saveexec_b64 s[40:41], s[42:43]
; %bb.14194:                            ;   in Loop: Header=BB6_13779 Depth=3
	v_or_b32_sdwa v27, v4, s86 dst_sel:DWORD dst_unused:UNUSED_PAD src0_sel:BYTE_3 src1_sel:DWORD
; %bb.14195:                            ;   in Loop: Header=BB6_13779 Depth=3
	s_or_b64 exec, exec, s[40:41]
	v_and_b32_sdwa v5, v16, s87 dst_sel:DWORD dst_unused:UNUSED_PAD src0_sel:WORD_1 src1_sel:DWORD
	v_lshrrev_b32_e32 v17, 16, v16
	v_cmp_ne_u16_e32 vcc, 0, v5
	v_mov_b32_e32 v4, 0
	s_and_saveexec_b64 s[40:41], vcc
	s_cbranch_execz .LBB6_14201
; %bb.14196:                            ;   in Loop: Header=BB6_13779 Depth=3
	v_cmp_ne_u16_e32 vcc, s96, v5
	v_bfrev_b32_e32 v4, 1
	s_and_saveexec_b64 s[42:43], vcc
	s_cbranch_execz .LBB6_14200
; %bb.14197:                            ;   in Loop: Header=BB6_13779 Depth=3
	v_bfe_u32 v5, v16, 16, 7
	v_cmp_ne_u32_e32 vcc, s86, v5
	v_mov_b32_e32 v4, 0x7f800001
	s_and_saveexec_b64 s[38:39], vcc
	s_cbranch_execz .LBB6_14199
; %bb.14198:                            ;   in Loop: Header=BB6_13779 Depth=3
	v_and_b32_e32 v18, 7, v17
	v_ffbh_u32_e32 v4, v18
	v_min_u32_e32 v33, 32, v4
	v_subrev_u32_e32 v4, 28, v33
	v_lshrrev_b32_e32 v30, 3, v5
	v_cmp_gt_u32_e32 vcc, 8, v5
	v_lshlrev_b64 v[4:5], v4, v[17:18]
	v_sub_u32_e32 v5, 29, v33
	v_and_b32_e32 v4, 7, v4
	v_mov_b32_e32 v17, 24
	v_cndmask_b32_e32 v5, v30, v5, vcc
	v_cndmask_b32_e32 v4, v18, v4, vcc
	v_lshlrev_b32_sdwa v17, v17, v16 dst_sel:DWORD dst_unused:UNUSED_PAD src0_sel:DWORD src1_sel:WORD_1
	v_bfrev_b32_e32 v18, 60
	v_lshlrev_b32_e32 v4, 20, v4
	v_and_b32_e32 v17, 0x80000000, v17
	v_lshl_add_u32 v5, v5, 23, v18
	v_or3_b32 v4, v17, v5, v4
.LBB6_14199:                            ;   in Loop: Header=BB6_13779 Depth=3
	s_or_b64 exec, exec, s[38:39]
.LBB6_14200:                            ;   in Loop: Header=BB6_13779 Depth=3
	s_or_b64 exec, exec, s[42:43]
.LBB6_14201:                            ;   in Loop: Header=BB6_13779 Depth=3
	s_or_b64 exec, exec, s[40:41]
	v_lshrrev_b32_e32 v17, 16, v8
	v_cmp_gt_i16_sdwa s[42:43], v17, s86 src0_sel:BYTE_0 src1_sel:DWORD
	s_mov_b64 s[40:41], 0
	s_and_saveexec_b64 vcc, s[42:43]
	s_xor_b64 s[42:43], exec, vcc
	s_cbranch_execz .LBB6_14574
; %bb.14202:                            ;   in Loop: Header=BB6_13779 Depth=3
	v_cmp_eq_u16_sdwa s[38:39], v17, s96 src0_sel:BYTE_0 src1_sel:DWORD
	s_mov_b64 s[40:41], -1
	s_and_saveexec_b64 vcc, s[38:39]
; %bb.14203:                            ;   in Loop: Header=BB6_13779 Depth=3
	s_xor_b64 s[40:41], exec, -1
; %bb.14204:                            ;   in Loop: Header=BB6_13779 Depth=3
	s_or_b64 exec, exec, vcc
	s_and_b64 s[40:41], s[40:41], exec
	s_or_saveexec_b64 s[42:43], s[42:43]
	v_bfrev_b32_e32 v5, 1
	s_xor_b64 exec, exec, s[42:43]
	s_cbranch_execnz .LBB6_14575
.LBB6_14205:                            ;   in Loop: Header=BB6_13779 Depth=3
	s_or_b64 exec, exec, s[42:43]
	s_and_saveexec_b64 s[42:43], s[40:41]
	s_cbranch_execz .LBB6_14207
.LBB6_14206:                            ;   in Loop: Header=BB6_13779 Depth=3
	v_and_b32_e32 v5, 7, v17
	v_ffbh_u32_e32 v33, v5
	v_min_u32_e32 v33, 32, v33
	v_and_b32_e32 v18, 0x7f, v17
	v_subrev_u32_e32 v48, 28, v33
	v_lshlrev_b64 v[48:49], v48, v[17:18]
	v_bfe_u32 v30, v17, 3, 4
	v_sub_u32_e32 v33, 29, v33
	v_and_b32_e32 v48, 7, v48
	v_cmp_gt_u32_e32 vcc, 8, v18
	v_cndmask_b32_e32 v30, v30, v33, vcc
	v_cndmask_b32_e32 v5, v5, v48, vcc
	v_lshlrev_b32_e32 v17, 24, v17
	v_bfrev_b32_e32 v33, 60
	v_lshlrev_b32_e32 v5, 20, v5
	v_and_b32_e32 v17, 0x80000000, v17
	v_lshl_add_u32 v30, v30, 23, v33
	v_or3_b32 v5, v17, v30, v5
	v_cmp_ne_u32_e32 vcc, s86, v18
	v_mov_b32_e32 v17, 0x7f800001
	v_cndmask_b32_e32 v5, v17, v5, vcc
.LBB6_14207:                            ;   in Loop: Header=BB6_13779 Depth=3
	s_or_b64 exec, exec, s[42:43]
	v_add_f32_e32 v4, v4, v5
	v_and_b32_e32 v17, 0x7f800000, v4
	v_mov_b32_e32 v18, v51
	v_cmp_ne_u64_e32 vcc, s[76:77], v[17:18]
                                        ; implicit-def: $vgpr30
	s_and_saveexec_b64 s[40:41], vcc
	s_xor_b64 s[42:43], exec, s[40:41]
	s_cbranch_execz .LBB6_14221
; %bb.14208:                            ;   in Loop: Header=BB6_13779 Depth=3
	v_and_b32_e32 v17, 0x7fffffff, v4
	v_mov_b32_e32 v18, v51
	v_cmp_gt_u64_e32 vcc, s[78:79], v[17:18]
	v_and_b32_sdwa v33, v4, s96 dst_sel:DWORD dst_unused:UNUSED_PAD src0_sel:BYTE_3 src1_sel:DWORD
                                        ; implicit-def: $vgpr30
	s_and_saveexec_b64 s[40:41], vcc
	s_xor_b64 s[38:39], exec, s[40:41]
	s_cbranch_execz .LBB6_14218
; %bb.14209:                            ;   in Loop: Header=BB6_13779 Depth=3
	v_mov_b32_e32 v30, 0
	v_cmp_ne_u32_e32 vcc, 0, v4
	s_and_saveexec_b64 s[48:49], vcc
	s_cbranch_execz .LBB6_14217
; %bb.14210:                            ;   in Loop: Header=BB6_13779 Depth=3
	v_bfe_u32 v30, v4, 23, 8
	v_and_b32_e32 v5, 0x7fffff, v4
	v_cmp_gt_u32_e64 s[40:41], s97, v30
	v_sub_u32_e32 v4, 0x79, v30
	v_cmp_eq_u32_e32 vcc, 0, v30
	v_cndmask_b32_e64 v4, 0, v4, s[40:41]
	v_mov_b32_e32 v18, 0x78
	v_or_b32_e32 v17, 0x800000, v5
	v_cndmask_b32_e32 v48, v4, v18, vcc
	v_cndmask_b32_e32 v4, v17, v5, vcc
	v_add_u32_e32 v17, 20, v48
	v_lshlrev_b64 v[17:18], v17, -1
	v_add_u32_e32 v49, 19, v48
	v_lshlrev_b64 v[49:50], v49, 1
	v_mov_b32_e32 v5, v51
	v_bfi_b32 v18, v18, 0, 0
	v_bfi_b32 v17, v17, 0, v4
	v_cmp_eq_u64_e64 s[40:41], v[17:18], v[49:50]
	v_lshrrev_b64 v[17:18], v48, v[4:5]
	v_mov_b32_e32 v4, v17
	v_mov_b32_e32 v5, v18
	s_and_saveexec_b64 s[50:51], s[40:41]
; %bb.14211:                            ;   in Loop: Header=BB6_13779 Depth=3
	v_bfe_u32 v4, v17, 20, 1
	v_add_co_u32_e64 v4, s[40:41], v17, v4
	v_add_co_u32_e64 v4, s[40:41], -1, v4
; %bb.14212:                            ;   in Loop: Header=BB6_13779 Depth=3
	s_or_b64 exec, exec, s[50:51]
	v_add_u32_e32 v5, 0xffffff81, v30
	v_mov_b32_e32 v18, 0xffffff82
	v_cndmask_b32_e32 v5, v5, v18, vcc
	v_lshrrev_b32_e32 v18, 23, v17
	v_add3_u32 v30, v48, v5, v18
	v_add_u32_e32 v5, 6, v30
	v_and_b32_e32 v4, 0xfffff, v4
	v_add_u32_e32 v17, v4, v17
	v_mov_b32_e32 v18, v51
	v_cmp_ne_u32_e32 vcc, 0, v5
                                        ; implicit-def: $vgpr4
	s_and_saveexec_b64 s[40:41], vcc
	s_xor_b64 s[40:41], exec, s[40:41]
; %bb.14213:                            ;   in Loop: Header=BB6_13779 Depth=3
	v_cmp_lt_u64_e32 vcc, s[88:89], v[17:18]
	v_add_u32_e32 v4, 7, v30
	v_cndmask_b32_e32 v4, v5, v4, vcc
	v_cndmask_b32_e64 v5, 0, 1, vcc
	v_lshrrev_b64 v[17:18], v5, v[17:18]
; %bb.14214:                            ;   in Loop: Header=BB6_13779 Depth=3
	s_andn2_saveexec_b64 s[40:41], s[40:41]
; %bb.14215:                            ;   in Loop: Header=BB6_13779 Depth=3
	v_bfe_u32 v4, v17, 23, 1
; %bb.14216:                            ;   in Loop: Header=BB6_13779 Depth=3
	s_or_b64 exec, exec, s[40:41]
	v_lshrrev_b64 v[17:18], 20, v[17:18]
	v_cmp_gt_i32_e32 vcc, 16, v4
	v_cndmask_b32_e32 v18, 0, v18, vcc
	v_cndmask_b32_e32 v17, 7, v17, vcc
	v_cmp_eq_u32_e32 vcc, 0, v4
	v_min_i32_e32 v4, 15, v4
	v_cmp_eq_u64_e64 s[40:41], 0, v[17:18]
	v_lshlrev_b32_e32 v4, 3, v4
	v_and_b32_e32 v4, 0xf8, v4
	v_and_or_b32 v4, v17, 7, v4
	s_and_b64 s[40:41], vcc, s[40:41]
	v_cndmask_b32_e64 v4, v4, 0, s[40:41]
	v_or_b32_e32 v30, v4, v33
.LBB6_14217:                            ;   in Loop: Header=BB6_13779 Depth=3
	s_or_b64 exec, exec, s[48:49]
                                        ; implicit-def: $vgpr33
.LBB6_14218:                            ;   in Loop: Header=BB6_13779 Depth=3
	s_andn2_saveexec_b64 s[40:41], s[38:39]
; %bb.14219:                            ;   in Loop: Header=BB6_13779 Depth=3
	v_or_b32_e32 v30, 0x7e, v33
; %bb.14220:                            ;   in Loop: Header=BB6_13779 Depth=3
	s_or_b64 exec, exec, s[40:41]
                                        ; implicit-def: $vgpr4
.LBB6_14221:                            ;   in Loop: Header=BB6_13779 Depth=3
	s_andn2_saveexec_b64 s[40:41], s[42:43]
; %bb.14222:                            ;   in Loop: Header=BB6_13779 Depth=3
	v_or_b32_sdwa v30, v4, s86 dst_sel:DWORD dst_unused:UNUSED_PAD src0_sel:BYTE_3 src1_sel:DWORD
; %bb.14223:                            ;   in Loop: Header=BB6_13779 Depth=3
	s_or_b64 exec, exec, s[40:41]
	v_cmp_lt_u32_e32 vcc, s57, v16
	v_mov_b32_e32 v4, 0
	s_and_saveexec_b64 s[40:41], vcc
	s_cbranch_execz .LBB6_14229
; %bb.14224:                            ;   in Loop: Header=BB6_13779 Depth=3
	v_lshrrev_b32_e32 v17, 24, v16
	v_cmp_ne_u32_e32 vcc, s96, v17
	v_bfrev_b32_e32 v4, 1
	s_and_saveexec_b64 s[42:43], vcc
	s_cbranch_execz .LBB6_14228
; %bb.14225:                            ;   in Loop: Header=BB6_13779 Depth=3
	v_bfe_u32 v5, v16, 24, 7
	v_cmp_ne_u32_e32 vcc, s86, v5
	v_mov_b32_e32 v4, 0x7f800001
	s_and_saveexec_b64 s[38:39], vcc
	s_cbranch_execz .LBB6_14227
; %bb.14226:                            ;   in Loop: Header=BB6_13779 Depth=3
	v_and_b32_e32 v16, 7, v17
	v_ffbh_u32_e32 v4, v16
	v_min_u32_e32 v33, 32, v4
	v_lshrrev_b32_e32 v18, 3, v5
	v_subrev_u32_e32 v4, 28, v33
	v_cmp_gt_u32_e32 vcc, 8, v5
	v_lshlrev_b64 v[4:5], v4, v[17:18]
	v_sub_u32_e32 v5, 29, v33
	v_and_b32_e32 v4, 7, v4
	v_cndmask_b32_e32 v5, v18, v5, vcc
	v_cndmask_b32_e32 v4, v16, v4, vcc
	v_lshlrev_b32_e32 v16, 24, v17
	v_bfrev_b32_e32 v17, 60
	v_lshlrev_b32_e32 v4, 20, v4
	v_and_b32_e32 v16, 0x80000000, v16
	v_lshl_add_u32 v5, v5, 23, v17
	v_or3_b32 v4, v16, v5, v4
.LBB6_14227:                            ;   in Loop: Header=BB6_13779 Depth=3
	s_or_b64 exec, exec, s[38:39]
.LBB6_14228:                            ;   in Loop: Header=BB6_13779 Depth=3
	s_or_b64 exec, exec, s[42:43]
.LBB6_14229:                            ;   in Loop: Header=BB6_13779 Depth=3
	s_or_b64 exec, exec, s[40:41]
	v_bfe_u32 v18, v8, 24, 3
	v_ffbh_u32_e32 v16, v18
	v_min_u32_e32 v49, 32, v16
	v_lshrrev_b32_e32 v5, 24, v8
	v_subrev_u32_e32 v16, 28, v49
	v_lshlrev_b64 v[16:17], v16, v[5:6]
	v_bfe_u32 v33, v8, 24, 7
	v_bfe_u32 v48, v5, 3, 4
	v_sub_u32_e32 v17, 29, v49
	v_and_b32_e32 v16, 7, v16
	v_cmp_gt_u32_e32 vcc, 8, v33
	v_cndmask_b32_e32 v17, v48, v17, vcc
	v_cndmask_b32_e32 v16, v18, v16, vcc
	v_bfrev_b32_e32 v48, 60
	v_lshlrev_b32_e32 v16, 20, v16
	v_and_b32_e32 v18, 0x80000000, v8
	v_lshl_add_u32 v17, v17, 23, v48
	v_or3_b32 v16, v18, v17, v16
	v_cmp_ne_u32_e32 vcc, s86, v33
	v_mov_b32_e32 v17, 0x7f800001
	v_cndmask_b32_e32 v16, v17, v16, vcc
	v_cmp_ne_u32_e32 vcc, s96, v5
	v_bfrev_b32_e32 v5, 1
	v_cndmask_b32_e32 v5, v5, v16, vcc
	v_cmp_lt_u32_e32 vcc, s57, v8
	v_cndmask_b32_e32 v5, 0, v5, vcc
	v_add_f32_e32 v4, v5, v4
	v_and_b32_e32 v16, 0x7f800000, v4
	v_mov_b32_e32 v17, v51
	v_cmp_ne_u64_e32 vcc, s[76:77], v[16:17]
                                        ; implicit-def: $vgpr33
	s_and_saveexec_b64 s[40:41], vcc
	s_xor_b64 s[42:43], exec, s[40:41]
	s_cbranch_execz .LBB6_14243
; %bb.14230:                            ;   in Loop: Header=BB6_13779 Depth=3
	v_and_b32_e32 v16, 0x7fffffff, v4
	v_mov_b32_e32 v17, v51
	v_cmp_gt_u64_e32 vcc, s[78:79], v[16:17]
	v_and_b32_sdwa v18, v4, s96 dst_sel:DWORD dst_unused:UNUSED_PAD src0_sel:BYTE_3 src1_sel:DWORD
                                        ; implicit-def: $vgpr33
	s_and_saveexec_b64 s[40:41], vcc
	s_xor_b64 s[38:39], exec, s[40:41]
	s_cbranch_execz .LBB6_14240
; %bb.14231:                            ;   in Loop: Header=BB6_13779 Depth=3
	v_mov_b32_e32 v33, 0
	v_cmp_ne_u32_e32 vcc, 0, v4
	s_and_saveexec_b64 s[48:49], vcc
	s_cbranch_execz .LBB6_14239
; %bb.14232:                            ;   in Loop: Header=BB6_13779 Depth=3
	v_bfe_u32 v33, v4, 23, 8
	v_and_b32_e32 v5, 0x7fffff, v4
	v_cmp_gt_u32_e64 s[40:41], s97, v33
	v_sub_u32_e32 v4, 0x79, v33
	v_cmp_eq_u32_e32 vcc, 0, v33
	v_cndmask_b32_e64 v4, 0, v4, s[40:41]
	v_mov_b32_e32 v17, 0x78
	v_or_b32_e32 v16, 0x800000, v5
	v_cndmask_b32_e32 v48, v4, v17, vcc
	v_cndmask_b32_e32 v4, v16, v5, vcc
	v_add_u32_e32 v16, 20, v48
	v_lshlrev_b64 v[16:17], v16, -1
	v_add_u32_e32 v49, 19, v48
	v_lshlrev_b64 v[49:50], v49, 1
	v_mov_b32_e32 v5, v51
	v_bfi_b32 v17, v17, 0, 0
	v_bfi_b32 v16, v16, 0, v4
	v_cmp_eq_u64_e64 s[40:41], v[16:17], v[49:50]
	v_lshrrev_b64 v[16:17], v48, v[4:5]
	v_mov_b32_e32 v4, v16
	v_mov_b32_e32 v5, v17
	s_and_saveexec_b64 s[50:51], s[40:41]
; %bb.14233:                            ;   in Loop: Header=BB6_13779 Depth=3
	v_bfe_u32 v4, v16, 20, 1
	v_add_co_u32_e64 v4, s[40:41], v16, v4
	v_add_co_u32_e64 v4, s[40:41], -1, v4
; %bb.14234:                            ;   in Loop: Header=BB6_13779 Depth=3
	s_or_b64 exec, exec, s[50:51]
	v_add_u32_e32 v5, 0xffffff81, v33
	v_mov_b32_e32 v17, 0xffffff82
	v_cndmask_b32_e32 v5, v5, v17, vcc
	v_lshrrev_b32_e32 v17, 23, v16
	v_add3_u32 v33, v48, v5, v17
	v_add_u32_e32 v5, 6, v33
	v_and_b32_e32 v4, 0xfffff, v4
	v_add_u32_e32 v16, v4, v16
	v_mov_b32_e32 v17, v51
	v_cmp_ne_u32_e32 vcc, 0, v5
                                        ; implicit-def: $vgpr4
	s_and_saveexec_b64 s[40:41], vcc
	s_xor_b64 s[40:41], exec, s[40:41]
; %bb.14235:                            ;   in Loop: Header=BB6_13779 Depth=3
	v_cmp_lt_u64_e32 vcc, s[88:89], v[16:17]
	v_add_u32_e32 v4, 7, v33
	v_cndmask_b32_e32 v4, v5, v4, vcc
	v_cndmask_b32_e64 v5, 0, 1, vcc
	v_lshrrev_b64 v[16:17], v5, v[16:17]
; %bb.14236:                            ;   in Loop: Header=BB6_13779 Depth=3
	s_andn2_saveexec_b64 s[40:41], s[40:41]
; %bb.14237:                            ;   in Loop: Header=BB6_13779 Depth=3
	v_bfe_u32 v4, v16, 23, 1
; %bb.14238:                            ;   in Loop: Header=BB6_13779 Depth=3
	s_or_b64 exec, exec, s[40:41]
	v_lshrrev_b64 v[16:17], 20, v[16:17]
	v_cmp_gt_i32_e32 vcc, 16, v4
	v_cndmask_b32_e32 v17, 0, v17, vcc
	v_cndmask_b32_e32 v16, 7, v16, vcc
	v_cmp_eq_u32_e32 vcc, 0, v4
	v_min_i32_e32 v4, 15, v4
	v_cmp_eq_u64_e64 s[40:41], 0, v[16:17]
	v_lshlrev_b32_e32 v4, 3, v4
	v_and_b32_e32 v4, 0xf8, v4
	v_and_or_b32 v4, v16, 7, v4
	s_and_b64 s[40:41], vcc, s[40:41]
	v_cndmask_b32_e64 v4, v4, 0, s[40:41]
	v_or_b32_e32 v33, v4, v18
.LBB6_14239:                            ;   in Loop: Header=BB6_13779 Depth=3
	s_or_b64 exec, exec, s[48:49]
                                        ; implicit-def: $vgpr18
.LBB6_14240:                            ;   in Loop: Header=BB6_13779 Depth=3
	s_andn2_saveexec_b64 s[40:41], s[38:39]
; %bb.14241:                            ;   in Loop: Header=BB6_13779 Depth=3
	v_or_b32_e32 v33, 0x7e, v18
; %bb.14242:                            ;   in Loop: Header=BB6_13779 Depth=3
	s_or_b64 exec, exec, s[40:41]
                                        ; implicit-def: $vgpr4
.LBB6_14243:                            ;   in Loop: Header=BB6_13779 Depth=3
	s_andn2_saveexec_b64 s[40:41], s[42:43]
; %bb.14244:                            ;   in Loop: Header=BB6_13779 Depth=3
	v_or_b32_sdwa v33, v4, s86 dst_sel:DWORD dst_unused:UNUSED_PAD src0_sel:BYTE_3 src1_sel:DWORD
; %bb.14245:                            ;   in Loop: Header=BB6_13779 Depth=3
	s_or_b64 exec, exec, s[40:41]
	v_lshl_or_b32 v36, v36, 8, v19
	v_lshlrev_b32_e32 v4, 16, v38
	v_lshlrev_b32_e32 v5, 24, v39
	v_or3_b32 v16, v4, v5, v36
	v_mov_b32_e32 v17, v51
	v_cmp_ne_u32_e32 vcc, 0, v19
	v_mov_b32_e32 v4, 0
	s_and_saveexec_b64 s[40:41], vcc
	s_cbranch_execz .LBB6_14251
; %bb.14246:                            ;   in Loop: Header=BB6_13779 Depth=3
	v_cmp_ne_u32_e32 vcc, s96, v19
	v_bfrev_b32_e32 v4, 1
	s_and_saveexec_b64 s[42:43], vcc
	s_cbranch_execz .LBB6_14250
; %bb.14247:                            ;   in Loop: Header=BB6_13779 Depth=3
	v_and_b32_e32 v5, 0x7f, v19
	v_cmp_ne_u32_e32 vcc, s86, v5
	v_mov_b32_e32 v4, 0x7f800001
	s_and_saveexec_b64 s[38:39], vcc
	s_cbranch_execz .LBB6_14249
; %bb.14248:                            ;   in Loop: Header=BB6_13779 Depth=3
	v_and_b32_e32 v4, 7, v19
	v_ffbh_u32_e32 v4, v4
	v_min_u32_e32 v4, 32, v4
	v_lshrrev_b32_e32 v18, 3, v5
	v_cmp_gt_u32_e32 vcc, 8, v5
	v_subrev_u32_e32 v5, 28, v4
	v_sub_u32_e32 v4, 29, v4
	v_cndmask_b32_e32 v18, v18, v4, vcc
	v_cndmask_b32_e32 v4, 0, v5, vcc
	v_lshlrev_b64 v[4:5], v4, v[16:17]
	v_lshlrev_b32_e32 v5, 24, v16
	v_lshlrev_b32_e32 v4, 20, v4
	v_bfrev_b32_e32 v17, 60
	v_and_b32_e32 v4, 0x700000, v4
	v_and_b32_e32 v5, 0x80000000, v5
	v_lshl_add_u32 v17, v18, 23, v17
	v_or3_b32 v4, v5, v17, v4
.LBB6_14249:                            ;   in Loop: Header=BB6_13779 Depth=3
	s_or_b64 exec, exec, s[38:39]
.LBB6_14250:                            ;   in Loop: Header=BB6_13779 Depth=3
	s_or_b64 exec, exec, s[42:43]
.LBB6_14251:                            ;   in Loop: Header=BB6_13779 Depth=3
	s_or_b64 exec, exec, s[40:41]
	v_cmp_gt_i16_sdwa s[42:43], v9, s86 src0_sel:BYTE_0 src1_sel:DWORD
	s_mov_b64 s[40:41], 0
	s_and_saveexec_b64 vcc, s[42:43]
	s_xor_b64 s[42:43], exec, vcc
	s_cbranch_execz .LBB6_14255
; %bb.14252:                            ;   in Loop: Header=BB6_13779 Depth=3
	v_cmp_eq_u16_sdwa s[38:39], v9, s96 src0_sel:BYTE_0 src1_sel:DWORD
	s_mov_b64 s[40:41], -1
	s_and_saveexec_b64 vcc, s[38:39]
; %bb.14253:                            ;   in Loop: Header=BB6_13779 Depth=3
	s_xor_b64 s[40:41], exec, -1
; %bb.14254:                            ;   in Loop: Header=BB6_13779 Depth=3
	s_or_b64 exec, exec, vcc
	s_and_b64 s[40:41], s[40:41], exec
.LBB6_14255:                            ;   in Loop: Header=BB6_13779 Depth=3
	s_or_saveexec_b64 s[42:43], s[42:43]
	v_bfrev_b32_e32 v5, 1
	s_xor_b64 exec, exec, s[42:43]
; %bb.14256:                            ;   in Loop: Header=BB6_13779 Depth=3
	v_cmp_ne_u16_sdwa vcc, v9, v51 src0_sel:BYTE_0 src1_sel:DWORD
	s_andn2_b64 s[40:41], s[40:41], exec
	s_and_b64 vcc, vcc, exec
	v_mov_b32_e32 v5, 0
	s_or_b64 s[40:41], s[40:41], vcc
; %bb.14257:                            ;   in Loop: Header=BB6_13779 Depth=3
	s_or_b64 exec, exec, s[42:43]
	v_mov_b32_e32 v17, v9
	v_mov_b32_e32 v18, v51
	s_and_saveexec_b64 s[42:43], s[40:41]
	s_cbranch_execz .LBB6_14259
; %bb.14258:                            ;   in Loop: Header=BB6_13779 Depth=3
	v_and_b32_e32 v5, 7, v9
	v_ffbh_u32_e32 v5, v5
	v_and_b32_e32 v38, 0x7f, v9
	v_min_u32_e32 v5, 32, v5
	v_bfe_u32 v19, v9, 3, 4
	v_subrev_u32_e32 v39, 28, v5
	v_sub_u32_e32 v5, 29, v5
	v_cmp_gt_u32_e32 vcc, 8, v38
	v_cndmask_b32_e32 v5, v19, v5, vcc
	v_cndmask_b32_e32 v19, 0, v39, vcc
	v_lshlrev_b64 v[18:19], v19, v[17:18]
	v_lshlrev_b32_e32 v19, 24, v17
	v_lshlrev_b32_e32 v18, 20, v18
	v_bfrev_b32_e32 v39, 60
	v_and_b32_e32 v18, 0x700000, v18
	v_and_b32_e32 v19, 0x80000000, v19
	v_lshl_add_u32 v5, v5, 23, v39
	v_or3_b32 v5, v19, v5, v18
	v_cmp_ne_u32_e32 vcc, s86, v38
	v_mov_b32_e32 v18, 0x7f800001
	v_cndmask_b32_e32 v5, v18, v5, vcc
.LBB6_14259:                            ;   in Loop: Header=BB6_13779 Depth=3
	s_or_b64 exec, exec, s[42:43]
	v_add_f32_e32 v4, v4, v5
	v_and_b32_e32 v18, 0x7f800000, v4
	v_mov_b32_e32 v19, v51
	v_cmp_ne_u64_e32 vcc, s[76:77], v[18:19]
                                        ; implicit-def: $vgpr19
	s_and_saveexec_b64 s[40:41], vcc
	s_xor_b64 s[42:43], exec, s[40:41]
	s_cbranch_execz .LBB6_14273
; %bb.14260:                            ;   in Loop: Header=BB6_13779 Depth=3
	v_and_b32_e32 v18, 0x7fffffff, v4
	v_mov_b32_e32 v19, v51
	v_cmp_gt_u64_e32 vcc, s[78:79], v[18:19]
	v_and_b32_sdwa v38, v4, s96 dst_sel:DWORD dst_unused:UNUSED_PAD src0_sel:BYTE_3 src1_sel:DWORD
                                        ; implicit-def: $vgpr19
	s_and_saveexec_b64 s[40:41], vcc
	s_xor_b64 s[38:39], exec, s[40:41]
	s_cbranch_execz .LBB6_14270
; %bb.14261:                            ;   in Loop: Header=BB6_13779 Depth=3
	v_mov_b32_e32 v19, 0
	v_cmp_ne_u32_e32 vcc, 0, v4
	s_and_saveexec_b64 s[48:49], vcc
	s_cbranch_execz .LBB6_14269
; %bb.14262:                            ;   in Loop: Header=BB6_13779 Depth=3
	v_bfe_u32 v39, v4, 23, 8
	v_and_b32_e32 v5, 0x7fffff, v4
	v_cmp_gt_u32_e64 s[40:41], s97, v39
	v_sub_u32_e32 v4, 0x79, v39
	v_cmp_eq_u32_e32 vcc, 0, v39
	v_cndmask_b32_e64 v4, 0, v4, s[40:41]
	v_mov_b32_e32 v19, 0x78
	v_or_b32_e32 v18, 0x800000, v5
	v_cndmask_b32_e32 v48, v4, v19, vcc
	v_cndmask_b32_e32 v4, v18, v5, vcc
	v_add_u32_e32 v18, 20, v48
	v_lshlrev_b64 v[18:19], v18, -1
	v_add_u32_e32 v49, 19, v48
	v_lshlrev_b64 v[49:50], v49, 1
	v_mov_b32_e32 v5, v51
	v_bfi_b32 v19, v19, 0, 0
	v_bfi_b32 v18, v18, 0, v4
	v_cmp_eq_u64_e64 s[40:41], v[18:19], v[49:50]
	v_lshrrev_b64 v[18:19], v48, v[4:5]
	v_mov_b32_e32 v4, v18
	v_mov_b32_e32 v5, v19
	s_and_saveexec_b64 s[50:51], s[40:41]
; %bb.14263:                            ;   in Loop: Header=BB6_13779 Depth=3
	v_bfe_u32 v4, v18, 20, 1
	v_add_co_u32_e64 v4, s[40:41], v18, v4
	v_add_co_u32_e64 v4, s[40:41], -1, v4
; %bb.14264:                            ;   in Loop: Header=BB6_13779 Depth=3
	s_or_b64 exec, exec, s[50:51]
	v_add_u32_e32 v5, 0xffffff81, v39
	v_mov_b32_e32 v19, 0xffffff82
	v_cndmask_b32_e32 v5, v5, v19, vcc
	v_lshrrev_b32_e32 v19, 23, v18
	v_add3_u32 v39, v48, v5, v19
	v_add_u32_e32 v5, 6, v39
	v_and_b32_e32 v4, 0xfffff, v4
	v_add_u32_e32 v18, v4, v18
	v_mov_b32_e32 v19, v51
	v_cmp_ne_u32_e32 vcc, 0, v5
                                        ; implicit-def: $vgpr4
	s_and_saveexec_b64 s[40:41], vcc
	s_xor_b64 s[40:41], exec, s[40:41]
; %bb.14265:                            ;   in Loop: Header=BB6_13779 Depth=3
	v_cmp_lt_u64_e32 vcc, s[88:89], v[18:19]
	v_add_u32_e32 v4, 7, v39
	v_cndmask_b32_e32 v4, v5, v4, vcc
	v_cndmask_b32_e64 v5, 0, 1, vcc
	v_lshrrev_b64 v[18:19], v5, v[18:19]
; %bb.14266:                            ;   in Loop: Header=BB6_13779 Depth=3
	s_andn2_saveexec_b64 s[40:41], s[40:41]
; %bb.14267:                            ;   in Loop: Header=BB6_13779 Depth=3
	v_bfe_u32 v4, v18, 23, 1
; %bb.14268:                            ;   in Loop: Header=BB6_13779 Depth=3
	s_or_b64 exec, exec, s[40:41]
	v_lshrrev_b64 v[18:19], 20, v[18:19]
	v_cmp_gt_i32_e32 vcc, 16, v4
	v_cndmask_b32_e32 v19, 0, v19, vcc
	v_cndmask_b32_e32 v18, 7, v18, vcc
	v_cmp_eq_u32_e32 vcc, 0, v4
	v_min_i32_e32 v4, 15, v4
	v_cmp_eq_u64_e64 s[40:41], 0, v[18:19]
	v_lshlrev_b32_e32 v4, 3, v4
	v_and_b32_e32 v4, 0xf8, v4
	v_and_or_b32 v4, v18, 7, v4
	s_and_b64 s[40:41], vcc, s[40:41]
	v_cndmask_b32_e64 v4, v4, 0, s[40:41]
	v_or_b32_e32 v19, v4, v38
.LBB6_14269:                            ;   in Loop: Header=BB6_13779 Depth=3
	s_or_b64 exec, exec, s[48:49]
                                        ; implicit-def: $vgpr38
.LBB6_14270:                            ;   in Loop: Header=BB6_13779 Depth=3
	s_andn2_saveexec_b64 s[40:41], s[38:39]
; %bb.14271:                            ;   in Loop: Header=BB6_13779 Depth=3
	v_or_b32_e32 v19, 0x7e, v38
; %bb.14272:                            ;   in Loop: Header=BB6_13779 Depth=3
	s_or_b64 exec, exec, s[40:41]
                                        ; implicit-def: $vgpr4
.LBB6_14273:                            ;   in Loop: Header=BB6_13779 Depth=3
	s_andn2_saveexec_b64 s[40:41], s[42:43]
; %bb.14274:                            ;   in Loop: Header=BB6_13779 Depth=3
	v_or_b32_sdwa v19, v4, s86 dst_sel:DWORD dst_unused:UNUSED_PAD src0_sel:BYTE_3 src1_sel:DWORD
; %bb.14275:                            ;   in Loop: Header=BB6_13779 Depth=3
	s_or_b64 exec, exec, s[40:41]
	v_lshrrev_b16_e32 v18, 8, v36
	v_cmp_ne_u16_e32 vcc, 0, v18
	v_mov_b32_e32 v4, 0
	s_and_saveexec_b64 s[40:41], vcc
	s_cbranch_execz .LBB6_14281
; %bb.14276:                            ;   in Loop: Header=BB6_13779 Depth=3
	v_cmp_ne_u16_e32 vcc, s96, v18
	v_bfrev_b32_e32 v4, 1
	s_and_saveexec_b64 s[42:43], vcc
	s_cbranch_execz .LBB6_14280
; %bb.14277:                            ;   in Loop: Header=BB6_13779 Depth=3
	v_and_b32_e32 v5, 0x7f, v18
	v_cmp_ne_u32_e32 vcc, s86, v5
	v_mov_b32_e32 v4, 0x7f800001
	s_and_saveexec_b64 s[38:39], vcc
	s_cbranch_execz .LBB6_14279
; %bb.14278:                            ;   in Loop: Header=BB6_13779 Depth=3
	v_and_b32_e32 v38, 7, v18
	v_ffbh_u32_e32 v4, v38
	v_min_u32_e32 v48, 32, v4
	v_subrev_u32_e32 v4, 28, v48
	v_lshrrev_b32_e32 v39, 3, v5
	v_cmp_gt_u32_e32 vcc, 8, v5
	v_lshlrev_b64 v[4:5], v4, v[18:19]
	v_sub_u32_e32 v5, 29, v48
	v_and_b32_e32 v4, 7, v4
	v_cndmask_b32_e32 v5, v39, v5, vcc
	v_cndmask_b32_e32 v4, v38, v4, vcc
	v_lshlrev_b32_e32 v18, 16, v36
	v_bfrev_b32_e32 v36, 60
	v_lshlrev_b32_e32 v4, 20, v4
	v_and_b32_e32 v18, 0x80000000, v18
	v_lshl_add_u32 v5, v5, 23, v36
	v_or3_b32 v4, v18, v5, v4
.LBB6_14279:                            ;   in Loop: Header=BB6_13779 Depth=3
	s_or_b64 exec, exec, s[38:39]
.LBB6_14280:                            ;   in Loop: Header=BB6_13779 Depth=3
	s_or_b64 exec, exec, s[42:43]
.LBB6_14281:                            ;   in Loop: Header=BB6_13779 Depth=3
	s_or_b64 exec, exec, s[40:41]
	v_lshrrev_b16_e32 v17, 8, v17
	v_cmp_lt_i16_e32 vcc, s86, v17
	s_mov_b64 s[40:41], 0
	s_and_saveexec_b64 s[42:43], vcc
	s_xor_b64 s[42:43], exec, s[42:43]
	s_cbranch_execz .LBB6_14576
; %bb.14282:                            ;   in Loop: Header=BB6_13779 Depth=3
	v_cmp_eq_u16_e32 vcc, s96, v17
	s_mov_b64 s[40:41], -1
	s_and_saveexec_b64 s[38:39], vcc
; %bb.14283:                            ;   in Loop: Header=BB6_13779 Depth=3
	s_xor_b64 s[40:41], exec, -1
; %bb.14284:                            ;   in Loop: Header=BB6_13779 Depth=3
	s_or_b64 exec, exec, s[38:39]
	s_and_b64 s[40:41], s[40:41], exec
	s_or_saveexec_b64 s[42:43], s[42:43]
	v_bfrev_b32_e32 v5, 1
	s_xor_b64 exec, exec, s[42:43]
	s_cbranch_execnz .LBB6_14577
.LBB6_14285:                            ;   in Loop: Header=BB6_13779 Depth=3
	s_or_b64 exec, exec, s[42:43]
	s_and_saveexec_b64 s[42:43], s[40:41]
	s_cbranch_execz .LBB6_14287
.LBB6_14286:                            ;   in Loop: Header=BB6_13779 Depth=3
	v_and_b32_e32 v5, 7, v17
	v_ffbh_u32_e32 v38, v5
	v_min_u32_e32 v49, 32, v38
	v_mov_b32_e32 v18, v51
	v_subrev_u32_e32 v38, 28, v49
	v_lshlrev_b64 v[38:39], v38, v[17:18]
	v_and_b32_e32 v36, 0x7f, v17
	v_bfe_u32 v48, v17, 3, 4
	v_sub_u32_e32 v18, 29, v49
	v_and_b32_e32 v38, 7, v38
	v_cmp_gt_u32_e32 vcc, 8, v36
	v_cndmask_b32_e32 v18, v48, v18, vcc
	v_cndmask_b32_e32 v5, v5, v38, vcc
	v_lshlrev_b32_e32 v17, 24, v17
	v_bfrev_b32_e32 v38, 60
	v_lshlrev_b32_e32 v5, 20, v5
	v_and_b32_e32 v17, 0x80000000, v17
	v_lshl_add_u32 v18, v18, 23, v38
	v_or3_b32 v5, v17, v18, v5
	v_cmp_ne_u32_e32 vcc, s86, v36
	v_mov_b32_e32 v17, 0x7f800001
	v_cndmask_b32_e32 v5, v17, v5, vcc
.LBB6_14287:                            ;   in Loop: Header=BB6_13779 Depth=3
	s_or_b64 exec, exec, s[42:43]
	v_add_f32_e32 v4, v4, v5
	v_and_b32_e32 v17, 0x7f800000, v4
	v_mov_b32_e32 v18, v51
	v_cmp_ne_u64_e32 vcc, s[76:77], v[17:18]
                                        ; implicit-def: $vgpr36
	s_and_saveexec_b64 s[40:41], vcc
	s_xor_b64 s[42:43], exec, s[40:41]
	s_cbranch_execz .LBB6_14301
; %bb.14288:                            ;   in Loop: Header=BB6_13779 Depth=3
	v_and_b32_e32 v17, 0x7fffffff, v4
	v_mov_b32_e32 v18, v51
	v_cmp_gt_u64_e32 vcc, s[78:79], v[17:18]
	v_and_b32_sdwa v38, v4, s96 dst_sel:DWORD dst_unused:UNUSED_PAD src0_sel:BYTE_3 src1_sel:DWORD
                                        ; implicit-def: $vgpr36
	s_and_saveexec_b64 s[40:41], vcc
	s_xor_b64 s[38:39], exec, s[40:41]
	s_cbranch_execz .LBB6_14298
; %bb.14289:                            ;   in Loop: Header=BB6_13779 Depth=3
	v_mov_b32_e32 v36, 0
	v_cmp_ne_u32_e32 vcc, 0, v4
	s_and_saveexec_b64 s[48:49], vcc
	s_cbranch_execz .LBB6_14297
; %bb.14290:                            ;   in Loop: Header=BB6_13779 Depth=3
	v_bfe_u32 v36, v4, 23, 8
	v_and_b32_e32 v5, 0x7fffff, v4
	v_cmp_gt_u32_e64 s[40:41], s97, v36
	v_sub_u32_e32 v4, 0x79, v36
	v_cmp_eq_u32_e32 vcc, 0, v36
	v_cndmask_b32_e64 v4, 0, v4, s[40:41]
	v_mov_b32_e32 v18, 0x78
	v_or_b32_e32 v17, 0x800000, v5
	v_cndmask_b32_e32 v39, v4, v18, vcc
	v_cndmask_b32_e32 v4, v17, v5, vcc
	v_add_u32_e32 v17, 20, v39
	v_lshlrev_b64 v[17:18], v17, -1
	v_add_u32_e32 v48, 19, v39
	v_lshlrev_b64 v[48:49], v48, 1
	v_mov_b32_e32 v5, v51
	v_bfi_b32 v18, v18, 0, 0
	v_bfi_b32 v17, v17, 0, v4
	v_cmp_eq_u64_e64 s[40:41], v[17:18], v[48:49]
	v_lshrrev_b64 v[17:18], v39, v[4:5]
	v_mov_b32_e32 v4, v17
	v_mov_b32_e32 v5, v18
	s_and_saveexec_b64 s[50:51], s[40:41]
; %bb.14291:                            ;   in Loop: Header=BB6_13779 Depth=3
	v_bfe_u32 v4, v17, 20, 1
	v_add_co_u32_e64 v4, s[40:41], v17, v4
	v_add_co_u32_e64 v4, s[40:41], -1, v4
; %bb.14292:                            ;   in Loop: Header=BB6_13779 Depth=3
	s_or_b64 exec, exec, s[50:51]
	v_add_u32_e32 v5, 0xffffff81, v36
	v_mov_b32_e32 v18, 0xffffff82
	v_cndmask_b32_e32 v5, v5, v18, vcc
	v_lshrrev_b32_e32 v18, 23, v17
	v_add3_u32 v36, v39, v5, v18
	v_add_u32_e32 v5, 6, v36
	v_and_b32_e32 v4, 0xfffff, v4
	v_add_u32_e32 v17, v4, v17
	v_mov_b32_e32 v18, v51
	v_cmp_ne_u32_e32 vcc, 0, v5
                                        ; implicit-def: $vgpr4
	s_and_saveexec_b64 s[40:41], vcc
	s_xor_b64 s[40:41], exec, s[40:41]
; %bb.14293:                            ;   in Loop: Header=BB6_13779 Depth=3
	v_cmp_lt_u64_e32 vcc, s[88:89], v[17:18]
	v_add_u32_e32 v4, 7, v36
	v_cndmask_b32_e32 v4, v5, v4, vcc
	v_cndmask_b32_e64 v5, 0, 1, vcc
	v_lshrrev_b64 v[17:18], v5, v[17:18]
; %bb.14294:                            ;   in Loop: Header=BB6_13779 Depth=3
	s_andn2_saveexec_b64 s[40:41], s[40:41]
; %bb.14295:                            ;   in Loop: Header=BB6_13779 Depth=3
	v_bfe_u32 v4, v17, 23, 1
; %bb.14296:                            ;   in Loop: Header=BB6_13779 Depth=3
	s_or_b64 exec, exec, s[40:41]
	v_lshrrev_b64 v[17:18], 20, v[17:18]
	v_cmp_gt_i32_e32 vcc, 16, v4
	v_cndmask_b32_e32 v18, 0, v18, vcc
	v_cndmask_b32_e32 v17, 7, v17, vcc
	v_cmp_eq_u32_e32 vcc, 0, v4
	v_min_i32_e32 v4, 15, v4
	v_cmp_eq_u64_e64 s[40:41], 0, v[17:18]
	v_lshlrev_b32_e32 v4, 3, v4
	v_and_b32_e32 v4, 0xf8, v4
	v_and_or_b32 v4, v17, 7, v4
	s_and_b64 s[40:41], vcc, s[40:41]
	v_cndmask_b32_e64 v4, v4, 0, s[40:41]
	v_or_b32_e32 v36, v4, v38
.LBB6_14297:                            ;   in Loop: Header=BB6_13779 Depth=3
	s_or_b64 exec, exec, s[48:49]
                                        ; implicit-def: $vgpr38
.LBB6_14298:                            ;   in Loop: Header=BB6_13779 Depth=3
	s_andn2_saveexec_b64 s[40:41], s[38:39]
; %bb.14299:                            ;   in Loop: Header=BB6_13779 Depth=3
	v_or_b32_e32 v36, 0x7e, v38
; %bb.14300:                            ;   in Loop: Header=BB6_13779 Depth=3
	s_or_b64 exec, exec, s[40:41]
                                        ; implicit-def: $vgpr4
.LBB6_14301:                            ;   in Loop: Header=BB6_13779 Depth=3
	s_andn2_saveexec_b64 s[40:41], s[42:43]
; %bb.14302:                            ;   in Loop: Header=BB6_13779 Depth=3
	v_or_b32_sdwa v36, v4, s86 dst_sel:DWORD dst_unused:UNUSED_PAD src0_sel:BYTE_3 src1_sel:DWORD
; %bb.14303:                            ;   in Loop: Header=BB6_13779 Depth=3
	s_or_b64 exec, exec, s[40:41]
	v_lshrrev_b32_e32 v17, 16, v16
	v_cmp_ne_u16_sdwa s[42:43], v17, v51 src0_sel:BYTE_0 src1_sel:DWORD
	v_mov_b32_e32 v4, 0
	s_and_saveexec_b64 s[40:41], s[42:43]
	s_cbranch_execz .LBB6_14309
; %bb.14304:                            ;   in Loop: Header=BB6_13779 Depth=3
	v_cmp_ne_u16_sdwa vcc, v17, s96 src0_sel:BYTE_0 src1_sel:DWORD
	v_bfrev_b32_e32 v4, 1
	s_and_saveexec_b64 s[42:43], vcc
	s_cbranch_execz .LBB6_14308
; %bb.14305:                            ;   in Loop: Header=BB6_13779 Depth=3
	v_bfe_u32 v5, v16, 16, 7
	v_cmp_ne_u32_e32 vcc, s86, v5
	v_mov_b32_e32 v4, 0x7f800001
	s_and_saveexec_b64 s[38:39], vcc
	s_cbranch_execz .LBB6_14307
; %bb.14306:                            ;   in Loop: Header=BB6_13779 Depth=3
	v_and_b32_e32 v18, 7, v17
	v_ffbh_u32_e32 v4, v18
	v_min_u32_e32 v39, 32, v4
	v_subrev_u32_e32 v4, 28, v39
	v_lshrrev_b32_e32 v38, 3, v5
	v_cmp_gt_u32_e32 vcc, 8, v5
	v_lshlrev_b64 v[4:5], v4, v[17:18]
	v_sub_u32_e32 v5, 29, v39
	v_and_b32_e32 v4, 7, v4
	v_cndmask_b32_e32 v5, v38, v5, vcc
	v_cndmask_b32_e32 v4, v18, v4, vcc
	v_lshlrev_b32_e32 v17, 24, v17
	v_bfrev_b32_e32 v18, 60
	v_lshlrev_b32_e32 v4, 20, v4
	v_and_b32_e32 v17, 0x80000000, v17
	v_lshl_add_u32 v5, v5, 23, v18
	v_or3_b32 v4, v17, v5, v4
.LBB6_14307:                            ;   in Loop: Header=BB6_13779 Depth=3
	s_or_b64 exec, exec, s[38:39]
.LBB6_14308:                            ;   in Loop: Header=BB6_13779 Depth=3
	s_or_b64 exec, exec, s[42:43]
.LBB6_14309:                            ;   in Loop: Header=BB6_13779 Depth=3
	s_or_b64 exec, exec, s[40:41]
	v_lshrrev_b32_e32 v17, 16, v9
	v_cmp_gt_i16_sdwa s[42:43], v17, s86 src0_sel:BYTE_0 src1_sel:DWORD
	s_mov_b64 s[40:41], 0
	s_and_saveexec_b64 vcc, s[42:43]
	s_xor_b64 s[42:43], exec, vcc
	s_cbranch_execz .LBB6_14578
; %bb.14310:                            ;   in Loop: Header=BB6_13779 Depth=3
	v_cmp_eq_u16_sdwa s[38:39], v17, s96 src0_sel:BYTE_0 src1_sel:DWORD
	s_mov_b64 s[40:41], -1
	s_and_saveexec_b64 vcc, s[38:39]
; %bb.14311:                            ;   in Loop: Header=BB6_13779 Depth=3
	s_xor_b64 s[40:41], exec, -1
; %bb.14312:                            ;   in Loop: Header=BB6_13779 Depth=3
	s_or_b64 exec, exec, vcc
	s_and_b64 s[40:41], s[40:41], exec
	s_or_saveexec_b64 s[42:43], s[42:43]
	v_bfrev_b32_e32 v5, 1
	s_xor_b64 exec, exec, s[42:43]
	s_cbranch_execnz .LBB6_14579
.LBB6_14313:                            ;   in Loop: Header=BB6_13779 Depth=3
	s_or_b64 exec, exec, s[42:43]
	s_and_saveexec_b64 s[42:43], s[40:41]
	s_cbranch_execz .LBB6_14315
.LBB6_14314:                            ;   in Loop: Header=BB6_13779 Depth=3
	v_and_b32_e32 v5, 7, v17
	v_ffbh_u32_e32 v38, v5
	v_min_u32_e32 v49, 32, v38
	v_and_b32_e32 v18, 0x7f, v17
	v_subrev_u32_e32 v38, 28, v49
	v_lshlrev_b64 v[38:39], v38, v[17:18]
	v_bfe_u32 v48, v17, 3, 4
	v_sub_u32_e32 v39, 29, v49
	v_and_b32_e32 v38, 7, v38
	v_cmp_gt_u32_e32 vcc, 8, v18
	v_cndmask_b32_e32 v39, v48, v39, vcc
	v_cndmask_b32_e32 v5, v5, v38, vcc
	v_lshlrev_b32_e32 v17, 24, v17
	v_bfrev_b32_e32 v38, 60
	v_lshlrev_b32_e32 v5, 20, v5
	v_and_b32_e32 v17, 0x80000000, v17
	v_lshl_add_u32 v38, v39, 23, v38
	v_or3_b32 v5, v17, v38, v5
	v_cmp_ne_u32_e32 vcc, s86, v18
	v_mov_b32_e32 v17, 0x7f800001
	v_cndmask_b32_e32 v5, v17, v5, vcc
.LBB6_14315:                            ;   in Loop: Header=BB6_13779 Depth=3
	s_or_b64 exec, exec, s[42:43]
	v_add_f32_e32 v4, v4, v5
	v_and_b32_e32 v17, 0x7f800000, v4
	v_mov_b32_e32 v18, v51
	v_cmp_ne_u64_e32 vcc, s[76:77], v[17:18]
                                        ; implicit-def: $vgpr38
	s_and_saveexec_b64 s[40:41], vcc
	s_xor_b64 s[42:43], exec, s[40:41]
	s_cbranch_execz .LBB6_14329
; %bb.14316:                            ;   in Loop: Header=BB6_13779 Depth=3
	v_and_b32_e32 v17, 0x7fffffff, v4
	v_mov_b32_e32 v18, v51
	v_cmp_gt_u64_e32 vcc, s[78:79], v[17:18]
	v_and_b32_sdwa v39, v4, s96 dst_sel:DWORD dst_unused:UNUSED_PAD src0_sel:BYTE_3 src1_sel:DWORD
                                        ; implicit-def: $vgpr38
	s_and_saveexec_b64 s[40:41], vcc
	s_xor_b64 s[38:39], exec, s[40:41]
	s_cbranch_execz .LBB6_14326
; %bb.14317:                            ;   in Loop: Header=BB6_13779 Depth=3
	v_mov_b32_e32 v38, 0
	v_cmp_ne_u32_e32 vcc, 0, v4
	s_and_saveexec_b64 s[48:49], vcc
	s_cbranch_execz .LBB6_14325
; %bb.14318:                            ;   in Loop: Header=BB6_13779 Depth=3
	v_bfe_u32 v38, v4, 23, 8
	v_and_b32_e32 v5, 0x7fffff, v4
	v_cmp_gt_u32_e64 s[40:41], s97, v38
	v_sub_u32_e32 v4, 0x79, v38
	v_cmp_eq_u32_e32 vcc, 0, v38
	v_cndmask_b32_e64 v4, 0, v4, s[40:41]
	v_mov_b32_e32 v18, 0x78
	v_or_b32_e32 v17, 0x800000, v5
	v_cndmask_b32_e32 v48, v4, v18, vcc
	v_cndmask_b32_e32 v4, v17, v5, vcc
	v_add_u32_e32 v17, 20, v48
	v_lshlrev_b64 v[17:18], v17, -1
	v_add_u32_e32 v49, 19, v48
	v_lshlrev_b64 v[49:50], v49, 1
	v_mov_b32_e32 v5, v51
	v_bfi_b32 v18, v18, 0, 0
	v_bfi_b32 v17, v17, 0, v4
	v_cmp_eq_u64_e64 s[40:41], v[17:18], v[49:50]
	v_lshrrev_b64 v[17:18], v48, v[4:5]
	v_mov_b32_e32 v4, v17
	v_mov_b32_e32 v5, v18
	s_and_saveexec_b64 s[50:51], s[40:41]
; %bb.14319:                            ;   in Loop: Header=BB6_13779 Depth=3
	v_bfe_u32 v4, v17, 20, 1
	v_add_co_u32_e64 v4, s[40:41], v17, v4
	v_add_co_u32_e64 v4, s[40:41], -1, v4
; %bb.14320:                            ;   in Loop: Header=BB6_13779 Depth=3
	s_or_b64 exec, exec, s[50:51]
	v_add_u32_e32 v5, 0xffffff81, v38
	v_mov_b32_e32 v18, 0xffffff82
	v_cndmask_b32_e32 v5, v5, v18, vcc
	v_lshrrev_b32_e32 v18, 23, v17
	v_add3_u32 v38, v48, v5, v18
	v_add_u32_e32 v5, 6, v38
	v_and_b32_e32 v4, 0xfffff, v4
	v_add_u32_e32 v17, v4, v17
	v_mov_b32_e32 v18, v51
	v_cmp_ne_u32_e32 vcc, 0, v5
                                        ; implicit-def: $vgpr4
	s_and_saveexec_b64 s[40:41], vcc
	s_xor_b64 s[40:41], exec, s[40:41]
; %bb.14321:                            ;   in Loop: Header=BB6_13779 Depth=3
	v_cmp_lt_u64_e32 vcc, s[88:89], v[17:18]
	v_add_u32_e32 v4, 7, v38
	v_cndmask_b32_e32 v4, v5, v4, vcc
	v_cndmask_b32_e64 v5, 0, 1, vcc
	v_lshrrev_b64 v[17:18], v5, v[17:18]
; %bb.14322:                            ;   in Loop: Header=BB6_13779 Depth=3
	s_andn2_saveexec_b64 s[40:41], s[40:41]
; %bb.14323:                            ;   in Loop: Header=BB6_13779 Depth=3
	v_bfe_u32 v4, v17, 23, 1
; %bb.14324:                            ;   in Loop: Header=BB6_13779 Depth=3
	s_or_b64 exec, exec, s[40:41]
	v_lshrrev_b64 v[17:18], 20, v[17:18]
	v_cmp_gt_i32_e32 vcc, 16, v4
	v_cndmask_b32_e32 v18, 0, v18, vcc
	v_cndmask_b32_e32 v17, 7, v17, vcc
	v_cmp_eq_u32_e32 vcc, 0, v4
	v_min_i32_e32 v4, 15, v4
	v_cmp_eq_u64_e64 s[40:41], 0, v[17:18]
	v_lshlrev_b32_e32 v4, 3, v4
	v_and_b32_e32 v4, 0xf8, v4
	v_and_or_b32 v4, v17, 7, v4
	s_and_b64 s[40:41], vcc, s[40:41]
	v_cndmask_b32_e64 v4, v4, 0, s[40:41]
	v_or_b32_e32 v38, v4, v39
.LBB6_14325:                            ;   in Loop: Header=BB6_13779 Depth=3
	s_or_b64 exec, exec, s[48:49]
                                        ; implicit-def: $vgpr39
.LBB6_14326:                            ;   in Loop: Header=BB6_13779 Depth=3
	s_andn2_saveexec_b64 s[40:41], s[38:39]
; %bb.14327:                            ;   in Loop: Header=BB6_13779 Depth=3
	v_or_b32_e32 v38, 0x7e, v39
; %bb.14328:                            ;   in Loop: Header=BB6_13779 Depth=3
	s_or_b64 exec, exec, s[40:41]
                                        ; implicit-def: $vgpr4
.LBB6_14329:                            ;   in Loop: Header=BB6_13779 Depth=3
	s_andn2_saveexec_b64 s[40:41], s[42:43]
; %bb.14330:                            ;   in Loop: Header=BB6_13779 Depth=3
	v_or_b32_sdwa v38, v4, s86 dst_sel:DWORD dst_unused:UNUSED_PAD src0_sel:BYTE_3 src1_sel:DWORD
; %bb.14331:                            ;   in Loop: Header=BB6_13779 Depth=3
	s_or_b64 exec, exec, s[40:41]
	v_cmp_lt_u32_e32 vcc, s57, v16
	v_mov_b32_e32 v4, 0
	s_and_saveexec_b64 s[40:41], vcc
	s_cbranch_execz .LBB6_14337
; %bb.14332:                            ;   in Loop: Header=BB6_13779 Depth=3
	v_lshrrev_b32_e32 v17, 24, v16
	v_cmp_ne_u32_sdwa vcc, v16, s96 src0_sel:BYTE_3 src1_sel:DWORD
	v_bfrev_b32_e32 v4, 1
	s_and_saveexec_b64 s[42:43], vcc
	s_cbranch_execz .LBB6_14336
; %bb.14333:                            ;   in Loop: Header=BB6_13779 Depth=3
	v_bfe_u32 v5, v16, 24, 7
	v_cmp_ne_u32_e32 vcc, s86, v5
	v_mov_b32_e32 v4, 0x7f800001
	s_and_saveexec_b64 s[38:39], vcc
	s_cbranch_execz .LBB6_14335
; %bb.14334:                            ;   in Loop: Header=BB6_13779 Depth=3
	v_and_b32_e32 v18, 7, v17
	v_ffbh_u32_e32 v4, v18
	v_min_u32_e32 v48, 32, v4
	v_subrev_u32_e32 v4, 28, v48
	v_lshrrev_b32_e32 v39, 3, v5
	v_cmp_gt_u32_e32 vcc, 8, v5
	v_lshlrev_b64 v[4:5], v4, v[17:18]
	v_sub_u32_e32 v5, 29, v48
	v_and_b32_e32 v4, 7, v4
	v_mov_b32_e32 v17, 24
	v_cndmask_b32_e32 v5, v39, v5, vcc
	v_cndmask_b32_e32 v4, v18, v4, vcc
	v_lshlrev_b32_sdwa v16, v17, v16 dst_sel:DWORD dst_unused:UNUSED_PAD src0_sel:DWORD src1_sel:BYTE_3
	v_bfrev_b32_e32 v17, 60
	v_lshlrev_b32_e32 v4, 20, v4
	v_and_b32_e32 v16, 0x80000000, v16
	v_lshl_add_u32 v5, v5, 23, v17
	v_or3_b32 v4, v16, v5, v4
.LBB6_14335:                            ;   in Loop: Header=BB6_13779 Depth=3
	s_or_b64 exec, exec, s[38:39]
.LBB6_14336:                            ;   in Loop: Header=BB6_13779 Depth=3
	s_or_b64 exec, exec, s[42:43]
.LBB6_14337:                            ;   in Loop: Header=BB6_13779 Depth=3
	s_or_b64 exec, exec, s[40:41]
	v_bfe_u32 v18, v9, 24, 3
	v_ffbh_u32_e32 v16, v18
	v_min_u32_e32 v49, 32, v16
	v_lshrrev_b32_e32 v5, 24, v9
	v_subrev_u32_e32 v16, 28, v49
	v_lshlrev_b64 v[16:17], v16, v[5:6]
	v_bfe_u32 v39, v9, 24, 7
	v_bfe_u32 v48, v5, 3, 4
	v_sub_u32_e32 v17, 29, v49
	v_and_b32_e32 v16, 7, v16
	v_cmp_gt_u32_e32 vcc, 8, v39
	v_cndmask_b32_e32 v17, v48, v17, vcc
	v_cndmask_b32_e32 v16, v18, v16, vcc
	v_bfrev_b32_e32 v48, 60
	v_lshlrev_b32_e32 v16, 20, v16
	v_and_b32_e32 v18, 0x80000000, v9
	v_lshl_add_u32 v17, v17, 23, v48
	v_or3_b32 v16, v18, v17, v16
	v_cmp_ne_u32_e32 vcc, s86, v39
	v_mov_b32_e32 v17, 0x7f800001
	v_cndmask_b32_e32 v16, v17, v16, vcc
	v_cmp_ne_u32_e32 vcc, s96, v5
	v_bfrev_b32_e32 v5, 1
	v_cndmask_b32_e32 v5, v5, v16, vcc
	v_cmp_lt_u64_e32 vcc, s[56:57], v[8:9]
	v_mov_b32_e32 v9, v51
	v_cndmask_b32_e32 v5, 0, v5, vcc
	v_add_f32_e32 v4, v5, v4
	v_and_b32_e32 v8, 0x7f800000, v4
	v_cmp_ne_u64_e32 vcc, s[76:77], v[8:9]
                                        ; implicit-def: $vgpr39
	s_and_saveexec_b64 s[40:41], vcc
	s_xor_b64 s[42:43], exec, s[40:41]
	s_cbranch_execz .LBB6_14351
; %bb.14338:                            ;   in Loop: Header=BB6_13779 Depth=3
	v_and_b32_e32 v8, 0x7fffffff, v4
	v_mov_b32_e32 v9, v51
	v_cmp_gt_u64_e32 vcc, s[78:79], v[8:9]
	v_and_b32_sdwa v16, v4, s96 dst_sel:DWORD dst_unused:UNUSED_PAD src0_sel:BYTE_3 src1_sel:DWORD
                                        ; implicit-def: $vgpr39
	s_and_saveexec_b64 s[40:41], vcc
	s_xor_b64 s[38:39], exec, s[40:41]
	s_cbranch_execz .LBB6_14348
; %bb.14339:                            ;   in Loop: Header=BB6_13779 Depth=3
	v_mov_b32_e32 v39, 0
	v_cmp_ne_u32_e32 vcc, 0, v4
	s_and_saveexec_b64 s[48:49], vcc
	s_cbranch_execz .LBB6_14347
; %bb.14340:                            ;   in Loop: Header=BB6_13779 Depth=3
	v_bfe_u32 v17, v4, 23, 8
	v_and_b32_e32 v5, 0x7fffff, v4
	v_cmp_gt_u32_e64 s[40:41], s97, v17
	v_sub_u32_e32 v4, 0x79, v17
	v_cmp_eq_u32_e32 vcc, 0, v17
	v_cndmask_b32_e64 v4, 0, v4, s[40:41]
	v_mov_b32_e32 v9, 0x78
	v_or_b32_e32 v8, 0x800000, v5
	v_cndmask_b32_e32 v18, v4, v9, vcc
	v_cndmask_b32_e32 v4, v8, v5, vcc
	v_add_u32_e32 v8, 20, v18
	v_lshlrev_b64 v[8:9], v8, -1
	v_add_u32_e32 v39, 19, v18
	v_lshlrev_b64 v[48:49], v39, 1
	v_mov_b32_e32 v5, v51
	v_bfi_b32 v9, v9, 0, 0
	v_bfi_b32 v8, v8, 0, v4
	v_cmp_eq_u64_e64 s[40:41], v[8:9], v[48:49]
	v_lshrrev_b64 v[8:9], v18, v[4:5]
	v_mov_b32_e32 v4, v8
	v_mov_b32_e32 v5, v9
	s_and_saveexec_b64 s[50:51], s[40:41]
; %bb.14341:                            ;   in Loop: Header=BB6_13779 Depth=3
	v_bfe_u32 v4, v8, 20, 1
	v_add_co_u32_e64 v4, s[40:41], v8, v4
	v_add_co_u32_e64 v4, s[40:41], -1, v4
; %bb.14342:                            ;   in Loop: Header=BB6_13779 Depth=3
	s_or_b64 exec, exec, s[50:51]
	v_add_u32_e32 v5, 0xffffff81, v17
	v_mov_b32_e32 v9, 0xffffff82
	v_cndmask_b32_e32 v5, v5, v9, vcc
	v_lshrrev_b32_e32 v9, 23, v8
	v_add3_u32 v17, v18, v5, v9
	v_add_u32_e32 v5, 6, v17
	v_and_b32_e32 v4, 0xfffff, v4
	v_add_u32_e32 v8, v4, v8
	v_mov_b32_e32 v9, v51
	v_cmp_ne_u32_e32 vcc, 0, v5
                                        ; implicit-def: $vgpr4
	s_and_saveexec_b64 s[40:41], vcc
	s_xor_b64 s[40:41], exec, s[40:41]
; %bb.14343:                            ;   in Loop: Header=BB6_13779 Depth=3
	v_cmp_lt_u64_e32 vcc, s[88:89], v[8:9]
	v_add_u32_e32 v4, 7, v17
	v_cndmask_b32_e32 v4, v5, v4, vcc
	v_cndmask_b32_e64 v5, 0, 1, vcc
	v_lshrrev_b64 v[8:9], v5, v[8:9]
; %bb.14344:                            ;   in Loop: Header=BB6_13779 Depth=3
	s_andn2_saveexec_b64 s[40:41], s[40:41]
; %bb.14345:                            ;   in Loop: Header=BB6_13779 Depth=3
	v_bfe_u32 v4, v8, 23, 1
; %bb.14346:                            ;   in Loop: Header=BB6_13779 Depth=3
	s_or_b64 exec, exec, s[40:41]
	v_lshrrev_b64 v[8:9], 20, v[8:9]
	v_cmp_gt_i32_e32 vcc, 16, v4
	v_cndmask_b32_e32 v9, 0, v9, vcc
	v_cndmask_b32_e32 v8, 7, v8, vcc
	v_cmp_eq_u32_e32 vcc, 0, v4
	v_min_i32_e32 v4, 15, v4
	v_cmp_eq_u64_e64 s[40:41], 0, v[8:9]
	v_lshlrev_b32_e32 v4, 3, v4
	v_and_b32_e32 v4, 0xf8, v4
	v_and_or_b32 v4, v8, 7, v4
	s_and_b64 s[40:41], vcc, s[40:41]
	v_cndmask_b32_e64 v4, v4, 0, s[40:41]
	v_or_b32_e32 v39, v4, v16
.LBB6_14347:                            ;   in Loop: Header=BB6_13779 Depth=3
	s_or_b64 exec, exec, s[48:49]
                                        ; implicit-def: $vgpr16
.LBB6_14348:                            ;   in Loop: Header=BB6_13779 Depth=3
	s_andn2_saveexec_b64 s[40:41], s[38:39]
; %bb.14349:                            ;   in Loop: Header=BB6_13779 Depth=3
	v_or_b32_e32 v39, 0x7e, v16
; %bb.14350:                            ;   in Loop: Header=BB6_13779 Depth=3
	s_or_b64 exec, exec, s[40:41]
                                        ; implicit-def: $vgpr4
.LBB6_14351:                            ;   in Loop: Header=BB6_13779 Depth=3
	s_andn2_saveexec_b64 s[40:41], s[42:43]
; %bb.14352:                            ;   in Loop: Header=BB6_13779 Depth=3
	v_or_b32_sdwa v39, v4, s86 dst_sel:DWORD dst_unused:UNUSED_PAD src0_sel:BYTE_3 src1_sel:DWORD
; %bb.14353:                            ;   in Loop: Header=BB6_13779 Depth=3
	s_or_b64 exec, exec, s[40:41]
	v_lshl_or_b32 v18, v32, 8, v28
	v_lshlrev_b32_e32 v4, 16, v35
	v_lshlrev_b32_e32 v5, 24, v37
	v_or3_b32 v8, v4, v5, v18
	v_mov_b32_e32 v9, v51
	v_cmp_ne_u32_e32 vcc, 0, v28
	v_mov_b32_e32 v4, 0
	s_and_saveexec_b64 s[40:41], vcc
	s_cbranch_execz .LBB6_14359
; %bb.14354:                            ;   in Loop: Header=BB6_13779 Depth=3
	v_cmp_ne_u32_e32 vcc, s96, v28
	v_bfrev_b32_e32 v4, 1
	s_and_saveexec_b64 s[42:43], vcc
	s_cbranch_execz .LBB6_14358
; %bb.14355:                            ;   in Loop: Header=BB6_13779 Depth=3
	v_and_b32_e32 v5, 0x7f, v28
	v_cmp_ne_u32_e32 vcc, s86, v5
	v_mov_b32_e32 v4, 0x7f800001
	s_and_saveexec_b64 s[38:39], vcc
	s_cbranch_execz .LBB6_14357
; %bb.14356:                            ;   in Loop: Header=BB6_13779 Depth=3
	v_and_b32_e32 v4, 7, v28
	v_ffbh_u32_e32 v4, v4
	v_min_u32_e32 v4, 32, v4
	v_lshrrev_b32_e32 v16, 3, v5
	v_cmp_gt_u32_e32 vcc, 8, v5
	v_subrev_u32_e32 v5, 28, v4
	v_sub_u32_e32 v4, 29, v4
	v_cndmask_b32_e32 v16, v16, v4, vcc
	v_cndmask_b32_e32 v4, 0, v5, vcc
	v_lshlrev_b64 v[4:5], v4, v[8:9]
	v_lshlrev_b32_e32 v5, 24, v8
	v_lshlrev_b32_e32 v4, 20, v4
	v_bfrev_b32_e32 v9, 60
	v_and_b32_e32 v4, 0x700000, v4
	v_and_b32_e32 v5, 0x80000000, v5
	v_lshl_add_u32 v9, v16, 23, v9
	v_or3_b32 v4, v5, v9, v4
.LBB6_14357:                            ;   in Loop: Header=BB6_13779 Depth=3
	s_or_b64 exec, exec, s[38:39]
.LBB6_14358:                            ;   in Loop: Header=BB6_13779 Depth=3
	s_or_b64 exec, exec, s[42:43]
.LBB6_14359:                            ;   in Loop: Header=BB6_13779 Depth=3
	s_or_b64 exec, exec, s[40:41]
	v_cmp_gt_i16_sdwa s[42:43], v10, s86 src0_sel:BYTE_0 src1_sel:DWORD
	s_mov_b64 s[40:41], 0
	s_and_saveexec_b64 vcc, s[42:43]
	s_xor_b64 s[42:43], exec, vcc
	s_cbranch_execz .LBB6_14580
; %bb.14360:                            ;   in Loop: Header=BB6_13779 Depth=3
	v_cmp_eq_u16_sdwa s[38:39], v10, s96 src0_sel:BYTE_0 src1_sel:DWORD
	s_mov_b64 s[40:41], -1
	s_and_saveexec_b64 vcc, s[38:39]
; %bb.14361:                            ;   in Loop: Header=BB6_13779 Depth=3
	s_xor_b64 s[40:41], exec, -1
; %bb.14362:                            ;   in Loop: Header=BB6_13779 Depth=3
	s_or_b64 exec, exec, vcc
	s_and_b64 s[40:41], s[40:41], exec
	s_or_saveexec_b64 s[42:43], s[42:43]
	v_bfrev_b32_e32 v5, 1
	s_xor_b64 exec, exec, s[42:43]
	s_cbranch_execnz .LBB6_14581
.LBB6_14363:                            ;   in Loop: Header=BB6_13779 Depth=3
	s_or_b64 exec, exec, s[42:43]
	s_and_saveexec_b64 s[42:43], s[40:41]
	s_cbranch_execz .LBB6_14365
.LBB6_14364:                            ;   in Loop: Header=BB6_13779 Depth=3
	v_and_b32_e32 v5, 7, v10
	v_ffbh_u32_e32 v5, v5
	v_and_b32_e32 v9, 0x7f, v10
	v_min_u32_e32 v5, 32, v5
	v_bfe_u32 v16, v10, 3, 4
	v_subrev_u32_e32 v17, 28, v5
	v_sub_u32_e32 v5, 29, v5
	v_cmp_gt_u32_e32 vcc, 8, v9
	v_cndmask_b32_e32 v5, v16, v5, vcc
	v_cndmask_b32_e32 v16, 0, v17, vcc
	v_lshlrev_b64 v[16:17], v16, v[10:11]
	v_lshlrev_b32_e32 v17, 24, v10
	v_lshlrev_b32_e32 v16, 20, v16
	v_bfrev_b32_e32 v28, 60
	v_and_b32_e32 v16, 0x700000, v16
	v_and_b32_e32 v17, 0x80000000, v17
	v_lshl_add_u32 v5, v5, 23, v28
	v_or3_b32 v5, v17, v5, v16
	v_cmp_ne_u32_e32 vcc, s86, v9
	v_mov_b32_e32 v9, 0x7f800001
	v_cndmask_b32_e32 v5, v9, v5, vcc
.LBB6_14365:                            ;   in Loop: Header=BB6_13779 Depth=3
	s_or_b64 exec, exec, s[42:43]
	v_add_f32_e32 v4, v4, v5
	v_and_b32_e32 v16, 0x7f800000, v4
	v_mov_b32_e32 v17, v51
	v_cmp_ne_u64_e32 vcc, s[76:77], v[16:17]
                                        ; implicit-def: $vgpr28
	s_and_saveexec_b64 s[40:41], vcc
	s_xor_b64 s[42:43], exec, s[40:41]
	s_cbranch_execz .LBB6_14379
; %bb.14366:                            ;   in Loop: Header=BB6_13779 Depth=3
	v_and_b32_e32 v16, 0x7fffffff, v4
	v_mov_b32_e32 v17, v51
	v_cmp_gt_u64_e32 vcc, s[78:79], v[16:17]
	v_and_b32_sdwa v9, v4, s96 dst_sel:DWORD dst_unused:UNUSED_PAD src0_sel:BYTE_3 src1_sel:DWORD
                                        ; implicit-def: $vgpr28
	s_and_saveexec_b64 s[40:41], vcc
	s_xor_b64 s[38:39], exec, s[40:41]
	s_cbranch_execz .LBB6_14376
; %bb.14367:                            ;   in Loop: Header=BB6_13779 Depth=3
	v_mov_b32_e32 v28, 0
	v_cmp_ne_u32_e32 vcc, 0, v4
	s_and_saveexec_b64 s[48:49], vcc
	s_cbranch_execz .LBB6_14375
; %bb.14368:                            ;   in Loop: Header=BB6_13779 Depth=3
	v_bfe_u32 v28, v4, 23, 8
	v_and_b32_e32 v5, 0x7fffff, v4
	v_cmp_gt_u32_e64 s[40:41], s97, v28
	v_sub_u32_e32 v4, 0x79, v28
	v_cmp_eq_u32_e32 vcc, 0, v28
	v_cndmask_b32_e64 v4, 0, v4, s[40:41]
	v_mov_b32_e32 v17, 0x78
	v_or_b32_e32 v16, 0x800000, v5
	v_cndmask_b32_e32 v32, v4, v17, vcc
	v_cndmask_b32_e32 v4, v16, v5, vcc
	v_add_u32_e32 v16, 20, v32
	v_lshlrev_b64 v[16:17], v16, -1
	v_add_u32_e32 v35, 19, v32
	v_lshlrev_b64 v[48:49], v35, 1
	v_mov_b32_e32 v5, v51
	v_bfi_b32 v17, v17, 0, 0
	v_bfi_b32 v16, v16, 0, v4
	v_cmp_eq_u64_e64 s[40:41], v[16:17], v[48:49]
	v_lshrrev_b64 v[16:17], v32, v[4:5]
	v_mov_b32_e32 v4, v16
	v_mov_b32_e32 v5, v17
	s_and_saveexec_b64 s[50:51], s[40:41]
; %bb.14369:                            ;   in Loop: Header=BB6_13779 Depth=3
	v_bfe_u32 v4, v16, 20, 1
	v_add_co_u32_e64 v4, s[40:41], v16, v4
	v_add_co_u32_e64 v4, s[40:41], -1, v4
; %bb.14370:                            ;   in Loop: Header=BB6_13779 Depth=3
	s_or_b64 exec, exec, s[50:51]
	v_add_u32_e32 v5, 0xffffff81, v28
	v_mov_b32_e32 v17, 0xffffff82
	v_cndmask_b32_e32 v5, v5, v17, vcc
	v_lshrrev_b32_e32 v17, 23, v16
	v_add3_u32 v28, v32, v5, v17
	v_add_u32_e32 v5, 6, v28
	v_and_b32_e32 v4, 0xfffff, v4
	v_add_u32_e32 v16, v4, v16
	v_mov_b32_e32 v17, v51
	v_cmp_ne_u32_e32 vcc, 0, v5
                                        ; implicit-def: $vgpr4
	s_and_saveexec_b64 s[40:41], vcc
	s_xor_b64 s[40:41], exec, s[40:41]
; %bb.14371:                            ;   in Loop: Header=BB6_13779 Depth=3
	v_cmp_lt_u64_e32 vcc, s[88:89], v[16:17]
	v_add_u32_e32 v4, 7, v28
	v_cndmask_b32_e32 v4, v5, v4, vcc
	v_cndmask_b32_e64 v5, 0, 1, vcc
	v_lshrrev_b64 v[16:17], v5, v[16:17]
; %bb.14372:                            ;   in Loop: Header=BB6_13779 Depth=3
	s_andn2_saveexec_b64 s[40:41], s[40:41]
; %bb.14373:                            ;   in Loop: Header=BB6_13779 Depth=3
	v_bfe_u32 v4, v16, 23, 1
; %bb.14374:                            ;   in Loop: Header=BB6_13779 Depth=3
	s_or_b64 exec, exec, s[40:41]
	v_lshrrev_b64 v[16:17], 20, v[16:17]
	v_cmp_gt_i32_e32 vcc, 16, v4
	v_cndmask_b32_e32 v17, 0, v17, vcc
	v_cndmask_b32_e32 v16, 7, v16, vcc
	v_cmp_eq_u32_e32 vcc, 0, v4
	v_min_i32_e32 v4, 15, v4
	v_cmp_eq_u64_e64 s[40:41], 0, v[16:17]
	v_lshlrev_b32_e32 v4, 3, v4
	v_and_b32_e32 v4, 0xf8, v4
	v_and_or_b32 v4, v16, 7, v4
	s_and_b64 s[40:41], vcc, s[40:41]
	v_cndmask_b32_e64 v4, v4, 0, s[40:41]
	v_or_b32_e32 v28, v4, v9
.LBB6_14375:                            ;   in Loop: Header=BB6_13779 Depth=3
	s_or_b64 exec, exec, s[48:49]
                                        ; implicit-def: $vgpr9
.LBB6_14376:                            ;   in Loop: Header=BB6_13779 Depth=3
	s_andn2_saveexec_b64 s[40:41], s[38:39]
; %bb.14377:                            ;   in Loop: Header=BB6_13779 Depth=3
	v_or_b32_e32 v28, 0x7e, v9
; %bb.14378:                            ;   in Loop: Header=BB6_13779 Depth=3
	s_or_b64 exec, exec, s[40:41]
                                        ; implicit-def: $vgpr4
.LBB6_14379:                            ;   in Loop: Header=BB6_13779 Depth=3
	s_andn2_saveexec_b64 s[40:41], s[42:43]
; %bb.14380:                            ;   in Loop: Header=BB6_13779 Depth=3
	v_or_b32_sdwa v28, v4, s86 dst_sel:DWORD dst_unused:UNUSED_PAD src0_sel:BYTE_3 src1_sel:DWORD
; %bb.14381:                            ;   in Loop: Header=BB6_13779 Depth=3
	s_or_b64 exec, exec, s[40:41]
	v_lshrrev_b16_e32 v9, 8, v18
	v_cmp_ne_u16_e32 vcc, 0, v9
	v_mov_b32_e32 v4, 0
	s_and_saveexec_b64 s[40:41], vcc
	s_cbranch_execz .LBB6_14387
; %bb.14382:                            ;   in Loop: Header=BB6_13779 Depth=3
	v_cmp_ne_u16_e32 vcc, s96, v9
	v_bfrev_b32_e32 v4, 1
	s_and_saveexec_b64 s[42:43], vcc
	s_cbranch_execz .LBB6_14386
; %bb.14383:                            ;   in Loop: Header=BB6_13779 Depth=3
	v_and_b32_e32 v5, 0x7f, v9
	v_cmp_ne_u32_e32 vcc, s86, v5
	v_mov_b32_e32 v4, 0x7f800001
	s_and_saveexec_b64 s[38:39], vcc
	s_cbranch_execz .LBB6_14385
; %bb.14384:                            ;   in Loop: Header=BB6_13779 Depth=3
	v_and_b32_e32 v16, 7, v9
	v_ffbh_u32_e32 v4, v16
	v_min_u32_e32 v32, 32, v4
	v_subrev_u32_e32 v4, 28, v32
	v_lshrrev_b32_e32 v17, 3, v5
	v_cmp_gt_u32_e32 vcc, 8, v5
	v_lshlrev_b64 v[4:5], v4, v[9:10]
	v_sub_u32_e32 v5, 29, v32
	v_and_b32_e32 v4, 7, v4
	v_cndmask_b32_e32 v5, v17, v5, vcc
	v_cndmask_b32_e32 v4, v16, v4, vcc
	v_lshlrev_b32_e32 v9, 16, v18
	v_bfrev_b32_e32 v16, 60
	v_lshlrev_b32_e32 v4, 20, v4
	v_and_b32_e32 v9, 0x80000000, v9
	v_lshl_add_u32 v5, v5, 23, v16
	v_or3_b32 v4, v9, v5, v4
.LBB6_14385:                            ;   in Loop: Header=BB6_13779 Depth=3
	s_or_b64 exec, exec, s[38:39]
.LBB6_14386:                            ;   in Loop: Header=BB6_13779 Depth=3
	s_or_b64 exec, exec, s[42:43]
.LBB6_14387:                            ;   in Loop: Header=BB6_13779 Depth=3
	s_or_b64 exec, exec, s[40:41]
	v_lshrrev_b16_e32 v16, 8, v10
	v_cmp_lt_i16_e32 vcc, s86, v16
	s_mov_b64 s[40:41], 0
	s_and_saveexec_b64 s[42:43], vcc
	s_xor_b64 s[42:43], exec, s[42:43]
	s_cbranch_execz .LBB6_14582
; %bb.14388:                            ;   in Loop: Header=BB6_13779 Depth=3
	v_cmp_eq_u16_e32 vcc, s96, v16
	s_mov_b64 s[40:41], -1
	s_and_saveexec_b64 s[38:39], vcc
; %bb.14389:                            ;   in Loop: Header=BB6_13779 Depth=3
	s_xor_b64 s[40:41], exec, -1
; %bb.14390:                            ;   in Loop: Header=BB6_13779 Depth=3
	s_or_b64 exec, exec, s[38:39]
	s_and_b64 s[40:41], s[40:41], exec
	s_or_saveexec_b64 s[42:43], s[42:43]
	v_bfrev_b32_e32 v5, 1
	s_xor_b64 exec, exec, s[42:43]
	s_cbranch_execnz .LBB6_14583
.LBB6_14391:                            ;   in Loop: Header=BB6_13779 Depth=3
	s_or_b64 exec, exec, s[42:43]
	s_and_saveexec_b64 s[42:43], s[40:41]
	s_cbranch_execz .LBB6_14393
.LBB6_14392:                            ;   in Loop: Header=BB6_13779 Depth=3
	v_and_b32_e32 v5, 7, v16
	v_ffbh_u32_e32 v18, v5
	v_min_u32_e32 v35, 32, v18
	v_mov_b32_e32 v17, v51
	v_subrev_u32_e32 v18, 28, v35
	v_lshlrev_b64 v[17:18], v18, v[16:17]
	v_and_b32_e32 v9, 0x7f, v16
	v_bfe_u32 v32, v16, 3, 4
	v_sub_u32_e32 v18, 29, v35
	v_and_b32_e32 v17, 7, v17
	v_cmp_gt_u32_e32 vcc, 8, v9
	v_cndmask_b32_e32 v18, v32, v18, vcc
	v_cndmask_b32_e32 v5, v5, v17, vcc
	v_lshlrev_b32_e32 v16, 24, v16
	v_bfrev_b32_e32 v17, 60
	v_lshlrev_b32_e32 v5, 20, v5
	v_and_b32_e32 v16, 0x80000000, v16
	v_lshl_add_u32 v17, v18, 23, v17
	v_or3_b32 v5, v16, v17, v5
	v_cmp_ne_u32_e32 vcc, s86, v9
	v_mov_b32_e32 v9, 0x7f800001
	v_cndmask_b32_e32 v5, v9, v5, vcc
.LBB6_14393:                            ;   in Loop: Header=BB6_13779 Depth=3
	s_or_b64 exec, exec, s[42:43]
	v_add_f32_e32 v4, v4, v5
	v_and_b32_e32 v16, 0x7f800000, v4
	v_mov_b32_e32 v17, v51
	v_cmp_ne_u64_e32 vcc, s[76:77], v[16:17]
                                        ; implicit-def: $vgpr32
	s_and_saveexec_b64 s[40:41], vcc
	s_xor_b64 s[42:43], exec, s[40:41]
	s_cbranch_execz .LBB6_14407
; %bb.14394:                            ;   in Loop: Header=BB6_13779 Depth=3
	v_and_b32_e32 v16, 0x7fffffff, v4
	v_mov_b32_e32 v17, v51
	v_cmp_gt_u64_e32 vcc, s[78:79], v[16:17]
	v_and_b32_sdwa v9, v4, s96 dst_sel:DWORD dst_unused:UNUSED_PAD src0_sel:BYTE_3 src1_sel:DWORD
                                        ; implicit-def: $vgpr32
	s_and_saveexec_b64 s[40:41], vcc
	s_xor_b64 s[38:39], exec, s[40:41]
	s_cbranch_execz .LBB6_14404
; %bb.14395:                            ;   in Loop: Header=BB6_13779 Depth=3
	v_mov_b32_e32 v32, 0
	v_cmp_ne_u32_e32 vcc, 0, v4
	s_and_saveexec_b64 s[48:49], vcc
	s_cbranch_execz .LBB6_14403
; %bb.14396:                            ;   in Loop: Header=BB6_13779 Depth=3
	v_bfe_u32 v18, v4, 23, 8
	v_and_b32_e32 v5, 0x7fffff, v4
	v_cmp_gt_u32_e64 s[40:41], s97, v18
	v_sub_u32_e32 v4, 0x79, v18
	v_cmp_eq_u32_e32 vcc, 0, v18
	v_cndmask_b32_e64 v4, 0, v4, s[40:41]
	v_mov_b32_e32 v17, 0x78
	v_or_b32_e32 v16, 0x800000, v5
	v_cndmask_b32_e32 v32, v4, v17, vcc
	v_cndmask_b32_e32 v4, v16, v5, vcc
	v_add_u32_e32 v16, 20, v32
	v_lshlrev_b64 v[16:17], v16, -1
	v_add_u32_e32 v35, 19, v32
	v_lshlrev_b64 v[48:49], v35, 1
	v_mov_b32_e32 v5, v51
	v_bfi_b32 v17, v17, 0, 0
	v_bfi_b32 v16, v16, 0, v4
	v_cmp_eq_u64_e64 s[40:41], v[16:17], v[48:49]
	v_lshrrev_b64 v[16:17], v32, v[4:5]
	v_mov_b32_e32 v4, v16
	v_mov_b32_e32 v5, v17
	s_and_saveexec_b64 s[50:51], s[40:41]
; %bb.14397:                            ;   in Loop: Header=BB6_13779 Depth=3
	v_bfe_u32 v4, v16, 20, 1
	v_add_co_u32_e64 v4, s[40:41], v16, v4
	v_add_co_u32_e64 v4, s[40:41], -1, v4
; %bb.14398:                            ;   in Loop: Header=BB6_13779 Depth=3
	s_or_b64 exec, exec, s[50:51]
	v_add_u32_e32 v5, 0xffffff81, v18
	v_mov_b32_e32 v17, 0xffffff82
	v_cndmask_b32_e32 v5, v5, v17, vcc
	v_lshrrev_b32_e32 v17, 23, v16
	v_add3_u32 v18, v32, v5, v17
	v_add_u32_e32 v5, 6, v18
	v_and_b32_e32 v4, 0xfffff, v4
	v_add_u32_e32 v16, v4, v16
	v_mov_b32_e32 v17, v51
	v_cmp_ne_u32_e32 vcc, 0, v5
                                        ; implicit-def: $vgpr4
	s_and_saveexec_b64 s[40:41], vcc
	s_xor_b64 s[40:41], exec, s[40:41]
; %bb.14399:                            ;   in Loop: Header=BB6_13779 Depth=3
	v_cmp_lt_u64_e32 vcc, s[88:89], v[16:17]
	v_add_u32_e32 v4, 7, v18
	v_cndmask_b32_e32 v4, v5, v4, vcc
	v_cndmask_b32_e64 v5, 0, 1, vcc
	v_lshrrev_b64 v[16:17], v5, v[16:17]
; %bb.14400:                            ;   in Loop: Header=BB6_13779 Depth=3
	s_andn2_saveexec_b64 s[40:41], s[40:41]
; %bb.14401:                            ;   in Loop: Header=BB6_13779 Depth=3
	v_bfe_u32 v4, v16, 23, 1
; %bb.14402:                            ;   in Loop: Header=BB6_13779 Depth=3
	s_or_b64 exec, exec, s[40:41]
	v_lshrrev_b64 v[16:17], 20, v[16:17]
	v_cmp_gt_i32_e32 vcc, 16, v4
	v_cndmask_b32_e32 v17, 0, v17, vcc
	v_cndmask_b32_e32 v16, 7, v16, vcc
	v_cmp_eq_u32_e32 vcc, 0, v4
	v_min_i32_e32 v4, 15, v4
	v_cmp_eq_u64_e64 s[40:41], 0, v[16:17]
	v_lshlrev_b32_e32 v4, 3, v4
	v_and_b32_e32 v4, 0xf8, v4
	v_and_or_b32 v4, v16, 7, v4
	s_and_b64 s[40:41], vcc, s[40:41]
	v_cndmask_b32_e64 v4, v4, 0, s[40:41]
	v_or_b32_e32 v32, v4, v9
.LBB6_14403:                            ;   in Loop: Header=BB6_13779 Depth=3
	s_or_b64 exec, exec, s[48:49]
                                        ; implicit-def: $vgpr9
.LBB6_14404:                            ;   in Loop: Header=BB6_13779 Depth=3
	s_andn2_saveexec_b64 s[40:41], s[38:39]
; %bb.14405:                            ;   in Loop: Header=BB6_13779 Depth=3
	v_or_b32_e32 v32, 0x7e, v9
; %bb.14406:                            ;   in Loop: Header=BB6_13779 Depth=3
	s_or_b64 exec, exec, s[40:41]
                                        ; implicit-def: $vgpr4
.LBB6_14407:                            ;   in Loop: Header=BB6_13779 Depth=3
	s_andn2_saveexec_b64 s[40:41], s[42:43]
; %bb.14408:                            ;   in Loop: Header=BB6_13779 Depth=3
	v_or_b32_sdwa v32, v4, s86 dst_sel:DWORD dst_unused:UNUSED_PAD src0_sel:BYTE_3 src1_sel:DWORD
; %bb.14409:                            ;   in Loop: Header=BB6_13779 Depth=3
	s_or_b64 exec, exec, s[40:41]
	v_lshrrev_b32_e32 v9, 16, v8
	v_cmp_ne_u16_sdwa s[42:43], v9, v51 src0_sel:BYTE_0 src1_sel:DWORD
	v_mov_b32_e32 v4, 0
	s_and_saveexec_b64 s[40:41], s[42:43]
	s_cbranch_execz .LBB6_14415
; %bb.14410:                            ;   in Loop: Header=BB6_13779 Depth=3
	v_cmp_ne_u16_sdwa vcc, v9, s96 src0_sel:BYTE_0 src1_sel:DWORD
	v_bfrev_b32_e32 v4, 1
	s_and_saveexec_b64 s[42:43], vcc
	s_cbranch_execz .LBB6_14414
; %bb.14411:                            ;   in Loop: Header=BB6_13779 Depth=3
	v_bfe_u32 v5, v8, 16, 7
	v_cmp_ne_u32_e32 vcc, s86, v5
	v_mov_b32_e32 v4, 0x7f800001
	s_and_saveexec_b64 s[38:39], vcc
	s_cbranch_execz .LBB6_14413
; %bb.14412:                            ;   in Loop: Header=BB6_13779 Depth=3
	v_and_b32_e32 v16, 7, v9
	v_ffbh_u32_e32 v4, v16
	v_min_u32_e32 v18, 32, v4
	v_subrev_u32_e32 v4, 28, v18
	v_lshrrev_b32_e32 v17, 3, v5
	v_cmp_gt_u32_e32 vcc, 8, v5
	v_lshlrev_b64 v[4:5], v4, v[9:10]
	v_sub_u32_e32 v5, 29, v18
	v_and_b32_e32 v4, 7, v4
	v_cndmask_b32_e32 v5, v17, v5, vcc
	v_cndmask_b32_e32 v4, v16, v4, vcc
	v_lshlrev_b32_e32 v9, 24, v9
	v_bfrev_b32_e32 v16, 60
	v_lshlrev_b32_e32 v4, 20, v4
	v_and_b32_e32 v9, 0x80000000, v9
	v_lshl_add_u32 v5, v5, 23, v16
	v_or3_b32 v4, v9, v5, v4
.LBB6_14413:                            ;   in Loop: Header=BB6_13779 Depth=3
	s_or_b64 exec, exec, s[38:39]
.LBB6_14414:                            ;   in Loop: Header=BB6_13779 Depth=3
	s_or_b64 exec, exec, s[42:43]
.LBB6_14415:                            ;   in Loop: Header=BB6_13779 Depth=3
	s_or_b64 exec, exec, s[40:41]
	v_lshrrev_b32_e32 v9, 16, v10
	v_cmp_gt_i16_sdwa s[42:43], v9, s86 src0_sel:BYTE_0 src1_sel:DWORD
	s_mov_b64 s[40:41], 0
	s_and_saveexec_b64 vcc, s[42:43]
	s_xor_b64 s[42:43], exec, vcc
	s_cbranch_execz .LBB6_14584
; %bb.14416:                            ;   in Loop: Header=BB6_13779 Depth=3
	v_cmp_eq_u16_sdwa s[38:39], v9, s96 src0_sel:BYTE_0 src1_sel:DWORD
	s_mov_b64 s[40:41], -1
	s_and_saveexec_b64 vcc, s[38:39]
; %bb.14417:                            ;   in Loop: Header=BB6_13779 Depth=3
	s_xor_b64 s[40:41], exec, -1
; %bb.14418:                            ;   in Loop: Header=BB6_13779 Depth=3
	s_or_b64 exec, exec, vcc
	s_and_b64 s[40:41], s[40:41], exec
	s_or_saveexec_b64 s[42:43], s[42:43]
	v_bfrev_b32_e32 v5, 1
	s_xor_b64 exec, exec, s[42:43]
	s_cbranch_execnz .LBB6_14585
.LBB6_14419:                            ;   in Loop: Header=BB6_13779 Depth=3
	s_or_b64 exec, exec, s[42:43]
	s_and_saveexec_b64 s[42:43], s[40:41]
	s_cbranch_execz .LBB6_14421
.LBB6_14420:                            ;   in Loop: Header=BB6_13779 Depth=3
	v_and_b32_e32 v5, 7, v9
	v_ffbh_u32_e32 v16, v5
	v_min_u32_e32 v37, 32, v16
	v_subrev_u32_e32 v16, 28, v37
	v_lshlrev_b64 v[16:17], v16, v[9:10]
	v_and_b32_e32 v18, 0x7f, v9
	v_bfe_u32 v35, v9, 3, 4
	v_sub_u32_e32 v17, 29, v37
	v_and_b32_e32 v16, 7, v16
	v_cmp_gt_u32_e32 vcc, 8, v18
	v_cndmask_b32_e32 v17, v35, v17, vcc
	v_cndmask_b32_e32 v5, v5, v16, vcc
	v_lshlrev_b32_e32 v9, 24, v9
	v_bfrev_b32_e32 v16, 60
	v_lshlrev_b32_e32 v5, 20, v5
	v_and_b32_e32 v9, 0x80000000, v9
	v_lshl_add_u32 v16, v17, 23, v16
	v_or3_b32 v5, v9, v16, v5
	v_cmp_ne_u32_e32 vcc, s86, v18
	v_mov_b32_e32 v9, 0x7f800001
	v_cndmask_b32_e32 v5, v9, v5, vcc
.LBB6_14421:                            ;   in Loop: Header=BB6_13779 Depth=3
	s_or_b64 exec, exec, s[42:43]
	v_add_f32_e32 v4, v4, v5
	v_and_b32_e32 v16, 0x7f800000, v4
	v_mov_b32_e32 v17, v51
	v_cmp_ne_u64_e32 vcc, s[76:77], v[16:17]
                                        ; implicit-def: $vgpr35
	s_and_saveexec_b64 s[40:41], vcc
	s_xor_b64 s[42:43], exec, s[40:41]
	s_cbranch_execz .LBB6_14435
; %bb.14422:                            ;   in Loop: Header=BB6_13779 Depth=3
	v_and_b32_e32 v16, 0x7fffffff, v4
	v_mov_b32_e32 v17, v51
	v_cmp_gt_u64_e32 vcc, s[78:79], v[16:17]
	v_and_b32_sdwa v9, v4, s96 dst_sel:DWORD dst_unused:UNUSED_PAD src0_sel:BYTE_3 src1_sel:DWORD
                                        ; implicit-def: $vgpr35
	s_and_saveexec_b64 s[40:41], vcc
	s_xor_b64 s[38:39], exec, s[40:41]
	s_cbranch_execz .LBB6_14432
; %bb.14423:                            ;   in Loop: Header=BB6_13779 Depth=3
	v_mov_b32_e32 v35, 0
	v_cmp_ne_u32_e32 vcc, 0, v4
	s_and_saveexec_b64 s[48:49], vcc
	s_cbranch_execz .LBB6_14431
; %bb.14424:                            ;   in Loop: Header=BB6_13779 Depth=3
	v_bfe_u32 v18, v4, 23, 8
	v_and_b32_e32 v5, 0x7fffff, v4
	v_cmp_gt_u32_e64 s[40:41], s97, v18
	v_sub_u32_e32 v4, 0x79, v18
	v_cmp_eq_u32_e32 vcc, 0, v18
	v_cndmask_b32_e64 v4, 0, v4, s[40:41]
	v_mov_b32_e32 v17, 0x78
	v_or_b32_e32 v16, 0x800000, v5
	v_cndmask_b32_e32 v35, v4, v17, vcc
	v_cndmask_b32_e32 v4, v16, v5, vcc
	v_add_u32_e32 v16, 20, v35
	v_lshlrev_b64 v[16:17], v16, -1
	v_add_u32_e32 v37, 19, v35
	v_lshlrev_b64 v[48:49], v37, 1
	v_mov_b32_e32 v5, v51
	v_bfi_b32 v17, v17, 0, 0
	v_bfi_b32 v16, v16, 0, v4
	v_cmp_eq_u64_e64 s[40:41], v[16:17], v[48:49]
	v_lshrrev_b64 v[16:17], v35, v[4:5]
	v_mov_b32_e32 v4, v16
	v_mov_b32_e32 v5, v17
	s_and_saveexec_b64 s[50:51], s[40:41]
; %bb.14425:                            ;   in Loop: Header=BB6_13779 Depth=3
	v_bfe_u32 v4, v16, 20, 1
	v_add_co_u32_e64 v4, s[40:41], v16, v4
	v_add_co_u32_e64 v4, s[40:41], -1, v4
; %bb.14426:                            ;   in Loop: Header=BB6_13779 Depth=3
	s_or_b64 exec, exec, s[50:51]
	v_add_u32_e32 v5, 0xffffff81, v18
	v_mov_b32_e32 v17, 0xffffff82
	v_cndmask_b32_e32 v5, v5, v17, vcc
	v_lshrrev_b32_e32 v17, 23, v16
	v_add3_u32 v18, v35, v5, v17
	v_add_u32_e32 v5, 6, v18
	v_and_b32_e32 v4, 0xfffff, v4
	v_add_u32_e32 v16, v4, v16
	v_mov_b32_e32 v17, v51
	v_cmp_ne_u32_e32 vcc, 0, v5
                                        ; implicit-def: $vgpr4
	s_and_saveexec_b64 s[40:41], vcc
	s_xor_b64 s[40:41], exec, s[40:41]
; %bb.14427:                            ;   in Loop: Header=BB6_13779 Depth=3
	v_cmp_lt_u64_e32 vcc, s[88:89], v[16:17]
	v_add_u32_e32 v4, 7, v18
	v_cndmask_b32_e32 v4, v5, v4, vcc
	v_cndmask_b32_e64 v5, 0, 1, vcc
	v_lshrrev_b64 v[16:17], v5, v[16:17]
; %bb.14428:                            ;   in Loop: Header=BB6_13779 Depth=3
	s_andn2_saveexec_b64 s[40:41], s[40:41]
; %bb.14429:                            ;   in Loop: Header=BB6_13779 Depth=3
	v_bfe_u32 v4, v16, 23, 1
; %bb.14430:                            ;   in Loop: Header=BB6_13779 Depth=3
	s_or_b64 exec, exec, s[40:41]
	v_lshrrev_b64 v[16:17], 20, v[16:17]
	v_cmp_gt_i32_e32 vcc, 16, v4
	v_cndmask_b32_e32 v17, 0, v17, vcc
	v_cndmask_b32_e32 v16, 7, v16, vcc
	v_cmp_eq_u32_e32 vcc, 0, v4
	v_min_i32_e32 v4, 15, v4
	v_cmp_eq_u64_e64 s[40:41], 0, v[16:17]
	v_lshlrev_b32_e32 v4, 3, v4
	v_and_b32_e32 v4, 0xf8, v4
	v_and_or_b32 v4, v16, 7, v4
	s_and_b64 s[40:41], vcc, s[40:41]
	v_cndmask_b32_e64 v4, v4, 0, s[40:41]
	v_or_b32_e32 v35, v4, v9
.LBB6_14431:                            ;   in Loop: Header=BB6_13779 Depth=3
	s_or_b64 exec, exec, s[48:49]
                                        ; implicit-def: $vgpr9
.LBB6_14432:                            ;   in Loop: Header=BB6_13779 Depth=3
	s_andn2_saveexec_b64 s[40:41], s[38:39]
; %bb.14433:                            ;   in Loop: Header=BB6_13779 Depth=3
	v_or_b32_e32 v35, 0x7e, v9
; %bb.14434:                            ;   in Loop: Header=BB6_13779 Depth=3
	s_or_b64 exec, exec, s[40:41]
                                        ; implicit-def: $vgpr4
.LBB6_14435:                            ;   in Loop: Header=BB6_13779 Depth=3
	s_andn2_saveexec_b64 s[40:41], s[42:43]
; %bb.14436:                            ;   in Loop: Header=BB6_13779 Depth=3
	v_or_b32_sdwa v35, v4, s86 dst_sel:DWORD dst_unused:UNUSED_PAD src0_sel:BYTE_3 src1_sel:DWORD
; %bb.14437:                            ;   in Loop: Header=BB6_13779 Depth=3
	s_or_b64 exec, exec, s[40:41]
	v_cmp_lt_u32_e32 vcc, s57, v8
	v_mov_b32_e32 v4, 0
	s_and_saveexec_b64 s[40:41], vcc
	s_cbranch_execz .LBB6_14443
; %bb.14438:                            ;   in Loop: Header=BB6_13779 Depth=3
	v_lshrrev_b32_e32 v9, 24, v8
	v_cmp_ne_u32_sdwa vcc, v8, s96 src0_sel:BYTE_3 src1_sel:DWORD
	v_bfrev_b32_e32 v4, 1
	s_and_saveexec_b64 s[42:43], vcc
	s_cbranch_execz .LBB6_14442
; %bb.14439:                            ;   in Loop: Header=BB6_13779 Depth=3
	v_bfe_u32 v5, v8, 24, 7
	v_cmp_ne_u32_e32 vcc, s86, v5
	v_mov_b32_e32 v4, 0x7f800001
	s_and_saveexec_b64 s[38:39], vcc
	s_cbranch_execz .LBB6_14441
; %bb.14440:                            ;   in Loop: Header=BB6_13779 Depth=3
	v_and_b32_e32 v16, 7, v9
	v_ffbh_u32_e32 v4, v16
	v_min_u32_e32 v18, 32, v4
	v_subrev_u32_e32 v4, 28, v18
	v_lshrrev_b32_e32 v17, 3, v5
	v_cmp_gt_u32_e32 vcc, 8, v5
	v_lshlrev_b64 v[4:5], v4, v[9:10]
	v_sub_u32_e32 v5, 29, v18
	v_and_b32_e32 v4, 7, v4
	v_mov_b32_e32 v9, 24
	v_cndmask_b32_e32 v5, v17, v5, vcc
	v_cndmask_b32_e32 v4, v16, v4, vcc
	v_lshlrev_b32_sdwa v8, v9, v8 dst_sel:DWORD dst_unused:UNUSED_PAD src0_sel:DWORD src1_sel:BYTE_3
	v_bfrev_b32_e32 v9, 60
	v_lshlrev_b32_e32 v4, 20, v4
	v_and_b32_e32 v8, 0x80000000, v8
	v_lshl_add_u32 v5, v5, 23, v9
	v_or3_b32 v4, v8, v5, v4
.LBB6_14441:                            ;   in Loop: Header=BB6_13779 Depth=3
	s_or_b64 exec, exec, s[38:39]
.LBB6_14442:                            ;   in Loop: Header=BB6_13779 Depth=3
	s_or_b64 exec, exec, s[42:43]
.LBB6_14443:                            ;   in Loop: Header=BB6_13779 Depth=3
	s_or_b64 exec, exec, s[40:41]
	v_bfe_u32 v16, v10, 24, 3
	v_ffbh_u32_e32 v8, v16
	v_min_u32_e32 v37, 32, v8
	v_lshrrev_b32_e32 v5, 24, v10
	v_subrev_u32_e32 v8, 28, v37
	v_lshlrev_b64 v[8:9], v8, v[5:6]
	v_bfe_u32 v17, v10, 24, 7
	v_bfe_u32 v18, v5, 3, 4
	v_sub_u32_e32 v9, 29, v37
	v_and_b32_e32 v8, 7, v8
	v_cmp_gt_u32_e32 vcc, 8, v17
	v_cndmask_b32_e32 v9, v18, v9, vcc
	v_cndmask_b32_e32 v8, v16, v8, vcc
	v_bfrev_b32_e32 v18, 60
	v_lshlrev_b32_e32 v8, 20, v8
	v_and_b32_e32 v16, 0x80000000, v10
	v_lshl_add_u32 v9, v9, 23, v18
	v_or3_b32 v8, v16, v9, v8
	v_cmp_ne_u32_e32 vcc, s86, v17
	v_mov_b32_e32 v9, 0x7f800001
	v_cndmask_b32_e32 v8, v9, v8, vcc
	v_cmp_ne_u32_e32 vcc, s96, v5
	v_bfrev_b32_e32 v5, 1
	v_cndmask_b32_e32 v5, v5, v8, vcc
	v_cmp_lt_u32_e32 vcc, s57, v10
	v_cndmask_b32_e32 v5, 0, v5, vcc
	v_add_f32_e32 v4, v5, v4
	v_and_b32_e32 v8, 0x7f800000, v4
	v_mov_b32_e32 v9, v51
	v_cmp_ne_u64_e32 vcc, s[76:77], v[8:9]
                                        ; implicit-def: $vgpr37
	s_and_saveexec_b64 s[40:41], vcc
	s_xor_b64 s[42:43], exec, s[40:41]
	s_cbranch_execz .LBB6_14457
; %bb.14444:                            ;   in Loop: Header=BB6_13779 Depth=3
	v_and_b32_e32 v8, 0x7fffffff, v4
	v_mov_b32_e32 v9, v51
	v_cmp_gt_u64_e32 vcc, s[78:79], v[8:9]
	v_and_b32_sdwa v16, v4, s96 dst_sel:DWORD dst_unused:UNUSED_PAD src0_sel:BYTE_3 src1_sel:DWORD
                                        ; implicit-def: $vgpr37
	s_and_saveexec_b64 s[40:41], vcc
	s_xor_b64 s[38:39], exec, s[40:41]
	s_cbranch_execz .LBB6_14454
; %bb.14445:                            ;   in Loop: Header=BB6_13779 Depth=3
	v_mov_b32_e32 v37, 0
	v_cmp_ne_u32_e32 vcc, 0, v4
	s_and_saveexec_b64 s[48:49], vcc
	s_cbranch_execz .LBB6_14453
; %bb.14446:                            ;   in Loop: Header=BB6_13779 Depth=3
	v_bfe_u32 v17, v4, 23, 8
	v_and_b32_e32 v5, 0x7fffff, v4
	v_cmp_gt_u32_e64 s[40:41], s97, v17
	v_sub_u32_e32 v4, 0x79, v17
	v_cmp_eq_u32_e32 vcc, 0, v17
	v_cndmask_b32_e64 v4, 0, v4, s[40:41]
	v_mov_b32_e32 v9, 0x78
	v_or_b32_e32 v8, 0x800000, v5
	v_cndmask_b32_e32 v18, v4, v9, vcc
	v_cndmask_b32_e32 v4, v8, v5, vcc
	v_add_u32_e32 v8, 20, v18
	v_lshlrev_b64 v[8:9], v8, -1
	v_add_u32_e32 v37, 19, v18
	v_lshlrev_b64 v[48:49], v37, 1
	v_mov_b32_e32 v5, v51
	v_bfi_b32 v9, v9, 0, 0
	v_bfi_b32 v8, v8, 0, v4
	v_cmp_eq_u64_e64 s[40:41], v[8:9], v[48:49]
	v_lshrrev_b64 v[8:9], v18, v[4:5]
	v_mov_b32_e32 v4, v8
	v_mov_b32_e32 v5, v9
	s_and_saveexec_b64 s[50:51], s[40:41]
; %bb.14447:                            ;   in Loop: Header=BB6_13779 Depth=3
	v_bfe_u32 v4, v8, 20, 1
	v_add_co_u32_e64 v4, s[40:41], v8, v4
	v_add_co_u32_e64 v4, s[40:41], -1, v4
; %bb.14448:                            ;   in Loop: Header=BB6_13779 Depth=3
	s_or_b64 exec, exec, s[50:51]
	v_add_u32_e32 v5, 0xffffff81, v17
	v_mov_b32_e32 v9, 0xffffff82
	v_cndmask_b32_e32 v5, v5, v9, vcc
	v_lshrrev_b32_e32 v9, 23, v8
	v_add3_u32 v17, v18, v5, v9
	v_add_u32_e32 v5, 6, v17
	v_and_b32_e32 v4, 0xfffff, v4
	v_add_u32_e32 v8, v4, v8
	v_mov_b32_e32 v9, v51
	v_cmp_ne_u32_e32 vcc, 0, v5
                                        ; implicit-def: $vgpr4
	s_and_saveexec_b64 s[40:41], vcc
	s_xor_b64 s[40:41], exec, s[40:41]
; %bb.14449:                            ;   in Loop: Header=BB6_13779 Depth=3
	v_cmp_lt_u64_e32 vcc, s[88:89], v[8:9]
	v_add_u32_e32 v4, 7, v17
	v_cndmask_b32_e32 v4, v5, v4, vcc
	v_cndmask_b32_e64 v5, 0, 1, vcc
	v_lshrrev_b64 v[8:9], v5, v[8:9]
; %bb.14450:                            ;   in Loop: Header=BB6_13779 Depth=3
	s_andn2_saveexec_b64 s[40:41], s[40:41]
; %bb.14451:                            ;   in Loop: Header=BB6_13779 Depth=3
	v_bfe_u32 v4, v8, 23, 1
; %bb.14452:                            ;   in Loop: Header=BB6_13779 Depth=3
	s_or_b64 exec, exec, s[40:41]
	v_lshrrev_b64 v[8:9], 20, v[8:9]
	v_cmp_gt_i32_e32 vcc, 16, v4
	v_cndmask_b32_e32 v9, 0, v9, vcc
	v_cndmask_b32_e32 v8, 7, v8, vcc
	v_cmp_eq_u32_e32 vcc, 0, v4
	v_min_i32_e32 v4, 15, v4
	v_cmp_eq_u64_e64 s[40:41], 0, v[8:9]
	v_lshlrev_b32_e32 v4, 3, v4
	v_and_b32_e32 v4, 0xf8, v4
	v_and_or_b32 v4, v8, 7, v4
	s_and_b64 s[40:41], vcc, s[40:41]
	v_cndmask_b32_e64 v4, v4, 0, s[40:41]
	v_or_b32_e32 v37, v4, v16
.LBB6_14453:                            ;   in Loop: Header=BB6_13779 Depth=3
	s_or_b64 exec, exec, s[48:49]
                                        ; implicit-def: $vgpr16
.LBB6_14454:                            ;   in Loop: Header=BB6_13779 Depth=3
	s_andn2_saveexec_b64 s[40:41], s[38:39]
; %bb.14455:                            ;   in Loop: Header=BB6_13779 Depth=3
	v_or_b32_e32 v37, 0x7e, v16
; %bb.14456:                            ;   in Loop: Header=BB6_13779 Depth=3
	s_or_b64 exec, exec, s[40:41]
                                        ; implicit-def: $vgpr4
.LBB6_14457:                            ;   in Loop: Header=BB6_13779 Depth=3
	s_andn2_saveexec_b64 s[40:41], s[42:43]
; %bb.14458:                            ;   in Loop: Header=BB6_13779 Depth=3
	v_or_b32_sdwa v37, v4, s86 dst_sel:DWORD dst_unused:UNUSED_PAD src0_sel:BYTE_3 src1_sel:DWORD
; %bb.14459:                            ;   in Loop: Header=BB6_13779 Depth=3
	s_or_b64 exec, exec, s[40:41]
	v_lshlrev_b32_e32 v4, 24, v34
	v_lshlrev_b32_e32 v5, 16, v31
	v_lshl_or_b32 v29, v29, 8, v26
	v_or3_b32 v8, v5, v4, v29
	v_mov_b32_e32 v9, v51
	v_cmp_ne_u32_e32 vcc, 0, v26
	v_mov_b32_e32 v4, 0
	s_and_saveexec_b64 s[40:41], vcc
	s_cbranch_execz .LBB6_14465
; %bb.14460:                            ;   in Loop: Header=BB6_13779 Depth=3
	v_cmp_ne_u32_e32 vcc, s96, v26
	v_bfrev_b32_e32 v4, 1
	s_and_saveexec_b64 s[42:43], vcc
	s_cbranch_execz .LBB6_14464
; %bb.14461:                            ;   in Loop: Header=BB6_13779 Depth=3
	v_and_b32_e32 v5, 0x7f, v26
	v_cmp_ne_u32_e32 vcc, s86, v5
	v_mov_b32_e32 v4, 0x7f800001
	s_and_saveexec_b64 s[38:39], vcc
	s_cbranch_execz .LBB6_14463
; %bb.14462:                            ;   in Loop: Header=BB6_13779 Depth=3
	v_and_b32_e32 v4, 7, v26
	v_ffbh_u32_e32 v4, v4
	v_min_u32_e32 v4, 32, v4
	v_lshrrev_b32_e32 v16, 3, v5
	v_cmp_gt_u32_e32 vcc, 8, v5
	v_subrev_u32_e32 v5, 28, v4
	v_sub_u32_e32 v4, 29, v4
	v_cndmask_b32_e32 v16, v16, v4, vcc
	v_cndmask_b32_e32 v4, 0, v5, vcc
	v_lshlrev_b64 v[4:5], v4, v[8:9]
	v_lshlrev_b32_e32 v5, 24, v8
	v_lshlrev_b32_e32 v4, 20, v4
	v_bfrev_b32_e32 v9, 60
	v_and_b32_e32 v4, 0x700000, v4
	v_and_b32_e32 v5, 0x80000000, v5
	v_lshl_add_u32 v9, v16, 23, v9
	v_or3_b32 v4, v5, v9, v4
.LBB6_14463:                            ;   in Loop: Header=BB6_13779 Depth=3
	s_or_b64 exec, exec, s[38:39]
.LBB6_14464:                            ;   in Loop: Header=BB6_13779 Depth=3
	s_or_b64 exec, exec, s[42:43]
.LBB6_14465:                            ;   in Loop: Header=BB6_13779 Depth=3
	s_or_b64 exec, exec, s[40:41]
	v_cmp_gt_i16_sdwa s[42:43], v11, s86 src0_sel:BYTE_0 src1_sel:DWORD
	s_mov_b64 s[40:41], 0
	s_and_saveexec_b64 vcc, s[42:43]
	s_xor_b64 s[42:43], exec, vcc
	s_cbranch_execz .LBB6_14469
; %bb.14466:                            ;   in Loop: Header=BB6_13779 Depth=3
	v_cmp_eq_u16_sdwa s[38:39], v11, s96 src0_sel:BYTE_0 src1_sel:DWORD
	s_mov_b64 s[40:41], -1
	s_and_saveexec_b64 vcc, s[38:39]
; %bb.14467:                            ;   in Loop: Header=BB6_13779 Depth=3
	s_xor_b64 s[40:41], exec, -1
; %bb.14468:                            ;   in Loop: Header=BB6_13779 Depth=3
	s_or_b64 exec, exec, vcc
	s_and_b64 s[40:41], s[40:41], exec
.LBB6_14469:                            ;   in Loop: Header=BB6_13779 Depth=3
	s_or_saveexec_b64 s[42:43], s[42:43]
	v_bfrev_b32_e32 v5, 1
	s_xor_b64 exec, exec, s[42:43]
; %bb.14470:                            ;   in Loop: Header=BB6_13779 Depth=3
	v_cmp_ne_u16_sdwa vcc, v11, v51 src0_sel:BYTE_0 src1_sel:DWORD
	s_andn2_b64 s[40:41], s[40:41], exec
	s_and_b64 vcc, vcc, exec
	v_mov_b32_e32 v5, 0
	s_or_b64 s[40:41], s[40:41], vcc
; %bb.14471:                            ;   in Loop: Header=BB6_13779 Depth=3
	s_or_b64 exec, exec, s[42:43]
	v_mov_b32_e32 v16, v11
	v_mov_b32_e32 v17, v51
	s_and_saveexec_b64 s[42:43], s[40:41]
	s_cbranch_execz .LBB6_14473
; %bb.14472:                            ;   in Loop: Header=BB6_13779 Depth=3
	v_and_b32_e32 v5, 7, v11
	v_ffbh_u32_e32 v5, v5
	v_and_b32_e32 v9, 0x7f, v11
	v_min_u32_e32 v5, 32, v5
	v_bfe_u32 v18, v11, 3, 4
	v_subrev_u32_e32 v26, 28, v5
	v_sub_u32_e32 v5, 29, v5
	v_cmp_gt_u32_e32 vcc, 8, v9
	v_cndmask_b32_e32 v5, v18, v5, vcc
	v_cndmask_b32_e32 v18, 0, v26, vcc
	v_lshlrev_b64 v[17:18], v18, v[16:17]
	v_lshlrev_b32_e32 v18, 24, v16
	v_lshlrev_b32_e32 v17, 20, v17
	v_bfrev_b32_e32 v26, 60
	v_and_b32_e32 v17, 0x700000, v17
	v_and_b32_e32 v18, 0x80000000, v18
	v_lshl_add_u32 v5, v5, 23, v26
	v_or3_b32 v5, v18, v5, v17
	v_cmp_ne_u32_e32 vcc, s86, v9
	v_mov_b32_e32 v9, 0x7f800001
	v_cndmask_b32_e32 v5, v9, v5, vcc
.LBB6_14473:                            ;   in Loop: Header=BB6_13779 Depth=3
	s_or_b64 exec, exec, s[42:43]
	v_add_f32_e32 v4, v4, v5
	v_and_b32_e32 v17, 0x7f800000, v4
	v_mov_b32_e32 v18, v51
	v_cmp_ne_u64_e32 vcc, s[76:77], v[17:18]
                                        ; implicit-def: $vgpr18
	s_and_saveexec_b64 s[40:41], vcc
	s_xor_b64 s[42:43], exec, s[40:41]
	s_cbranch_execz .LBB6_14487
; %bb.14474:                            ;   in Loop: Header=BB6_13779 Depth=3
	v_and_b32_e32 v17, 0x7fffffff, v4
	v_mov_b32_e32 v18, v51
	v_cmp_gt_u64_e32 vcc, s[78:79], v[17:18]
	v_and_b32_sdwa v9, v4, s96 dst_sel:DWORD dst_unused:UNUSED_PAD src0_sel:BYTE_3 src1_sel:DWORD
                                        ; implicit-def: $vgpr18
	s_and_saveexec_b64 s[40:41], vcc
	s_xor_b64 s[38:39], exec, s[40:41]
	s_cbranch_execz .LBB6_14484
; %bb.14475:                            ;   in Loop: Header=BB6_13779 Depth=3
	v_mov_b32_e32 v18, 0
	v_cmp_ne_u32_e32 vcc, 0, v4
	s_and_saveexec_b64 s[48:49], vcc
	s_cbranch_execz .LBB6_14483
; %bb.14476:                            ;   in Loop: Header=BB6_13779 Depth=3
	v_bfe_u32 v26, v4, 23, 8
	v_and_b32_e32 v5, 0x7fffff, v4
	v_cmp_gt_u32_e64 s[40:41], s97, v26
	v_sub_u32_e32 v4, 0x79, v26
	v_cmp_eq_u32_e32 vcc, 0, v26
	v_cndmask_b32_e64 v4, 0, v4, s[40:41]
	v_mov_b32_e32 v18, 0x78
	v_or_b32_e32 v17, 0x800000, v5
	v_cndmask_b32_e32 v31, v4, v18, vcc
	v_cndmask_b32_e32 v4, v17, v5, vcc
	v_add_u32_e32 v17, 20, v31
	v_lshlrev_b64 v[17:18], v17, -1
	v_add_u32_e32 v34, 19, v31
	v_lshlrev_b64 v[48:49], v34, 1
	v_mov_b32_e32 v5, v51
	v_bfi_b32 v18, v18, 0, 0
	v_bfi_b32 v17, v17, 0, v4
	v_cmp_eq_u64_e64 s[40:41], v[17:18], v[48:49]
	v_lshrrev_b64 v[17:18], v31, v[4:5]
	v_mov_b32_e32 v4, v17
	v_mov_b32_e32 v5, v18
	s_and_saveexec_b64 s[50:51], s[40:41]
; %bb.14477:                            ;   in Loop: Header=BB6_13779 Depth=3
	v_bfe_u32 v4, v17, 20, 1
	v_add_co_u32_e64 v4, s[40:41], v17, v4
	v_add_co_u32_e64 v4, s[40:41], -1, v4
; %bb.14478:                            ;   in Loop: Header=BB6_13779 Depth=3
	s_or_b64 exec, exec, s[50:51]
	v_add_u32_e32 v5, 0xffffff81, v26
	v_mov_b32_e32 v18, 0xffffff82
	v_cndmask_b32_e32 v5, v5, v18, vcc
	v_lshrrev_b32_e32 v18, 23, v17
	v_add3_u32 v26, v31, v5, v18
	v_add_u32_e32 v5, 6, v26
	v_and_b32_e32 v4, 0xfffff, v4
	v_add_u32_e32 v17, v4, v17
	v_mov_b32_e32 v18, v51
	v_cmp_ne_u32_e32 vcc, 0, v5
                                        ; implicit-def: $vgpr4
	s_and_saveexec_b64 s[40:41], vcc
	s_xor_b64 s[40:41], exec, s[40:41]
; %bb.14479:                            ;   in Loop: Header=BB6_13779 Depth=3
	v_cmp_lt_u64_e32 vcc, s[88:89], v[17:18]
	v_add_u32_e32 v4, 7, v26
	v_cndmask_b32_e32 v4, v5, v4, vcc
	v_cndmask_b32_e64 v5, 0, 1, vcc
	v_lshrrev_b64 v[17:18], v5, v[17:18]
; %bb.14480:                            ;   in Loop: Header=BB6_13779 Depth=3
	s_andn2_saveexec_b64 s[40:41], s[40:41]
; %bb.14481:                            ;   in Loop: Header=BB6_13779 Depth=3
	v_bfe_u32 v4, v17, 23, 1
; %bb.14482:                            ;   in Loop: Header=BB6_13779 Depth=3
	s_or_b64 exec, exec, s[40:41]
	v_lshrrev_b64 v[17:18], 20, v[17:18]
	v_cmp_gt_i32_e32 vcc, 16, v4
	v_cndmask_b32_e32 v18, 0, v18, vcc
	v_cndmask_b32_e32 v17, 7, v17, vcc
	v_cmp_eq_u32_e32 vcc, 0, v4
	v_min_i32_e32 v4, 15, v4
	v_cmp_eq_u64_e64 s[40:41], 0, v[17:18]
	v_lshlrev_b32_e32 v4, 3, v4
	v_and_b32_e32 v4, 0xf8, v4
	v_and_or_b32 v4, v17, 7, v4
	s_and_b64 s[40:41], vcc, s[40:41]
	v_cndmask_b32_e64 v4, v4, 0, s[40:41]
	v_or_b32_e32 v18, v4, v9
.LBB6_14483:                            ;   in Loop: Header=BB6_13779 Depth=3
	s_or_b64 exec, exec, s[48:49]
                                        ; implicit-def: $vgpr9
.LBB6_14484:                            ;   in Loop: Header=BB6_13779 Depth=3
	s_andn2_saveexec_b64 s[40:41], s[38:39]
; %bb.14485:                            ;   in Loop: Header=BB6_13779 Depth=3
	v_or_b32_e32 v18, 0x7e, v9
; %bb.14486:                            ;   in Loop: Header=BB6_13779 Depth=3
	s_or_b64 exec, exec, s[40:41]
                                        ; implicit-def: $vgpr4
.LBB6_14487:                            ;   in Loop: Header=BB6_13779 Depth=3
	s_andn2_saveexec_b64 s[40:41], s[42:43]
; %bb.14488:                            ;   in Loop: Header=BB6_13779 Depth=3
	v_or_b32_sdwa v18, v4, s86 dst_sel:DWORD dst_unused:UNUSED_PAD src0_sel:BYTE_3 src1_sel:DWORD
; %bb.14489:                            ;   in Loop: Header=BB6_13779 Depth=3
	s_or_b64 exec, exec, s[40:41]
	v_lshrrev_b16_e32 v9, 8, v29
	v_cmp_ne_u16_e32 vcc, 0, v9
	v_mov_b32_e32 v4, 0
	s_and_saveexec_b64 s[40:41], vcc
	s_cbranch_execz .LBB6_14495
; %bb.14490:                            ;   in Loop: Header=BB6_13779 Depth=3
	v_cmp_ne_u16_e32 vcc, s96, v9
	v_bfrev_b32_e32 v4, 1
	s_and_saveexec_b64 s[42:43], vcc
	s_cbranch_execz .LBB6_14494
; %bb.14491:                            ;   in Loop: Header=BB6_13779 Depth=3
	v_and_b32_e32 v5, 0x7f, v9
	v_cmp_ne_u32_e32 vcc, s86, v5
	v_mov_b32_e32 v4, 0x7f800001
	s_and_saveexec_b64 s[38:39], vcc
	s_cbranch_execz .LBB6_14493
; %bb.14492:                            ;   in Loop: Header=BB6_13779 Depth=3
	v_and_b32_e32 v17, 7, v9
	v_ffbh_u32_e32 v4, v17
	v_min_u32_e32 v31, 32, v4
	v_subrev_u32_e32 v4, 28, v31
	v_lshrrev_b32_e32 v26, 3, v5
	v_cmp_gt_u32_e32 vcc, 8, v5
	v_lshlrev_b64 v[4:5], v4, v[9:10]
	v_sub_u32_e32 v5, 29, v31
	v_and_b32_e32 v4, 7, v4
	v_cndmask_b32_e32 v5, v26, v5, vcc
	v_cndmask_b32_e32 v4, v17, v4, vcc
	v_lshlrev_b32_e32 v9, 16, v29
	v_bfrev_b32_e32 v17, 60
	v_lshlrev_b32_e32 v4, 20, v4
	v_and_b32_e32 v9, 0x80000000, v9
	v_lshl_add_u32 v5, v5, 23, v17
	v_or3_b32 v4, v9, v5, v4
.LBB6_14493:                            ;   in Loop: Header=BB6_13779 Depth=3
	s_or_b64 exec, exec, s[38:39]
.LBB6_14494:                            ;   in Loop: Header=BB6_13779 Depth=3
	s_or_b64 exec, exec, s[42:43]
.LBB6_14495:                            ;   in Loop: Header=BB6_13779 Depth=3
	s_or_b64 exec, exec, s[40:41]
	v_lshrrev_b16_e32 v16, 8, v16
	v_cmp_lt_i16_e32 vcc, s86, v16
	s_mov_b64 s[40:41], 0
	s_and_saveexec_b64 s[42:43], vcc
	s_xor_b64 s[42:43], exec, s[42:43]
	s_cbranch_execz .LBB6_14586
; %bb.14496:                            ;   in Loop: Header=BB6_13779 Depth=3
	v_cmp_eq_u16_e32 vcc, s96, v16
	s_mov_b64 s[40:41], -1
	s_and_saveexec_b64 s[38:39], vcc
; %bb.14497:                            ;   in Loop: Header=BB6_13779 Depth=3
	s_xor_b64 s[40:41], exec, -1
; %bb.14498:                            ;   in Loop: Header=BB6_13779 Depth=3
	s_or_b64 exec, exec, s[38:39]
	s_and_b64 s[40:41], s[40:41], exec
	s_or_saveexec_b64 s[42:43], s[42:43]
	v_bfrev_b32_e32 v5, 1
	s_xor_b64 exec, exec, s[42:43]
	s_cbranch_execnz .LBB6_14587
.LBB6_14499:                            ;   in Loop: Header=BB6_13779 Depth=3
	s_or_b64 exec, exec, s[42:43]
	s_and_saveexec_b64 s[42:43], s[40:41]
	s_cbranch_execz .LBB6_14501
.LBB6_14500:                            ;   in Loop: Header=BB6_13779 Depth=3
	v_and_b32_e32 v5, 7, v16
	v_ffbh_u32_e32 v29, v5
	v_min_u32_e32 v29, 32, v29
	v_mov_b32_e32 v17, v51
	v_subrev_u32_e32 v31, 28, v29
	v_lshlrev_b64 v[48:49], v31, v[16:17]
	v_and_b32_e32 v9, 0x7f, v16
	v_bfe_u32 v26, v16, 3, 4
	v_sub_u32_e32 v17, 29, v29
	v_and_b32_e32 v29, 7, v48
	v_cmp_gt_u32_e32 vcc, 8, v9
	v_cndmask_b32_e32 v17, v26, v17, vcc
	v_cndmask_b32_e32 v5, v5, v29, vcc
	v_lshlrev_b32_e32 v16, 24, v16
	v_bfrev_b32_e32 v26, 60
	v_lshlrev_b32_e32 v5, 20, v5
	v_and_b32_e32 v16, 0x80000000, v16
	v_lshl_add_u32 v17, v17, 23, v26
	v_or3_b32 v5, v16, v17, v5
	v_cmp_ne_u32_e32 vcc, s86, v9
	v_mov_b32_e32 v9, 0x7f800001
	v_cndmask_b32_e32 v5, v9, v5, vcc
.LBB6_14501:                            ;   in Loop: Header=BB6_13779 Depth=3
	s_or_b64 exec, exec, s[42:43]
	v_add_f32_e32 v4, v4, v5
	v_and_b32_e32 v16, 0x7f800000, v4
	v_mov_b32_e32 v17, v51
	v_cmp_ne_u64_e32 vcc, s[76:77], v[16:17]
                                        ; implicit-def: $vgpr26
	s_and_saveexec_b64 s[40:41], vcc
	s_xor_b64 s[42:43], exec, s[40:41]
	s_cbranch_execz .LBB6_14515
; %bb.14502:                            ;   in Loop: Header=BB6_13779 Depth=3
	v_and_b32_e32 v16, 0x7fffffff, v4
	v_mov_b32_e32 v17, v51
	v_cmp_gt_u64_e32 vcc, s[78:79], v[16:17]
	v_and_b32_sdwa v9, v4, s96 dst_sel:DWORD dst_unused:UNUSED_PAD src0_sel:BYTE_3 src1_sel:DWORD
                                        ; implicit-def: $vgpr26
	s_and_saveexec_b64 s[40:41], vcc
	s_xor_b64 s[38:39], exec, s[40:41]
	s_cbranch_execz .LBB6_14512
; %bb.14503:                            ;   in Loop: Header=BB6_13779 Depth=3
	v_mov_b32_e32 v26, 0
	v_cmp_ne_u32_e32 vcc, 0, v4
	s_and_saveexec_b64 s[48:49], vcc
	s_cbranch_execz .LBB6_14511
; %bb.14504:                            ;   in Loop: Header=BB6_13779 Depth=3
	v_bfe_u32 v26, v4, 23, 8
	v_and_b32_e32 v5, 0x7fffff, v4
	v_cmp_gt_u32_e64 s[40:41], s97, v26
	v_sub_u32_e32 v4, 0x79, v26
	v_cmp_eq_u32_e32 vcc, 0, v26
	v_cndmask_b32_e64 v4, 0, v4, s[40:41]
	v_mov_b32_e32 v17, 0x78
	v_or_b32_e32 v16, 0x800000, v5
	v_cndmask_b32_e32 v29, v4, v17, vcc
	v_cndmask_b32_e32 v4, v16, v5, vcc
	v_add_u32_e32 v16, 20, v29
	v_lshlrev_b64 v[16:17], v16, -1
	v_add_u32_e32 v31, 19, v29
	v_lshlrev_b64 v[48:49], v31, 1
	v_mov_b32_e32 v5, v51
	v_bfi_b32 v17, v17, 0, 0
	v_bfi_b32 v16, v16, 0, v4
	v_cmp_eq_u64_e64 s[40:41], v[16:17], v[48:49]
	v_lshrrev_b64 v[16:17], v29, v[4:5]
	v_mov_b32_e32 v4, v16
	v_mov_b32_e32 v5, v17
	s_and_saveexec_b64 s[50:51], s[40:41]
; %bb.14505:                            ;   in Loop: Header=BB6_13779 Depth=3
	v_bfe_u32 v4, v16, 20, 1
	v_add_co_u32_e64 v4, s[40:41], v16, v4
	v_add_co_u32_e64 v4, s[40:41], -1, v4
; %bb.14506:                            ;   in Loop: Header=BB6_13779 Depth=3
	s_or_b64 exec, exec, s[50:51]
	v_add_u32_e32 v5, 0xffffff81, v26
	v_mov_b32_e32 v17, 0xffffff82
	v_cndmask_b32_e32 v5, v5, v17, vcc
	v_lshrrev_b32_e32 v17, 23, v16
	v_add3_u32 v26, v29, v5, v17
	v_add_u32_e32 v5, 6, v26
	v_and_b32_e32 v4, 0xfffff, v4
	v_add_u32_e32 v16, v4, v16
	v_mov_b32_e32 v17, v51
	v_cmp_ne_u32_e32 vcc, 0, v5
                                        ; implicit-def: $vgpr4
	s_and_saveexec_b64 s[40:41], vcc
	s_xor_b64 s[40:41], exec, s[40:41]
; %bb.14507:                            ;   in Loop: Header=BB6_13779 Depth=3
	v_cmp_lt_u64_e32 vcc, s[88:89], v[16:17]
	v_add_u32_e32 v4, 7, v26
	v_cndmask_b32_e32 v4, v5, v4, vcc
	v_cndmask_b32_e64 v5, 0, 1, vcc
	v_lshrrev_b64 v[16:17], v5, v[16:17]
; %bb.14508:                            ;   in Loop: Header=BB6_13779 Depth=3
	s_andn2_saveexec_b64 s[40:41], s[40:41]
; %bb.14509:                            ;   in Loop: Header=BB6_13779 Depth=3
	v_bfe_u32 v4, v16, 23, 1
; %bb.14510:                            ;   in Loop: Header=BB6_13779 Depth=3
	s_or_b64 exec, exec, s[40:41]
	v_lshrrev_b64 v[16:17], 20, v[16:17]
	v_cmp_gt_i32_e32 vcc, 16, v4
	v_cndmask_b32_e32 v17, 0, v17, vcc
	v_cndmask_b32_e32 v16, 7, v16, vcc
	v_cmp_eq_u32_e32 vcc, 0, v4
	v_min_i32_e32 v4, 15, v4
	v_cmp_eq_u64_e64 s[40:41], 0, v[16:17]
	v_lshlrev_b32_e32 v4, 3, v4
	v_and_b32_e32 v4, 0xf8, v4
	v_and_or_b32 v4, v16, 7, v4
	s_and_b64 s[40:41], vcc, s[40:41]
	v_cndmask_b32_e64 v4, v4, 0, s[40:41]
	v_or_b32_e32 v26, v4, v9
.LBB6_14511:                            ;   in Loop: Header=BB6_13779 Depth=3
	s_or_b64 exec, exec, s[48:49]
                                        ; implicit-def: $vgpr9
.LBB6_14512:                            ;   in Loop: Header=BB6_13779 Depth=3
	s_andn2_saveexec_b64 s[40:41], s[38:39]
; %bb.14513:                            ;   in Loop: Header=BB6_13779 Depth=3
	v_or_b32_e32 v26, 0x7e, v9
; %bb.14514:                            ;   in Loop: Header=BB6_13779 Depth=3
	s_or_b64 exec, exec, s[40:41]
                                        ; implicit-def: $vgpr4
.LBB6_14515:                            ;   in Loop: Header=BB6_13779 Depth=3
	s_andn2_saveexec_b64 s[40:41], s[42:43]
; %bb.14516:                            ;   in Loop: Header=BB6_13779 Depth=3
	v_or_b32_sdwa v26, v4, s86 dst_sel:DWORD dst_unused:UNUSED_PAD src0_sel:BYTE_3 src1_sel:DWORD
; %bb.14517:                            ;   in Loop: Header=BB6_13779 Depth=3
	s_or_b64 exec, exec, s[40:41]
	v_lshrrev_b32_e32 v9, 16, v8
	v_cmp_ne_u16_sdwa s[42:43], v9, v51 src0_sel:BYTE_0 src1_sel:DWORD
	v_mov_b32_e32 v4, 0
	s_and_saveexec_b64 s[40:41], s[42:43]
	s_cbranch_execz .LBB6_14523
; %bb.14518:                            ;   in Loop: Header=BB6_13779 Depth=3
	v_cmp_ne_u16_sdwa vcc, v9, s96 src0_sel:BYTE_0 src1_sel:DWORD
	v_bfrev_b32_e32 v4, 1
	s_and_saveexec_b64 s[42:43], vcc
	s_cbranch_execz .LBB6_14522
; %bb.14519:                            ;   in Loop: Header=BB6_13779 Depth=3
	v_bfe_u32 v5, v8, 16, 7
	v_cmp_ne_u32_e32 vcc, s86, v5
	v_mov_b32_e32 v4, 0x7f800001
	s_and_saveexec_b64 s[38:39], vcc
	s_cbranch_execz .LBB6_14521
; %bb.14520:                            ;   in Loop: Header=BB6_13779 Depth=3
	v_and_b32_e32 v16, 7, v9
	v_ffbh_u32_e32 v4, v16
	v_min_u32_e32 v29, 32, v4
	v_subrev_u32_e32 v4, 28, v29
	v_lshrrev_b32_e32 v17, 3, v5
	v_cmp_gt_u32_e32 vcc, 8, v5
	v_lshlrev_b64 v[4:5], v4, v[9:10]
	v_sub_u32_e32 v5, 29, v29
	v_and_b32_e32 v4, 7, v4
	v_cndmask_b32_e32 v5, v17, v5, vcc
	v_cndmask_b32_e32 v4, v16, v4, vcc
	v_lshlrev_b32_e32 v9, 24, v9
	v_bfrev_b32_e32 v16, 60
	v_lshlrev_b32_e32 v4, 20, v4
	v_and_b32_e32 v9, 0x80000000, v9
	v_lshl_add_u32 v5, v5, 23, v16
	v_or3_b32 v4, v9, v5, v4
.LBB6_14521:                            ;   in Loop: Header=BB6_13779 Depth=3
	s_or_b64 exec, exec, s[38:39]
.LBB6_14522:                            ;   in Loop: Header=BB6_13779 Depth=3
	s_or_b64 exec, exec, s[42:43]
.LBB6_14523:                            ;   in Loop: Header=BB6_13779 Depth=3
	s_or_b64 exec, exec, s[40:41]
	v_lshrrev_b32_e32 v9, 16, v11
	v_cmp_gt_i16_sdwa s[42:43], v9, s86 src0_sel:BYTE_0 src1_sel:DWORD
	s_mov_b64 s[40:41], 0
	s_and_saveexec_b64 vcc, s[42:43]
	s_xor_b64 s[42:43], exec, vcc
	s_cbranch_execz .LBB6_14588
; %bb.14524:                            ;   in Loop: Header=BB6_13779 Depth=3
	v_cmp_eq_u16_sdwa s[38:39], v9, s96 src0_sel:BYTE_0 src1_sel:DWORD
	s_mov_b64 s[40:41], -1
	s_and_saveexec_b64 vcc, s[38:39]
; %bb.14525:                            ;   in Loop: Header=BB6_13779 Depth=3
	s_xor_b64 s[40:41], exec, -1
; %bb.14526:                            ;   in Loop: Header=BB6_13779 Depth=3
	s_or_b64 exec, exec, vcc
	s_and_b64 s[40:41], s[40:41], exec
	s_or_saveexec_b64 s[42:43], s[42:43]
	v_bfrev_b32_e32 v5, 1
	s_xor_b64 exec, exec, s[42:43]
	s_cbranch_execnz .LBB6_14589
.LBB6_14527:                            ;   in Loop: Header=BB6_13779 Depth=3
	s_or_b64 exec, exec, s[42:43]
	s_and_saveexec_b64 s[42:43], s[40:41]
	s_cbranch_execz .LBB6_14529
.LBB6_14528:                            ;   in Loop: Header=BB6_13779 Depth=3
	v_and_b32_e32 v5, 7, v9
	v_ffbh_u32_e32 v16, v5
	v_min_u32_e32 v34, 32, v16
	v_subrev_u32_e32 v16, 28, v34
	v_lshlrev_b64 v[16:17], v16, v[9:10]
	v_and_b32_e32 v29, 0x7f, v9
	v_bfe_u32 v31, v9, 3, 4
	v_sub_u32_e32 v17, 29, v34
	v_and_b32_e32 v16, 7, v16
	v_cmp_gt_u32_e32 vcc, 8, v29
	v_cndmask_b32_e32 v17, v31, v17, vcc
	v_cndmask_b32_e32 v5, v5, v16, vcc
	v_lshlrev_b32_e32 v9, 24, v9
	v_bfrev_b32_e32 v16, 60
	v_lshlrev_b32_e32 v5, 20, v5
	v_and_b32_e32 v9, 0x80000000, v9
	v_lshl_add_u32 v16, v17, 23, v16
	v_or3_b32 v5, v9, v16, v5
	v_cmp_ne_u32_e32 vcc, s86, v29
	v_mov_b32_e32 v9, 0x7f800001
	v_cndmask_b32_e32 v5, v9, v5, vcc
.LBB6_14529:                            ;   in Loop: Header=BB6_13779 Depth=3
	s_or_b64 exec, exec, s[42:43]
	v_add_f32_e32 v4, v4, v5
	v_and_b32_e32 v16, 0x7f800000, v4
	v_mov_b32_e32 v17, v51
	v_cmp_ne_u64_e32 vcc, s[76:77], v[16:17]
                                        ; implicit-def: $vgpr16
	s_and_saveexec_b64 s[40:41], vcc
	s_xor_b64 s[42:43], exec, s[40:41]
	s_cbranch_execz .LBB6_14543
; %bb.14530:                            ;   in Loop: Header=BB6_13779 Depth=3
	v_and_b32_e32 v16, 0x7fffffff, v4
	v_mov_b32_e32 v17, v51
	v_cmp_gt_u64_e32 vcc, s[78:79], v[16:17]
	v_and_b32_sdwa v9, v4, s96 dst_sel:DWORD dst_unused:UNUSED_PAD src0_sel:BYTE_3 src1_sel:DWORD
                                        ; implicit-def: $vgpr16
	s_and_saveexec_b64 s[40:41], vcc
	s_xor_b64 s[38:39], exec, s[40:41]
	s_cbranch_execz .LBB6_14540
; %bb.14531:                            ;   in Loop: Header=BB6_13779 Depth=3
	v_mov_b32_e32 v16, 0
	v_cmp_ne_u32_e32 vcc, 0, v4
	s_and_saveexec_b64 s[48:49], vcc
	s_cbranch_execz .LBB6_14539
; %bb.14532:                            ;   in Loop: Header=BB6_13779 Depth=3
	v_bfe_u32 v29, v4, 23, 8
	v_and_b32_e32 v5, 0x7fffff, v4
	v_cmp_gt_u32_e64 s[40:41], s97, v29
	v_sub_u32_e32 v4, 0x79, v29
	v_cmp_eq_u32_e32 vcc, 0, v29
	v_cndmask_b32_e64 v4, 0, v4, s[40:41]
	v_mov_b32_e32 v17, 0x78
	v_or_b32_e32 v16, 0x800000, v5
	v_cndmask_b32_e32 v31, v4, v17, vcc
	v_cndmask_b32_e32 v4, v16, v5, vcc
	v_add_u32_e32 v16, 20, v31
	v_lshlrev_b64 v[16:17], v16, -1
	v_add_u32_e32 v34, 19, v31
	v_lshlrev_b64 v[48:49], v34, 1
	v_mov_b32_e32 v5, v51
	v_bfi_b32 v17, v17, 0, 0
	v_bfi_b32 v16, v16, 0, v4
	v_cmp_eq_u64_e64 s[40:41], v[16:17], v[48:49]
	v_lshrrev_b64 v[16:17], v31, v[4:5]
	v_mov_b32_e32 v4, v16
	v_mov_b32_e32 v5, v17
	s_and_saveexec_b64 s[50:51], s[40:41]
; %bb.14533:                            ;   in Loop: Header=BB6_13779 Depth=3
	v_bfe_u32 v4, v16, 20, 1
	v_add_co_u32_e64 v4, s[40:41], v16, v4
	v_add_co_u32_e64 v4, s[40:41], -1, v4
; %bb.14534:                            ;   in Loop: Header=BB6_13779 Depth=3
	s_or_b64 exec, exec, s[50:51]
	v_add_u32_e32 v5, 0xffffff81, v29
	v_mov_b32_e32 v17, 0xffffff82
	v_cndmask_b32_e32 v5, v5, v17, vcc
	v_lshrrev_b32_e32 v17, 23, v16
	v_add3_u32 v29, v31, v5, v17
	v_add_u32_e32 v5, 6, v29
	v_and_b32_e32 v4, 0xfffff, v4
	v_add_u32_e32 v16, v4, v16
	v_mov_b32_e32 v17, v51
	v_cmp_ne_u32_e32 vcc, 0, v5
                                        ; implicit-def: $vgpr4
	s_and_saveexec_b64 s[40:41], vcc
	s_xor_b64 s[40:41], exec, s[40:41]
; %bb.14535:                            ;   in Loop: Header=BB6_13779 Depth=3
	v_cmp_lt_u64_e32 vcc, s[88:89], v[16:17]
	v_add_u32_e32 v4, 7, v29
	v_cndmask_b32_e32 v4, v5, v4, vcc
	v_cndmask_b32_e64 v5, 0, 1, vcc
	v_lshrrev_b64 v[16:17], v5, v[16:17]
; %bb.14536:                            ;   in Loop: Header=BB6_13779 Depth=3
	s_andn2_saveexec_b64 s[40:41], s[40:41]
; %bb.14537:                            ;   in Loop: Header=BB6_13779 Depth=3
	v_bfe_u32 v4, v16, 23, 1
; %bb.14538:                            ;   in Loop: Header=BB6_13779 Depth=3
	s_or_b64 exec, exec, s[40:41]
	v_lshrrev_b64 v[16:17], 20, v[16:17]
	v_cmp_gt_i32_e32 vcc, 16, v4
	v_cndmask_b32_e32 v17, 0, v17, vcc
	v_cndmask_b32_e32 v16, 7, v16, vcc
	v_cmp_eq_u32_e32 vcc, 0, v4
	v_min_i32_e32 v4, 15, v4
	v_cmp_eq_u64_e64 s[40:41], 0, v[16:17]
	v_lshlrev_b32_e32 v4, 3, v4
	v_and_b32_e32 v4, 0xf8, v4
	v_and_or_b32 v4, v16, 7, v4
	s_and_b64 s[40:41], vcc, s[40:41]
	v_cndmask_b32_e64 v4, v4, 0, s[40:41]
	v_or_b32_e32 v16, v4, v9
.LBB6_14539:                            ;   in Loop: Header=BB6_13779 Depth=3
	s_or_b64 exec, exec, s[48:49]
                                        ; implicit-def: $vgpr9
.LBB6_14540:                            ;   in Loop: Header=BB6_13779 Depth=3
	s_andn2_saveexec_b64 s[40:41], s[38:39]
; %bb.14541:                            ;   in Loop: Header=BB6_13779 Depth=3
	v_or_b32_e32 v16, 0x7e, v9
; %bb.14542:                            ;   in Loop: Header=BB6_13779 Depth=3
	s_or_b64 exec, exec, s[40:41]
                                        ; implicit-def: $vgpr4
.LBB6_14543:                            ;   in Loop: Header=BB6_13779 Depth=3
	s_andn2_saveexec_b64 s[40:41], s[42:43]
; %bb.14544:                            ;   in Loop: Header=BB6_13779 Depth=3
	v_or_b32_sdwa v16, v4, s86 dst_sel:DWORD dst_unused:UNUSED_PAD src0_sel:BYTE_3 src1_sel:DWORD
; %bb.14545:                            ;   in Loop: Header=BB6_13779 Depth=3
	s_or_b64 exec, exec, s[40:41]
	v_cmp_lt_u32_e32 vcc, s57, v8
	v_mov_b32_e32 v4, 0
	s_and_saveexec_b64 s[40:41], vcc
	s_cbranch_execz .LBB6_14551
; %bb.14546:                            ;   in Loop: Header=BB6_13779 Depth=3
	v_lshrrev_b32_e32 v9, 24, v8
	v_cmp_ne_u32_sdwa vcc, v8, s96 src0_sel:BYTE_3 src1_sel:DWORD
	v_bfrev_b32_e32 v4, 1
	s_and_saveexec_b64 s[42:43], vcc
	s_cbranch_execz .LBB6_14550
; %bb.14547:                            ;   in Loop: Header=BB6_13779 Depth=3
	v_bfe_u32 v5, v8, 24, 7
	v_cmp_ne_u32_e32 vcc, s86, v5
	v_mov_b32_e32 v4, 0x7f800001
	s_and_saveexec_b64 s[38:39], vcc
	s_cbranch_execz .LBB6_14549
; %bb.14548:                            ;   in Loop: Header=BB6_13779 Depth=3
	v_and_b32_e32 v17, 7, v9
	v_ffbh_u32_e32 v4, v17
	v_min_u32_e32 v31, 32, v4
	v_subrev_u32_e32 v4, 28, v31
	v_lshrrev_b32_e32 v29, 3, v5
	v_cmp_gt_u32_e32 vcc, 8, v5
	v_lshlrev_b64 v[4:5], v4, v[9:10]
	v_sub_u32_e32 v5, 29, v31
	v_and_b32_e32 v4, 7, v4
	v_mov_b32_e32 v9, 24
	v_cndmask_b32_e32 v5, v29, v5, vcc
	v_cndmask_b32_e32 v4, v17, v4, vcc
	v_lshlrev_b32_sdwa v8, v9, v8 dst_sel:DWORD dst_unused:UNUSED_PAD src0_sel:DWORD src1_sel:BYTE_3
	v_bfrev_b32_e32 v9, 60
	v_lshlrev_b32_e32 v4, 20, v4
	v_and_b32_e32 v8, 0x80000000, v8
	v_lshl_add_u32 v5, v5, 23, v9
	v_or3_b32 v4, v8, v5, v4
.LBB6_14549:                            ;   in Loop: Header=BB6_13779 Depth=3
	s_or_b64 exec, exec, s[38:39]
.LBB6_14550:                            ;   in Loop: Header=BB6_13779 Depth=3
	s_or_b64 exec, exec, s[42:43]
.LBB6_14551:                            ;   in Loop: Header=BB6_13779 Depth=3
	s_or_b64 exec, exec, s[40:41]
	v_bfe_u32 v17, v11, 24, 3
	v_ffbh_u32_e32 v8, v17
	v_min_u32_e32 v34, 32, v8
	v_lshrrev_b32_e32 v5, 24, v11
	v_subrev_u32_e32 v8, 28, v34
	v_lshlrev_b64 v[8:9], v8, v[5:6]
	v_bfe_u32 v29, v11, 24, 7
	v_bfe_u32 v31, v5, 3, 4
	v_sub_u32_e32 v9, 29, v34
	v_and_b32_e32 v8, 7, v8
	v_cmp_gt_u32_e32 vcc, 8, v29
	v_cndmask_b32_e32 v9, v31, v9, vcc
	v_cndmask_b32_e32 v8, v17, v8, vcc
	v_bfrev_b32_e32 v31, 60
	v_lshlrev_b32_e32 v8, 20, v8
	v_and_b32_e32 v17, 0x80000000, v11
	v_lshl_add_u32 v9, v9, 23, v31
	v_or3_b32 v8, v17, v9, v8
	v_cmp_ne_u32_e32 vcc, s86, v29
	v_mov_b32_e32 v9, 0x7f800001
	v_cndmask_b32_e32 v8, v9, v8, vcc
	v_cmp_ne_u32_e32 vcc, s96, v5
	v_bfrev_b32_e32 v5, 1
	v_cndmask_b32_e32 v5, v5, v8, vcc
	v_cmp_lt_u64_e32 vcc, s[56:57], v[10:11]
	v_mov_b32_e32 v9, v51
	v_cndmask_b32_e32 v5, 0, v5, vcc
	v_add_f32_e32 v5, v5, v4
	v_and_b32_e32 v8, 0x7f800000, v5
	v_cmp_ne_u64_e32 vcc, s[76:77], v[8:9]
                                        ; implicit-def: $vgpr4
	s_and_saveexec_b64 s[40:41], vcc
	s_xor_b64 s[42:43], exec, s[40:41]
	s_cbranch_execz .LBB6_14565
; %bb.14552:                            ;   in Loop: Header=BB6_13779 Depth=3
	v_and_b32_e32 v8, 0x7fffffff, v5
	v_mov_b32_e32 v9, v51
	v_cmp_gt_u64_e32 vcc, s[78:79], v[8:9]
	v_and_b32_sdwa v10, v5, s96 dst_sel:DWORD dst_unused:UNUSED_PAD src0_sel:BYTE_3 src1_sel:DWORD
                                        ; implicit-def: $vgpr4
	s_and_saveexec_b64 s[40:41], vcc
	s_xor_b64 s[38:39], exec, s[40:41]
	s_cbranch_execz .LBB6_14562
; %bb.14553:                            ;   in Loop: Header=BB6_13779 Depth=3
	v_mov_b32_e32 v4, 0
	v_cmp_ne_u32_e32 vcc, 0, v5
	s_and_saveexec_b64 s[48:49], vcc
	s_cbranch_execz .LBB6_14561
; %bb.14554:                            ;   in Loop: Header=BB6_13779 Depth=3
	v_bfe_u32 v11, v5, 23, 8
	v_and_b32_e32 v4, 0x7fffff, v5
	v_cmp_gt_u32_e64 s[40:41], s97, v11
	v_sub_u32_e32 v5, 0x79, v11
	v_cmp_eq_u32_e32 vcc, 0, v11
	v_cndmask_b32_e64 v5, 0, v5, s[40:41]
	v_mov_b32_e32 v9, 0x78
	v_or_b32_e32 v8, 0x800000, v4
	v_cndmask_b32_e32 v17, v5, v9, vcc
	v_cndmask_b32_e32 v4, v8, v4, vcc
	v_add_u32_e32 v8, 20, v17
	v_lshlrev_b64 v[8:9], v8, -1
	v_add_u32_e32 v29, 19, v17
	v_lshlrev_b64 v[48:49], v29, 1
	v_mov_b32_e32 v5, v51
	v_bfi_b32 v9, v9, 0, 0
	v_bfi_b32 v8, v8, 0, v4
	v_cmp_eq_u64_e64 s[40:41], v[8:9], v[48:49]
	v_lshrrev_b64 v[8:9], v17, v[4:5]
	v_mov_b32_e32 v4, v8
	v_mov_b32_e32 v5, v9
	s_and_saveexec_b64 s[50:51], s[40:41]
; %bb.14555:                            ;   in Loop: Header=BB6_13779 Depth=3
	v_bfe_u32 v4, v8, 20, 1
	v_add_co_u32_e64 v4, s[40:41], v8, v4
	v_add_co_u32_e64 v4, s[40:41], -1, v4
; %bb.14556:                            ;   in Loop: Header=BB6_13779 Depth=3
	s_or_b64 exec, exec, s[50:51]
	v_add_u32_e32 v5, 0xffffff81, v11
	v_mov_b32_e32 v9, 0xffffff82
	v_cndmask_b32_e32 v5, v5, v9, vcc
	v_lshrrev_b32_e32 v9, 23, v8
	v_add3_u32 v11, v17, v5, v9
	v_add_u32_e32 v5, 6, v11
	v_and_b32_e32 v4, 0xfffff, v4
	v_add_u32_e32 v8, v4, v8
	v_mov_b32_e32 v9, v51
	v_cmp_ne_u32_e32 vcc, 0, v5
                                        ; implicit-def: $vgpr4
	s_and_saveexec_b64 s[40:41], vcc
	s_xor_b64 s[40:41], exec, s[40:41]
; %bb.14557:                            ;   in Loop: Header=BB6_13779 Depth=3
	v_cmp_lt_u64_e32 vcc, s[88:89], v[8:9]
	v_add_u32_e32 v4, 7, v11
	v_cndmask_b32_e32 v4, v5, v4, vcc
	v_cndmask_b32_e64 v5, 0, 1, vcc
	v_lshrrev_b64 v[8:9], v5, v[8:9]
; %bb.14558:                            ;   in Loop: Header=BB6_13779 Depth=3
	s_andn2_saveexec_b64 s[40:41], s[40:41]
; %bb.14559:                            ;   in Loop: Header=BB6_13779 Depth=3
	v_bfe_u32 v4, v8, 23, 1
; %bb.14560:                            ;   in Loop: Header=BB6_13779 Depth=3
	s_or_b64 exec, exec, s[40:41]
	v_lshrrev_b64 v[8:9], 20, v[8:9]
	v_cmp_gt_i32_e32 vcc, 16, v4
	v_cndmask_b32_e32 v9, 0, v9, vcc
	v_cndmask_b32_e32 v8, 7, v8, vcc
	v_cmp_eq_u32_e32 vcc, 0, v4
	v_min_i32_e32 v4, 15, v4
	v_cmp_eq_u64_e64 s[40:41], 0, v[8:9]
	v_lshlrev_b32_e32 v4, 3, v4
	v_and_b32_e32 v4, 0xf8, v4
	v_and_or_b32 v4, v8, 7, v4
	s_and_b64 s[40:41], vcc, s[40:41]
	v_cndmask_b32_e64 v4, v4, 0, s[40:41]
	v_or_b32_e32 v4, v4, v10
.LBB6_14561:                            ;   in Loop: Header=BB6_13779 Depth=3
	s_or_b64 exec, exec, s[48:49]
                                        ; implicit-def: $vgpr10
.LBB6_14562:                            ;   in Loop: Header=BB6_13779 Depth=3
	s_andn2_saveexec_b64 s[40:41], s[38:39]
; %bb.14563:                            ;   in Loop: Header=BB6_13779 Depth=3
	v_or_b32_e32 v4, 0x7e, v10
; %bb.14564:                            ;   in Loop: Header=BB6_13779 Depth=3
	s_or_b64 exec, exec, s[40:41]
                                        ; implicit-def: $vgpr5
.LBB6_14565:                            ;   in Loop: Header=BB6_13779 Depth=3
	s_andn2_saveexec_b64 s[40:41], s[42:43]
; %bb.14566:                            ;   in Loop: Header=BB6_13779 Depth=3
	v_or_b32_sdwa v4, v5, s86 dst_sel:DWORD dst_unused:UNUSED_PAD src0_sel:BYTE_3 src1_sel:DWORD
; %bb.14567:                            ;   in Loop: Header=BB6_13779 Depth=3
	s_or_b64 exec, exec, s[40:41]
	v_lshl_or_b32 v5, v36, 8, v19
	v_lshlrev_b32_e32 v8, 16, v38
	v_lshlrev_b32_e32 v9, 24, v39
	v_or3_b32 v9, v5, v8, v9
	v_lshl_or_b32 v5, v27, 8, v25
	v_lshlrev_b32_e32 v8, 16, v30
	v_lshlrev_b32_e32 v10, 24, v33
	v_or3_b32 v8, v5, v8, v10
	;; [unrolled: 4-line block ×3, first 2 shown]
	v_lshlrev_b32_e32 v4, 24, v4
	v_lshlrev_b32_e32 v5, 16, v16
	v_lshl_or_b32 v11, v26, 8, v18
	v_or3_b32 v11, v11, v5, v4
	s_mov_b64 s[48:49], 0
	s_mov_b64 s[38:39], -1
.LBB6_14568:                            ;   Parent Loop BB6_47 Depth=1
                                        ;     Parent Loop BB6_10483 Depth=2
                                        ;       Parent Loop BB6_13779 Depth=3
                                        ; =>      This Inner Loop Header: Depth=4
	s_cmp_eq_u32 s48, 1
	s_cselect_b64 s[40:41], -1, 0
	v_cndmask_b32_e64 v5, v21, v23, s[40:41]
	v_cndmask_b32_e64 v4, v20, v22, s[40:41]
	global_store_dwordx4 v[4:5], v[8:11], off glc slc
	v_add_co_u32_e32 v4, vcc, 0x400, v4
	s_cmp_eq_u32 s48, 0
	v_addc_co_u32_e32 v5, vcc, 0, v5, vcc
	s_cselect_b64 vcc, -1, 0
	s_and_b64 s[42:43], exec, s[38:39]
	s_mov_b64 s[48:49], 1
	v_cndmask_b32_e64 v22, v22, v4, s[40:41]
	s_mov_b64 s[38:39], 0
	v_cndmask_b32_e64 v23, v23, v5, s[40:41]
	v_cndmask_b32_e32 v21, v21, v5, vcc
	v_cndmask_b32_e32 v20, v20, v4, vcc
	s_mov_b64 vcc, s[42:43]
	s_cbranch_vccnz .LBB6_14568
; %bb.14569:                            ;   in Loop: Header=BB6_13779 Depth=3
	buffer_load_dword v4, off, s[0:3], s33 offset:404 ; 4-byte Folded Reload
	buffer_load_dword v5, off, s[0:3], s33 offset:408 ; 4-byte Folded Reload
	s_waitcnt vmcnt(1)
	v_add_co_u32_e32 v12, vcc, v12, v4
	s_waitcnt vmcnt(0)
	v_addc_co_u32_e32 v13, vcc, v13, v5, vcc
	v_add_co_u32_e32 v14, vcc, v14, v4
	buffer_load_dword v4, off, s[0:3], s33 offset:396 ; 4-byte Folded Reload
	v_addc_co_u32_e32 v15, vcc, v15, v5, vcc
	buffer_load_dword v5, off, s[0:3], s33 offset:400 ; 4-byte Folded Reload
	s_waitcnt vmcnt(1)
	v_add_co_u32_e32 v20, vcc, v20, v4
	s_waitcnt vmcnt(0)
	v_addc_co_u32_e32 v21, vcc, v21, v5, vcc
	v_add_co_u32_e32 v22, vcc, v22, v4
	buffer_load_dword v4, off, s[0:3], s33 offset:356 ; 4-byte Folded Reload
	v_addc_co_u32_e32 v23, vcc, v23, v5, vcc
	s_waitcnt vmcnt(0)
	v_sub_u32_e32 v6, v6, v4
	buffer_load_dword v4, off, s[0:3], s33 offset:92 ; 4-byte Folded Reload
	v_cmp_gt_i32_e32 vcc, 16, v6
	s_or_b64 s[36:37], vcc, s[36:37]
	s_waitcnt vmcnt(0)
	v_sub_u32_e32 v7, v7, v4
	s_andn2_b64 exec, exec, s[36:37]
	s_cbranch_execnz .LBB6_13779
	s_branch .LBB6_14590
.LBB6_14570:                            ;   in Loop: Header=BB6_13779 Depth=3
	s_or_saveexec_b64 s[42:43], s[42:43]
	v_bfrev_b32_e32 v5, 1
	s_xor_b64 exec, exec, s[42:43]
	s_cbranch_execz .LBB6_14149
.LBB6_14571:                            ;   in Loop: Header=BB6_13779 Depth=3
	v_cmp_ne_u16_sdwa vcc, v8, v51 src0_sel:BYTE_0 src1_sel:DWORD
	s_andn2_b64 s[40:41], s[40:41], exec
	s_and_b64 vcc, vcc, exec
	v_mov_b32_e32 v5, 0
	s_or_b64 s[40:41], s[40:41], vcc
	s_or_b64 exec, exec, s[42:43]
	s_and_saveexec_b64 s[42:43], s[40:41]
	s_cbranch_execnz .LBB6_14150
	s_branch .LBB6_14151
.LBB6_14572:                            ;   in Loop: Header=BB6_13779 Depth=3
	s_or_saveexec_b64 s[42:43], s[42:43]
	v_bfrev_b32_e32 v5, 1
	s_xor_b64 exec, exec, s[42:43]
	s_cbranch_execz .LBB6_14177
.LBB6_14573:                            ;   in Loop: Header=BB6_13779 Depth=3
	v_cmp_ne_u16_e32 vcc, 0, v17
	s_andn2_b64 s[40:41], s[40:41], exec
	s_and_b64 vcc, vcc, exec
	v_mov_b32_e32 v5, 0
	s_or_b64 s[40:41], s[40:41], vcc
	s_or_b64 exec, exec, s[42:43]
	s_and_saveexec_b64 s[42:43], s[40:41]
	s_cbranch_execnz .LBB6_14178
	s_branch .LBB6_14179
.LBB6_14574:                            ;   in Loop: Header=BB6_13779 Depth=3
	s_or_saveexec_b64 s[42:43], s[42:43]
	v_bfrev_b32_e32 v5, 1
	s_xor_b64 exec, exec, s[42:43]
	s_cbranch_execz .LBB6_14205
.LBB6_14575:                            ;   in Loop: Header=BB6_13779 Depth=3
	v_cmp_ne_u16_sdwa vcc, v17, v51 src0_sel:BYTE_0 src1_sel:DWORD
	s_andn2_b64 s[40:41], s[40:41], exec
	s_and_b64 vcc, vcc, exec
	v_mov_b32_e32 v5, 0
	s_or_b64 s[40:41], s[40:41], vcc
	s_or_b64 exec, exec, s[42:43]
	s_and_saveexec_b64 s[42:43], s[40:41]
	s_cbranch_execnz .LBB6_14206
	s_branch .LBB6_14207
.LBB6_14576:                            ;   in Loop: Header=BB6_13779 Depth=3
	s_or_saveexec_b64 s[42:43], s[42:43]
	v_bfrev_b32_e32 v5, 1
	s_xor_b64 exec, exec, s[42:43]
	s_cbranch_execz .LBB6_14285
.LBB6_14577:                            ;   in Loop: Header=BB6_13779 Depth=3
	v_cmp_ne_u16_e32 vcc, 0, v17
	s_andn2_b64 s[40:41], s[40:41], exec
	s_and_b64 vcc, vcc, exec
	v_mov_b32_e32 v5, 0
	s_or_b64 s[40:41], s[40:41], vcc
	s_or_b64 exec, exec, s[42:43]
	s_and_saveexec_b64 s[42:43], s[40:41]
	s_cbranch_execnz .LBB6_14286
	s_branch .LBB6_14287
.LBB6_14578:                            ;   in Loop: Header=BB6_13779 Depth=3
	s_or_saveexec_b64 s[42:43], s[42:43]
	v_bfrev_b32_e32 v5, 1
	s_xor_b64 exec, exec, s[42:43]
	s_cbranch_execz .LBB6_14313
.LBB6_14579:                            ;   in Loop: Header=BB6_13779 Depth=3
	v_cmp_ne_u16_sdwa vcc, v17, v51 src0_sel:BYTE_0 src1_sel:DWORD
	s_andn2_b64 s[40:41], s[40:41], exec
	s_and_b64 vcc, vcc, exec
	v_mov_b32_e32 v5, 0
	s_or_b64 s[40:41], s[40:41], vcc
	s_or_b64 exec, exec, s[42:43]
	s_and_saveexec_b64 s[42:43], s[40:41]
	s_cbranch_execnz .LBB6_14314
	s_branch .LBB6_14315
.LBB6_14580:                            ;   in Loop: Header=BB6_13779 Depth=3
	s_or_saveexec_b64 s[42:43], s[42:43]
	v_bfrev_b32_e32 v5, 1
	s_xor_b64 exec, exec, s[42:43]
	s_cbranch_execz .LBB6_14363
.LBB6_14581:                            ;   in Loop: Header=BB6_13779 Depth=3
	v_cmp_ne_u16_sdwa vcc, v10, v51 src0_sel:BYTE_0 src1_sel:DWORD
	s_andn2_b64 s[40:41], s[40:41], exec
	s_and_b64 vcc, vcc, exec
	v_mov_b32_e32 v5, 0
	s_or_b64 s[40:41], s[40:41], vcc
	s_or_b64 exec, exec, s[42:43]
	s_and_saveexec_b64 s[42:43], s[40:41]
	s_cbranch_execnz .LBB6_14364
	s_branch .LBB6_14365
.LBB6_14582:                            ;   in Loop: Header=BB6_13779 Depth=3
	s_or_saveexec_b64 s[42:43], s[42:43]
	v_bfrev_b32_e32 v5, 1
	s_xor_b64 exec, exec, s[42:43]
	s_cbranch_execz .LBB6_14391
.LBB6_14583:                            ;   in Loop: Header=BB6_13779 Depth=3
	v_cmp_ne_u16_e32 vcc, 0, v16
	s_andn2_b64 s[40:41], s[40:41], exec
	s_and_b64 vcc, vcc, exec
	v_mov_b32_e32 v5, 0
	s_or_b64 s[40:41], s[40:41], vcc
	s_or_b64 exec, exec, s[42:43]
	s_and_saveexec_b64 s[42:43], s[40:41]
	s_cbranch_execnz .LBB6_14392
	s_branch .LBB6_14393
.LBB6_14584:                            ;   in Loop: Header=BB6_13779 Depth=3
	s_or_saveexec_b64 s[42:43], s[42:43]
	v_bfrev_b32_e32 v5, 1
	s_xor_b64 exec, exec, s[42:43]
	s_cbranch_execz .LBB6_14419
.LBB6_14585:                            ;   in Loop: Header=BB6_13779 Depth=3
	v_cmp_ne_u16_sdwa vcc, v9, v51 src0_sel:BYTE_0 src1_sel:DWORD
	s_andn2_b64 s[40:41], s[40:41], exec
	s_and_b64 vcc, vcc, exec
	v_mov_b32_e32 v5, 0
	s_or_b64 s[40:41], s[40:41], vcc
	s_or_b64 exec, exec, s[42:43]
	s_and_saveexec_b64 s[42:43], s[40:41]
	s_cbranch_execnz .LBB6_14420
	s_branch .LBB6_14421
.LBB6_14586:                            ;   in Loop: Header=BB6_13779 Depth=3
	s_or_saveexec_b64 s[42:43], s[42:43]
	v_bfrev_b32_e32 v5, 1
	s_xor_b64 exec, exec, s[42:43]
	s_cbranch_execz .LBB6_14499
.LBB6_14587:                            ;   in Loop: Header=BB6_13779 Depth=3
	v_cmp_ne_u16_e32 vcc, 0, v16
	s_andn2_b64 s[40:41], s[40:41], exec
	s_and_b64 vcc, vcc, exec
	v_mov_b32_e32 v5, 0
	s_or_b64 s[40:41], s[40:41], vcc
	s_or_b64 exec, exec, s[42:43]
	s_and_saveexec_b64 s[42:43], s[40:41]
	s_cbranch_execnz .LBB6_14500
	s_branch .LBB6_14501
.LBB6_14588:                            ;   in Loop: Header=BB6_13779 Depth=3
	s_or_saveexec_b64 s[42:43], s[42:43]
	v_bfrev_b32_e32 v5, 1
	s_xor_b64 exec, exec, s[42:43]
	s_cbranch_execz .LBB6_14527
.LBB6_14589:                            ;   in Loop: Header=BB6_13779 Depth=3
	v_cmp_ne_u16_sdwa vcc, v9, v51 src0_sel:BYTE_0 src1_sel:DWORD
	s_andn2_b64 s[40:41], s[40:41], exec
	s_and_b64 vcc, vcc, exec
	v_mov_b32_e32 v5, 0
	s_or_b64 s[40:41], s[40:41], vcc
	s_or_b64 exec, exec, s[42:43]
	s_and_saveexec_b64 s[42:43], s[40:41]
	s_cbranch_execnz .LBB6_14528
	s_branch .LBB6_14529
.LBB6_14590:                            ;   in Loop: Header=BB6_10483 Depth=2
	s_or_b64 exec, exec, s[36:37]
.LBB6_14591:                            ;   in Loop: Header=BB6_10483 Depth=2
	s_or_b64 exec, exec, s[34:35]
	buffer_load_dword v4, off, s[0:3], s33 offset:364 ; 4-byte Folded Reload
	v_cmp_lt_i32_e32 vcc, 0, v7
	s_waitcnt vmcnt(0)
	v_and_b32_e32 v4, 15, v4
	v_sub_u32_e32 v5, v3, v4
	v_cndmask_b32_e64 v5, 0, v5, s[28:29]
	v_add3_u32 v6, v0, v1, v5
	buffer_load_dword v0, off, s[0:3], s33 offset:92 ; 4-byte Folded Reload
	v_cndmask_b32_e64 v3, v3, v4, s[28:29]
	s_waitcnt vmcnt(0)
	v_cndmask_b32_e32 v0, 0, v0, vcc
	v_sub_u32_e32 v0, v0, v7
	v_cmp_ne_u32_e32 vcc, 0, v3
	v_lshl_add_u32 v2, v0, 6, v2
	s_and_b64 s[28:29], vcc, exec
.LBB6_14592:                            ;   in Loop: Header=BB6_10483 Depth=2
	s_or_b64 exec, exec, s[30:31]
	s_and_saveexec_b64 s[42:43], s[28:29]
	s_cbranch_execz .LBB6_16527
.LBB6_14593:                            ;   in Loop: Header=BB6_10483 Depth=2
	s_waitcnt vmcnt(0)
	v_ashrrev_i32_e32 v0, 31, v2
	v_ashrrev_i32_e32 v1, 31, v3
	v_lshrrev_b32_e32 v0, 26, v0
	v_lshrrev_b32_e32 v1, 21, v1
	v_add_u32_e32 v0, v2, v0
	v_add_u32_e32 v1, v3, v1
	v_ashrrev_i32_e32 v4, 6, v0
	v_ashrrev_i32_e32 v1, 11, v1
	v_sub_u32_e32 v19, v1, v4
	v_cmp_lt_i32_e32 vcc, 0, v19
	s_and_saveexec_b64 s[40:41], vcc
	s_cbranch_execz .LBB6_16458
; %bb.14594:                            ;   in Loop: Header=BB6_10483 Depth=2
	v_and_b32_e32 v0, 0xffffffc0, v0
	buffer_store_dword v1, off, s[0:3], s33 offset:192 ; 4-byte Folded Spill
	buffer_store_dword v3, off, s[0:3], s33 offset:180 ; 4-byte Folded Spill
	;; [unrolled: 1-line block ×3, first 2 shown]
	v_sub_u32_e32 v0, v2, v0
	buffer_store_dword v4, off, s[0:3], s33 offset:188 ; 4-byte Folded Spill
	v_lshlrev_b32_e32 v1, 11, v4
	buffer_store_dword v6, off, s[0:3], s33 offset:176 ; 4-byte Folded Spill
	v_add3_u32 v2, v6, v0, v1
	buffer_load_dword v0, off, s[0:3], s33 offset:420 ; 4-byte Folded Reload
	buffer_load_dword v1, off, s[0:3], s33 offset:424 ; 4-byte Folded Reload
	v_ashrrev_i32_e32 v3, 31, v2
	s_trap 2
	s_mov_b64 s[30:31], 0
	s_waitcnt vmcnt(1)
	v_add_co_u32_e32 v8, vcc, v2, v0
	s_waitcnt vmcnt(0)
	v_addc_co_u32_e32 v9, vcc, v3, v1, vcc
	ds_read_b64 v[0:1], v0
	buffer_load_dword v4, off, s[0:3], s33 offset:436 ; 4-byte Folded Reload
	buffer_load_dword v5, off, s[0:3], s33 offset:440 ; 4-byte Folded Reload
	v_add_co_u32_e32 v10, vcc, v2, v52
	v_addc_co_u32_e32 v11, vcc, v3, v53, vcc
	s_waitcnt vmcnt(1)
	v_add_co_u32_e32 v12, vcc, v2, v4
	s_waitcnt vmcnt(0)
	v_addc_co_u32_e32 v13, vcc, v3, v5, vcc
	s_waitcnt lgkmcnt(0)
	v_add_co_u32_e32 v14, vcc, v0, v2
	v_addc_co_u32_e32 v15, vcc, v1, v3, vcc
	s_branch .LBB6_14596
.LBB6_14595:                            ;   in Loop: Header=BB6_14596 Depth=3
	s_or_b64 exec, exec, s[28:29]
	flat_store_byte v[8:9], v33 glc slc
	flat_store_byte v[8:9], v27 offset:64 glc slc
	flat_store_byte v[8:9], v35 offset:128 glc slc
	;; [unrolled: 1-line block ×31, first 2 shown]
	flat_store_byte v[10:11], v33 glc slc
	flat_store_byte v[10:11], v27 offset:64 glc slc
	flat_store_byte v[10:11], v35 offset:128 glc slc
	;; [unrolled: 1-line block ×31, first 2 shown]
	buffer_load_dword v1, off, s[0:3], s33 offset:304 ; 4-byte Folded Reload
	buffer_load_dword v0, off, s[0:3], s33 offset:92 ; 4-byte Folded Reload
	s_waitcnt vmcnt(0)
	v_add_co_u32_e32 v12, vcc, v12, v1
	v_addc_co_u32_e32 v13, vcc, 0, v13, vcc
	v_add_co_u32_e32 v14, vcc, v14, v1
	v_addc_co_u32_e32 v15, vcc, 0, v15, vcc
	v_add_co_u32_e32 v8, vcc, v8, v1
	v_addc_co_u32_e32 v9, vcc, 0, v9, vcc
	v_sub_u32_e32 v19, v19, v0
	v_cmp_gt_i32_e32 vcc, 1, v19
	s_or_b64 s[30:31], vcc, s[30:31]
	v_add_co_u32_e32 v10, vcc, v10, v1
	v_addc_co_u32_e32 v11, vcc, 0, v11, vcc
	s_andn2_b64 exec, exec, s[30:31]
	s_cbranch_execz .LBB6_16457
.LBB6_14596:                            ;   Parent Loop BB6_47 Depth=1
                                        ;     Parent Loop BB6_10483 Depth=2
                                        ; =>    This Inner Loop Header: Depth=3
	s_trap 2
	ds_read_b64 v[4:5], v0
	s_waitcnt lgkmcnt(0)
	v_cmp_eq_u32_sdwa vcc, v4, v51 src0_sel:BYTE_0 src1_sel:DWORD
	v_readfirstlane_b32 s28, v4
	v_readfirstlane_b32 s29, v5
	s_and_b64 vcc, exec, vcc
	s_cbranch_vccnz .LBB6_14600
; %bb.14597:                            ;   in Loop: Header=BB6_14596 Depth=3
	v_cmp_eq_u32_sdwa vcc, v4, s96 src0_sel:BYTE_0 src1_sel:DWORD
	s_brev_b32 s9, 1
	s_and_b64 vcc, exec, vcc
	s_cbranch_vccnz .LBB6_14601
; %bb.14598:                            ;   in Loop: Header=BB6_14596 Depth=3
	s_and_b32 vcc_lo, s28, 0x7f
	s_cmpk_eq_i32 vcc_lo, 0x7f
	s_mov_b32 s9, 0x7f800001
	s_cbranch_scc1 .LBB6_14601
; %bb.14599:                            ;   in Loop: Header=BB6_14596 Depth=3
	s_and_b32 s9, s28, 7
	s_flbit_i32_b32 s9, s9
	s_min_u32 s9, s9, 32
	s_lshr_b32 vcc_hi, vcc_lo, 3
	s_sub_i32 s34, s9, 28
	s_sub_i32 s9, 29, s9
	s_cmp_lt_u32 vcc_lo, 8
	s_cselect_b32 s9, s9, vcc_hi
	s_cselect_b32 vcc_lo, s34, 0
	s_lshl_b64 vcc, s[28:29], vcc_lo
	s_lshl_b32 s28, s28, 24
	s_lshl_b32 s9, s9, 23
	s_lshl_b32 s29, vcc_lo, 20
	s_and_b32 s28, s28, 0x80000000
	s_add_i32 s9, s9, 0x3c000000
	s_and_b32 s29, s29, 0x700000
	s_or_b32 s9, s28, s9
	s_or_b32 s9, s9, s29
	s_branch .LBB6_14601
.LBB6_14600:                            ;   in Loop: Header=BB6_14596 Depth=3
	s_mov_b32 s9, 0
.LBB6_14601:                            ;   in Loop: Header=BB6_14596 Depth=3
	flat_load_ubyte v0, v[12:13] glc slc
	v_mov_b32_e32 v1, 0
	s_waitcnt vmcnt(0) lgkmcnt(0)
	v_cmp_ne_u16_e32 vcc, 0, v0
	s_and_saveexec_b64 s[28:29], vcc
	s_cbranch_execz .LBB6_14607
; %bb.14602:                            ;   in Loop: Header=BB6_14596 Depth=3
	v_cmp_ne_u16_e32 vcc, s96, v0
	v_bfrev_b32_e32 v1, 1
	s_and_saveexec_b64 s[34:35], vcc
	s_cbranch_execz .LBB6_14606
; %bb.14603:                            ;   in Loop: Header=BB6_14596 Depth=3
	v_and_b32_e32 v16, 0xffff, v0
	v_and_b32_e32 v2, 0x7f, v16
	v_cmp_ne_u32_e32 vcc, s86, v2
	v_mov_b32_e32 v1, 0x7f800001
	s_and_saveexec_b64 s[36:37], vcc
	s_cbranch_execz .LBB6_14605
; %bb.14604:                            ;   in Loop: Header=BB6_14596 Depth=3
	v_and_b32_e32 v3, 7, v16
	v_ffbh_u32_e32 v1, v3
	v_min_u32_e32 v5, 32, v1
	v_subrev_u32_e32 v1, 28, v5
	v_lshrrev_b32_e32 v4, 3, v2
	v_cmp_gt_u32_e32 vcc, 8, v2
	v_lshlrev_b64 v[1:2], v1, v[16:17]
	v_sub_u32_e32 v2, 29, v5
	v_and_b32_e32 v1, 7, v1
	v_cndmask_b32_e32 v2, v4, v2, vcc
	v_cndmask_b32_e32 v1, v3, v1, vcc
	v_lshlrev_b32_e32 v0, 24, v0
	v_bfrev_b32_e32 v3, 60
	v_lshlrev_b32_e32 v1, 20, v1
	v_and_b32_e32 v0, 0x80000000, v0
	v_lshl_add_u32 v2, v2, 23, v3
	v_or3_b32 v1, v0, v2, v1
.LBB6_14605:                            ;   in Loop: Header=BB6_14596 Depth=3
	s_or_b64 exec, exec, s[36:37]
.LBB6_14606:                            ;   in Loop: Header=BB6_14596 Depth=3
	s_or_b64 exec, exec, s[34:35]
.LBB6_14607:                            ;   in Loop: Header=BB6_14596 Depth=3
	s_or_b64 exec, exec, s[28:29]
	v_mul_f32_e32 v1, s9, v1
	v_and_b32_e32 v2, 0x7f800000, v1
	v_mov_b32_e32 v3, v51
	v_cmp_ne_u64_e32 vcc, s[76:77], v[2:3]
                                        ; implicit-def: $vgpr2
	s_and_saveexec_b64 s[28:29], vcc
	s_xor_b64 s[34:35], exec, s[28:29]
	s_cbranch_execz .LBB6_14625
; %bb.14608:                            ;   in Loop: Header=BB6_14596 Depth=3
	v_and_b32_e32 v2, 0x7fffffff, v1
	v_mov_b32_e32 v3, v51
	v_cmp_gt_u64_e32 vcc, s[78:79], v[2:3]
	v_and_b32_sdwa v0, v1, s96 dst_sel:DWORD dst_unused:UNUSED_PAD src0_sel:BYTE_3 src1_sel:DWORD
                                        ; implicit-def: $vgpr2
	s_and_saveexec_b64 s[28:29], vcc
	s_xor_b64 s[36:37], exec, s[28:29]
	s_cbranch_execz .LBB6_14622
; %bb.14609:                            ;   in Loop: Header=BB6_14596 Depth=3
	v_cmp_ne_u32_e32 vcc, 0, v1
	v_mov_b32_e32 v2, 0
	s_and_saveexec_b64 s[38:39], vcc
	s_cbranch_execz .LBB6_14621
; %bb.14610:                            ;   in Loop: Header=BB6_14596 Depth=3
	v_and_b32_e32 v3, 0x7fffff, v1
	v_bfe_u32 v1, v1, 23, 8
	v_cmp_gt_u32_e64 s[28:29], s97, v1
	v_sub_u32_e32 v2, 0x79, v1
	v_cmp_eq_u32_e32 vcc, 0, v1
	v_cndmask_b32_e64 v2, 0, v2, s[28:29]
	v_mov_b32_e32 v5, 0x78
	v_cndmask_b32_e32 v2, v2, v5, vcc
	v_add_u32_e32 v5, 20, v2
	v_or_b32_e32 v4, 0x800000, v3
	v_lshlrev_b64 v[5:6], v5, -1
	v_add_u32_e32 v7, 19, v2
	v_cndmask_b32_e32 v3, v4, v3, vcc
	v_lshlrev_b64 v[16:17], v7, 1
	v_mov_b32_e32 v4, v51
	v_bfi_b32 v6, v6, 0, 0
	v_bfi_b32 v5, v5, 0, v3
	v_cmp_eq_u64_e64 s[28:29], v[5:6], v[16:17]
	v_lshrrev_b64 v[16:17], v2, v[3:4]
	v_mov_b32_e32 v4, v16
	v_mov_b32_e32 v5, v17
	s_and_saveexec_b64 s[48:49], s[28:29]
; %bb.14611:                            ;   in Loop: Header=BB6_14596 Depth=3
	v_bfe_u32 v3, v16, 20, 1
	v_add_co_u32_e64 v3, s[28:29], v16, v3
	v_add_co_u32_e64 v4, s[28:29], -1, v3
; %bb.14612:                            ;   in Loop: Header=BB6_14596 Depth=3
	s_or_b64 exec, exec, s[48:49]
	v_add_u32_e32 v1, 0xffffff81, v1
	v_mov_b32_e32 v3, 0xffffff82
	v_cndmask_b32_e32 v1, v1, v3, vcc
	v_lshrrev_b32_e32 v3, 23, v16
	v_add3_u32 v3, v2, v1, v3
	v_add_u32_e32 v2, 6, v3
	v_and_b32_e32 v1, 0xfffff, v4
	v_add_u32_e32 v16, v1, v16
	v_mov_b32_e32 v17, v51
	v_cmp_ne_u32_e32 vcc, 0, v2
                                        ; implicit-def: $vgpr1
	s_and_saveexec_b64 s[28:29], vcc
	s_xor_b64 s[28:29], exec, s[28:29]
; %bb.14613:                            ;   in Loop: Header=BB6_14596 Depth=3
	v_cmp_lt_u64_e32 vcc, s[88:89], v[16:17]
	v_add_u32_e32 v1, 7, v3
	v_cndmask_b32_e32 v1, v2, v1, vcc
	v_cndmask_b32_e64 v2, 0, 1, vcc
	v_lshrrev_b64 v[16:17], v2, v[16:17]
; %bb.14614:                            ;   in Loop: Header=BB6_14596 Depth=3
	s_andn2_saveexec_b64 s[28:29], s[28:29]
; %bb.14615:                            ;   in Loop: Header=BB6_14596 Depth=3
	v_bfe_u32 v1, v16, 23, 1
; %bb.14616:                            ;   in Loop: Header=BB6_14596 Depth=3
	s_or_b64 exec, exec, s[28:29]
	v_lshrrev_b64 v[2:3], 20, v[16:17]
	v_cmp_gt_i32_e32 vcc, 16, v1
	v_cndmask_b32_e32 v17, 0, v3, vcc
	v_cndmask_b32_e32 v16, 7, v2, vcc
	v_cmp_ne_u64_e32 vcc, 0, v[16:17]
	v_cmp_ne_u32_e64 s[28:29], 0, v1
	s_or_b64 s[28:29], s[28:29], vcc
                                        ; implicit-def: $vgpr2
	s_and_saveexec_b64 vcc, s[28:29]
	s_xor_b64 s[28:29], exec, vcc
; %bb.14617:                            ;   in Loop: Header=BB6_14596 Depth=3
	v_min_i32_e32 v1, 15, v1
	v_lshl_or_b32 v0, v1, 3, v0
	v_and_or_b32 v2, v16, 7, v0
                                        ; implicit-def: $vgpr0
; %bb.14618:                            ;   in Loop: Header=BB6_14596 Depth=3
	s_andn2_saveexec_b64 s[28:29], s[28:29]
; %bb.14619:                            ;   in Loop: Header=BB6_14596 Depth=3
	v_mov_b32_e32 v2, v0
; %bb.14620:                            ;   in Loop: Header=BB6_14596 Depth=3
	s_or_b64 exec, exec, s[28:29]
.LBB6_14621:                            ;   in Loop: Header=BB6_14596 Depth=3
	s_or_b64 exec, exec, s[38:39]
                                        ; implicit-def: $vgpr0
.LBB6_14622:                            ;   in Loop: Header=BB6_14596 Depth=3
	s_andn2_saveexec_b64 s[28:29], s[36:37]
; %bb.14623:                            ;   in Loop: Header=BB6_14596 Depth=3
	v_or_b32_e32 v2, 0x7e, v0
; %bb.14624:                            ;   in Loop: Header=BB6_14596 Depth=3
	s_or_b64 exec, exec, s[28:29]
                                        ; implicit-def: $vgpr1
.LBB6_14625:                            ;   in Loop: Header=BB6_14596 Depth=3
	s_andn2_saveexec_b64 s[28:29], s[34:35]
; %bb.14626:                            ;   in Loop: Header=BB6_14596 Depth=3
	v_or_b32_sdwa v2, v1, s86 dst_sel:DWORD dst_unused:UNUSED_PAD src0_sel:BYTE_3 src1_sel:DWORD
; %bb.14627:                            ;   in Loop: Header=BB6_14596 Depth=3
	s_or_b64 exec, exec, s[28:29]
	flat_load_ubyte v0, v[12:13] offset:64 glc slc
	v_mov_b32_e32 v1, 0
	s_waitcnt vmcnt(0) lgkmcnt(0)
	v_cmp_ne_u16_e32 vcc, 0, v0
	s_and_saveexec_b64 s[28:29], vcc
	s_cbranch_execz .LBB6_14633
; %bb.14628:                            ;   in Loop: Header=BB6_14596 Depth=3
	v_cmp_ne_u16_e32 vcc, s96, v0
	v_bfrev_b32_e32 v1, 1
	s_and_saveexec_b64 s[34:35], vcc
	s_cbranch_execz .LBB6_14632
; %bb.14629:                            ;   in Loop: Header=BB6_14596 Depth=3
	v_and_b32_e32 v16, 0xffff, v0
	v_and_b32_e32 v3, 0x7f, v16
	v_cmp_ne_u32_e32 vcc, s86, v3
	v_mov_b32_e32 v1, 0x7f800001
	s_and_saveexec_b64 s[36:37], vcc
	s_cbranch_execz .LBB6_14631
; %bb.14630:                            ;   in Loop: Header=BB6_14596 Depth=3
	v_and_b32_e32 v1, 7, v16
	v_lshrrev_b32_e32 v5, 3, v3
	v_cmp_gt_u32_e32 vcc, 8, v3
	v_ffbh_u32_e32 v3, v1
	v_min_u32_e32 v6, 32, v3
	v_subrev_u32_e32 v3, 28, v6
	v_lshlrev_b64 v[3:4], v3, v[16:17]
	v_sub_u32_e32 v4, 29, v6
	v_and_b32_e32 v3, 7, v3
	v_cndmask_b32_e32 v4, v5, v4, vcc
	v_cndmask_b32_e32 v1, v1, v3, vcc
	v_lshlrev_b32_e32 v0, 24, v0
	v_bfrev_b32_e32 v3, 60
	v_lshlrev_b32_e32 v1, 20, v1
	v_and_b32_e32 v0, 0x80000000, v0
	v_lshl_add_u32 v3, v4, 23, v3
	v_or3_b32 v1, v0, v3, v1
.LBB6_14631:                            ;   in Loop: Header=BB6_14596 Depth=3
	s_or_b64 exec, exec, s[36:37]
.LBB6_14632:                            ;   in Loop: Header=BB6_14596 Depth=3
	s_or_b64 exec, exec, s[34:35]
.LBB6_14633:                            ;   in Loop: Header=BB6_14596 Depth=3
	s_or_b64 exec, exec, s[28:29]
	v_mul_f32_e32 v1, s9, v1
	v_and_b32_e32 v3, 0x7f800000, v1
	v_mov_b32_e32 v4, v51
	v_cmp_ne_u64_e32 vcc, s[76:77], v[3:4]
                                        ; implicit-def: $vgpr27
	s_and_saveexec_b64 s[28:29], vcc
	s_xor_b64 s[34:35], exec, s[28:29]
	s_cbranch_execz .LBB6_14651
; %bb.14634:                            ;   in Loop: Header=BB6_14596 Depth=3
	v_and_b32_e32 v3, 0x7fffffff, v1
	v_mov_b32_e32 v4, v51
	v_cmp_gt_u64_e32 vcc, s[78:79], v[3:4]
	v_and_b32_sdwa v0, v1, s96 dst_sel:DWORD dst_unused:UNUSED_PAD src0_sel:BYTE_3 src1_sel:DWORD
                                        ; implicit-def: $vgpr27
	s_and_saveexec_b64 s[28:29], vcc
	s_xor_b64 s[36:37], exec, s[28:29]
	s_cbranch_execz .LBB6_14648
; %bb.14635:                            ;   in Loop: Header=BB6_14596 Depth=3
	v_cmp_ne_u32_e32 vcc, 0, v1
	v_mov_b32_e32 v27, 0
	s_and_saveexec_b64 s[38:39], vcc
	s_cbranch_execz .LBB6_14647
; %bb.14636:                            ;   in Loop: Header=BB6_14596 Depth=3
	v_and_b32_e32 v4, 0x7fffff, v1
	v_bfe_u32 v1, v1, 23, 8
	v_cmp_gt_u32_e64 s[28:29], s97, v1
	v_sub_u32_e32 v3, 0x79, v1
	v_cmp_eq_u32_e32 vcc, 0, v1
	v_cndmask_b32_e64 v3, 0, v3, s[28:29]
	v_mov_b32_e32 v6, 0x78
	v_cndmask_b32_e32 v3, v3, v6, vcc
	v_add_u32_e32 v6, 20, v3
	v_or_b32_e32 v5, 0x800000, v4
	v_lshlrev_b64 v[6:7], v6, -1
	v_add_u32_e32 v16, 19, v3
	v_cndmask_b32_e32 v4, v5, v4, vcc
	v_lshlrev_b64 v[16:17], v16, 1
	v_mov_b32_e32 v5, v51
	v_bfi_b32 v7, v7, 0, 0
	v_bfi_b32 v6, v6, 0, v4
	v_cmp_eq_u64_e64 s[28:29], v[6:7], v[16:17]
	v_lshrrev_b64 v[16:17], v3, v[4:5]
	v_mov_b32_e32 v4, v16
	v_mov_b32_e32 v5, v17
	s_and_saveexec_b64 s[48:49], s[28:29]
; %bb.14637:                            ;   in Loop: Header=BB6_14596 Depth=3
	v_bfe_u32 v4, v16, 20, 1
	v_add_co_u32_e64 v4, s[28:29], v16, v4
	v_add_co_u32_e64 v4, s[28:29], -1, v4
; %bb.14638:                            ;   in Loop: Header=BB6_14596 Depth=3
	s_or_b64 exec, exec, s[48:49]
	v_add_u32_e32 v1, 0xffffff81, v1
	v_mov_b32_e32 v5, 0xffffff82
	v_cndmask_b32_e32 v1, v1, v5, vcc
	v_lshrrev_b32_e32 v5, 23, v16
	v_add3_u32 v5, v3, v1, v5
	v_add_u32_e32 v3, 6, v5
	v_and_b32_e32 v1, 0xfffff, v4
	v_add_u32_e32 v16, v1, v16
	v_mov_b32_e32 v17, v51
	v_cmp_ne_u32_e32 vcc, 0, v3
                                        ; implicit-def: $vgpr1
	s_and_saveexec_b64 s[28:29], vcc
	s_xor_b64 s[28:29], exec, s[28:29]
; %bb.14639:                            ;   in Loop: Header=BB6_14596 Depth=3
	v_cmp_lt_u64_e32 vcc, s[88:89], v[16:17]
	v_add_u32_e32 v1, 7, v5
	v_cndmask_b32_e32 v1, v3, v1, vcc
	v_cndmask_b32_e64 v3, 0, 1, vcc
	v_lshrrev_b64 v[16:17], v3, v[16:17]
; %bb.14640:                            ;   in Loop: Header=BB6_14596 Depth=3
	s_andn2_saveexec_b64 s[28:29], s[28:29]
; %bb.14641:                            ;   in Loop: Header=BB6_14596 Depth=3
	v_bfe_u32 v1, v16, 23, 1
; %bb.14642:                            ;   in Loop: Header=BB6_14596 Depth=3
	s_or_b64 exec, exec, s[28:29]
	v_lshrrev_b64 v[3:4], 20, v[16:17]
	v_cmp_gt_i32_e32 vcc, 16, v1
	v_cndmask_b32_e32 v17, 0, v4, vcc
	v_cndmask_b32_e32 v16, 7, v3, vcc
	v_cmp_ne_u64_e32 vcc, 0, v[16:17]
	v_cmp_ne_u32_e64 s[28:29], 0, v1
	s_or_b64 s[28:29], s[28:29], vcc
                                        ; implicit-def: $vgpr27
	s_and_saveexec_b64 vcc, s[28:29]
	s_xor_b64 s[28:29], exec, vcc
; %bb.14643:                            ;   in Loop: Header=BB6_14596 Depth=3
	v_min_i32_e32 v1, 15, v1
	v_lshl_or_b32 v0, v1, 3, v0
	v_and_or_b32 v27, v16, 7, v0
                                        ; implicit-def: $vgpr0
; %bb.14644:                            ;   in Loop: Header=BB6_14596 Depth=3
	s_andn2_saveexec_b64 s[28:29], s[28:29]
; %bb.14645:                            ;   in Loop: Header=BB6_14596 Depth=3
	v_mov_b32_e32 v27, v0
; %bb.14646:                            ;   in Loop: Header=BB6_14596 Depth=3
	s_or_b64 exec, exec, s[28:29]
.LBB6_14647:                            ;   in Loop: Header=BB6_14596 Depth=3
	s_or_b64 exec, exec, s[38:39]
                                        ; implicit-def: $vgpr0
.LBB6_14648:                            ;   in Loop: Header=BB6_14596 Depth=3
	s_andn2_saveexec_b64 s[28:29], s[36:37]
; %bb.14649:                            ;   in Loop: Header=BB6_14596 Depth=3
	v_or_b32_e32 v27, 0x7e, v0
; %bb.14650:                            ;   in Loop: Header=BB6_14596 Depth=3
	s_or_b64 exec, exec, s[28:29]
                                        ; implicit-def: $vgpr1
.LBB6_14651:                            ;   in Loop: Header=BB6_14596 Depth=3
	s_andn2_saveexec_b64 s[28:29], s[34:35]
; %bb.14652:                            ;   in Loop: Header=BB6_14596 Depth=3
	v_or_b32_sdwa v27, v1, s86 dst_sel:DWORD dst_unused:UNUSED_PAD src0_sel:BYTE_3 src1_sel:DWORD
; %bb.14653:                            ;   in Loop: Header=BB6_14596 Depth=3
	s_or_b64 exec, exec, s[28:29]
	flat_load_ubyte v0, v[12:13] offset:128 glc slc
	v_mov_b32_e32 v1, 0
	s_waitcnt vmcnt(0) lgkmcnt(0)
	v_cmp_ne_u16_e32 vcc, 0, v0
	s_and_saveexec_b64 s[28:29], vcc
	s_cbranch_execz .LBB6_14659
; %bb.14654:                            ;   in Loop: Header=BB6_14596 Depth=3
	v_cmp_ne_u16_e32 vcc, s96, v0
	v_bfrev_b32_e32 v1, 1
	s_and_saveexec_b64 s[34:35], vcc
	s_cbranch_execz .LBB6_14658
; %bb.14655:                            ;   in Loop: Header=BB6_14596 Depth=3
	v_and_b32_e32 v16, 0xffff, v0
	v_and_b32_e32 v3, 0x7f, v16
	v_cmp_ne_u32_e32 vcc, s86, v3
	v_mov_b32_e32 v1, 0x7f800001
	s_and_saveexec_b64 s[36:37], vcc
	s_cbranch_execz .LBB6_14657
; %bb.14656:                            ;   in Loop: Header=BB6_14596 Depth=3
	v_and_b32_e32 v1, 7, v16
	v_lshrrev_b32_e32 v5, 3, v3
	v_cmp_gt_u32_e32 vcc, 8, v3
	v_ffbh_u32_e32 v3, v1
	v_min_u32_e32 v6, 32, v3
	v_subrev_u32_e32 v3, 28, v6
	v_lshlrev_b64 v[3:4], v3, v[16:17]
	v_sub_u32_e32 v4, 29, v6
	v_and_b32_e32 v3, 7, v3
	v_cndmask_b32_e32 v4, v5, v4, vcc
	v_cndmask_b32_e32 v1, v1, v3, vcc
	v_lshlrev_b32_e32 v0, 24, v0
	v_bfrev_b32_e32 v3, 60
	v_lshlrev_b32_e32 v1, 20, v1
	v_and_b32_e32 v0, 0x80000000, v0
	v_lshl_add_u32 v3, v4, 23, v3
	v_or3_b32 v1, v0, v3, v1
.LBB6_14657:                            ;   in Loop: Header=BB6_14596 Depth=3
	s_or_b64 exec, exec, s[36:37]
.LBB6_14658:                            ;   in Loop: Header=BB6_14596 Depth=3
	s_or_b64 exec, exec, s[34:35]
.LBB6_14659:                            ;   in Loop: Header=BB6_14596 Depth=3
	s_or_b64 exec, exec, s[28:29]
	v_mul_f32_e32 v1, s9, v1
	v_and_b32_e32 v3, 0x7f800000, v1
	v_mov_b32_e32 v4, v51
	v_cmp_ne_u64_e32 vcc, s[76:77], v[3:4]
                                        ; implicit-def: $vgpr35
	s_and_saveexec_b64 s[28:29], vcc
	s_xor_b64 s[34:35], exec, s[28:29]
	s_cbranch_execz .LBB6_14677
; %bb.14660:                            ;   in Loop: Header=BB6_14596 Depth=3
	v_and_b32_e32 v3, 0x7fffffff, v1
	v_mov_b32_e32 v4, v51
	v_cmp_gt_u64_e32 vcc, s[78:79], v[3:4]
	v_and_b32_sdwa v0, v1, s96 dst_sel:DWORD dst_unused:UNUSED_PAD src0_sel:BYTE_3 src1_sel:DWORD
                                        ; implicit-def: $vgpr35
	s_and_saveexec_b64 s[28:29], vcc
	s_xor_b64 s[36:37], exec, s[28:29]
	s_cbranch_execz .LBB6_14674
; %bb.14661:                            ;   in Loop: Header=BB6_14596 Depth=3
	v_cmp_ne_u32_e32 vcc, 0, v1
	v_mov_b32_e32 v35, 0
	s_and_saveexec_b64 s[38:39], vcc
	s_cbranch_execz .LBB6_14673
; %bb.14662:                            ;   in Loop: Header=BB6_14596 Depth=3
	v_and_b32_e32 v4, 0x7fffff, v1
	v_bfe_u32 v1, v1, 23, 8
	v_cmp_gt_u32_e64 s[28:29], s97, v1
	v_sub_u32_e32 v3, 0x79, v1
	v_cmp_eq_u32_e32 vcc, 0, v1
	v_cndmask_b32_e64 v3, 0, v3, s[28:29]
	v_mov_b32_e32 v6, 0x78
	v_cndmask_b32_e32 v3, v3, v6, vcc
	v_add_u32_e32 v6, 20, v3
	v_or_b32_e32 v5, 0x800000, v4
	v_lshlrev_b64 v[6:7], v6, -1
	v_add_u32_e32 v16, 19, v3
	v_cndmask_b32_e32 v4, v5, v4, vcc
	v_lshlrev_b64 v[16:17], v16, 1
	v_mov_b32_e32 v5, v51
	v_bfi_b32 v7, v7, 0, 0
	v_bfi_b32 v6, v6, 0, v4
	v_cmp_eq_u64_e64 s[28:29], v[6:7], v[16:17]
	v_lshrrev_b64 v[16:17], v3, v[4:5]
	v_mov_b32_e32 v4, v16
	v_mov_b32_e32 v5, v17
	s_and_saveexec_b64 s[48:49], s[28:29]
; %bb.14663:                            ;   in Loop: Header=BB6_14596 Depth=3
	v_bfe_u32 v4, v16, 20, 1
	v_add_co_u32_e64 v4, s[28:29], v16, v4
	v_add_co_u32_e64 v4, s[28:29], -1, v4
; %bb.14664:                            ;   in Loop: Header=BB6_14596 Depth=3
	s_or_b64 exec, exec, s[48:49]
	v_add_u32_e32 v1, 0xffffff81, v1
	v_mov_b32_e32 v5, 0xffffff82
	v_cndmask_b32_e32 v1, v1, v5, vcc
	v_lshrrev_b32_e32 v5, 23, v16
	v_add3_u32 v5, v3, v1, v5
	v_add_u32_e32 v3, 6, v5
	v_and_b32_e32 v1, 0xfffff, v4
	v_add_u32_e32 v16, v1, v16
	v_mov_b32_e32 v17, v51
	v_cmp_ne_u32_e32 vcc, 0, v3
                                        ; implicit-def: $vgpr1
	s_and_saveexec_b64 s[28:29], vcc
	s_xor_b64 s[28:29], exec, s[28:29]
; %bb.14665:                            ;   in Loop: Header=BB6_14596 Depth=3
	v_cmp_lt_u64_e32 vcc, s[88:89], v[16:17]
	v_add_u32_e32 v1, 7, v5
	v_cndmask_b32_e32 v1, v3, v1, vcc
	v_cndmask_b32_e64 v3, 0, 1, vcc
	v_lshrrev_b64 v[16:17], v3, v[16:17]
; %bb.14666:                            ;   in Loop: Header=BB6_14596 Depth=3
	s_andn2_saveexec_b64 s[28:29], s[28:29]
; %bb.14667:                            ;   in Loop: Header=BB6_14596 Depth=3
	v_bfe_u32 v1, v16, 23, 1
; %bb.14668:                            ;   in Loop: Header=BB6_14596 Depth=3
	s_or_b64 exec, exec, s[28:29]
	v_lshrrev_b64 v[3:4], 20, v[16:17]
	v_cmp_gt_i32_e32 vcc, 16, v1
	v_cndmask_b32_e32 v17, 0, v4, vcc
	v_cndmask_b32_e32 v16, 7, v3, vcc
	v_cmp_ne_u64_e32 vcc, 0, v[16:17]
	v_cmp_ne_u32_e64 s[28:29], 0, v1
	s_or_b64 s[28:29], s[28:29], vcc
                                        ; implicit-def: $vgpr35
	s_and_saveexec_b64 vcc, s[28:29]
	s_xor_b64 s[28:29], exec, vcc
; %bb.14669:                            ;   in Loop: Header=BB6_14596 Depth=3
	v_min_i32_e32 v1, 15, v1
	v_lshl_or_b32 v0, v1, 3, v0
	v_and_or_b32 v35, v16, 7, v0
                                        ; implicit-def: $vgpr0
; %bb.14670:                            ;   in Loop: Header=BB6_14596 Depth=3
	s_andn2_saveexec_b64 s[28:29], s[28:29]
; %bb.14671:                            ;   in Loop: Header=BB6_14596 Depth=3
	v_mov_b32_e32 v35, v0
; %bb.14672:                            ;   in Loop: Header=BB6_14596 Depth=3
	s_or_b64 exec, exec, s[28:29]
.LBB6_14673:                            ;   in Loop: Header=BB6_14596 Depth=3
	s_or_b64 exec, exec, s[38:39]
                                        ; implicit-def: $vgpr0
.LBB6_14674:                            ;   in Loop: Header=BB6_14596 Depth=3
	s_andn2_saveexec_b64 s[28:29], s[36:37]
; %bb.14675:                            ;   in Loop: Header=BB6_14596 Depth=3
	v_or_b32_e32 v35, 0x7e, v0
; %bb.14676:                            ;   in Loop: Header=BB6_14596 Depth=3
	s_or_b64 exec, exec, s[28:29]
                                        ; implicit-def: $vgpr1
.LBB6_14677:                            ;   in Loop: Header=BB6_14596 Depth=3
	s_andn2_saveexec_b64 s[28:29], s[34:35]
; %bb.14678:                            ;   in Loop: Header=BB6_14596 Depth=3
	v_or_b32_sdwa v35, v1, s86 dst_sel:DWORD dst_unused:UNUSED_PAD src0_sel:BYTE_3 src1_sel:DWORD
; %bb.14679:                            ;   in Loop: Header=BB6_14596 Depth=3
	s_or_b64 exec, exec, s[28:29]
	flat_load_ubyte v0, v[12:13] offset:192 glc slc
	v_mov_b32_e32 v1, 0
	s_waitcnt vmcnt(0) lgkmcnt(0)
	v_cmp_ne_u16_e32 vcc, 0, v0
	s_and_saveexec_b64 s[28:29], vcc
	s_cbranch_execz .LBB6_14685
; %bb.14680:                            ;   in Loop: Header=BB6_14596 Depth=3
	v_cmp_ne_u16_e32 vcc, s96, v0
	v_bfrev_b32_e32 v1, 1
	s_and_saveexec_b64 s[34:35], vcc
	s_cbranch_execz .LBB6_14684
; %bb.14681:                            ;   in Loop: Header=BB6_14596 Depth=3
	v_and_b32_e32 v16, 0xffff, v0
	v_and_b32_e32 v3, 0x7f, v16
	v_cmp_ne_u32_e32 vcc, s86, v3
	v_mov_b32_e32 v1, 0x7f800001
	s_and_saveexec_b64 s[36:37], vcc
	s_cbranch_execz .LBB6_14683
; %bb.14682:                            ;   in Loop: Header=BB6_14596 Depth=3
	v_and_b32_e32 v1, 7, v16
	v_lshrrev_b32_e32 v5, 3, v3
	v_cmp_gt_u32_e32 vcc, 8, v3
	v_ffbh_u32_e32 v3, v1
	v_min_u32_e32 v6, 32, v3
	v_subrev_u32_e32 v3, 28, v6
	v_lshlrev_b64 v[3:4], v3, v[16:17]
	v_sub_u32_e32 v4, 29, v6
	v_and_b32_e32 v3, 7, v3
	v_cndmask_b32_e32 v4, v5, v4, vcc
	v_cndmask_b32_e32 v1, v1, v3, vcc
	v_lshlrev_b32_e32 v0, 24, v0
	v_bfrev_b32_e32 v3, 60
	v_lshlrev_b32_e32 v1, 20, v1
	v_and_b32_e32 v0, 0x80000000, v0
	v_lshl_add_u32 v3, v4, 23, v3
	v_or3_b32 v1, v0, v3, v1
.LBB6_14683:                            ;   in Loop: Header=BB6_14596 Depth=3
	s_or_b64 exec, exec, s[36:37]
.LBB6_14684:                            ;   in Loop: Header=BB6_14596 Depth=3
	s_or_b64 exec, exec, s[34:35]
.LBB6_14685:                            ;   in Loop: Header=BB6_14596 Depth=3
	s_or_b64 exec, exec, s[28:29]
	v_mul_f32_e32 v1, s9, v1
	v_and_b32_e32 v3, 0x7f800000, v1
	v_mov_b32_e32 v4, v51
	v_cmp_ne_u64_e32 vcc, s[76:77], v[3:4]
                                        ; implicit-def: $vgpr52
	s_and_saveexec_b64 s[28:29], vcc
	s_xor_b64 s[34:35], exec, s[28:29]
	s_cbranch_execz .LBB6_14703
; %bb.14686:                            ;   in Loop: Header=BB6_14596 Depth=3
	v_and_b32_e32 v3, 0x7fffffff, v1
	v_mov_b32_e32 v4, v51
	v_cmp_gt_u64_e32 vcc, s[78:79], v[3:4]
	v_and_b32_sdwa v0, v1, s96 dst_sel:DWORD dst_unused:UNUSED_PAD src0_sel:BYTE_3 src1_sel:DWORD
                                        ; implicit-def: $vgpr52
	s_and_saveexec_b64 s[28:29], vcc
	s_xor_b64 s[36:37], exec, s[28:29]
	s_cbranch_execz .LBB6_14700
; %bb.14687:                            ;   in Loop: Header=BB6_14596 Depth=3
	v_cmp_ne_u32_e32 vcc, 0, v1
	v_mov_b32_e32 v52, 0
	s_and_saveexec_b64 s[38:39], vcc
	s_cbranch_execz .LBB6_14699
; %bb.14688:                            ;   in Loop: Header=BB6_14596 Depth=3
	v_and_b32_e32 v4, 0x7fffff, v1
	v_bfe_u32 v1, v1, 23, 8
	v_cmp_gt_u32_e64 s[28:29], s97, v1
	v_sub_u32_e32 v3, 0x79, v1
	v_cmp_eq_u32_e32 vcc, 0, v1
	v_cndmask_b32_e64 v3, 0, v3, s[28:29]
	v_mov_b32_e32 v6, 0x78
	v_cndmask_b32_e32 v3, v3, v6, vcc
	v_add_u32_e32 v6, 20, v3
	v_or_b32_e32 v5, 0x800000, v4
	v_lshlrev_b64 v[6:7], v6, -1
	v_add_u32_e32 v16, 19, v3
	v_cndmask_b32_e32 v4, v5, v4, vcc
	v_lshlrev_b64 v[16:17], v16, 1
	v_mov_b32_e32 v5, v51
	v_bfi_b32 v7, v7, 0, 0
	v_bfi_b32 v6, v6, 0, v4
	v_cmp_eq_u64_e64 s[28:29], v[6:7], v[16:17]
	v_lshrrev_b64 v[16:17], v3, v[4:5]
	v_mov_b32_e32 v4, v16
	v_mov_b32_e32 v5, v17
	s_and_saveexec_b64 s[48:49], s[28:29]
; %bb.14689:                            ;   in Loop: Header=BB6_14596 Depth=3
	v_bfe_u32 v4, v16, 20, 1
	v_add_co_u32_e64 v4, s[28:29], v16, v4
	v_add_co_u32_e64 v4, s[28:29], -1, v4
; %bb.14690:                            ;   in Loop: Header=BB6_14596 Depth=3
	s_or_b64 exec, exec, s[48:49]
	v_add_u32_e32 v1, 0xffffff81, v1
	v_mov_b32_e32 v5, 0xffffff82
	v_cndmask_b32_e32 v1, v1, v5, vcc
	v_lshrrev_b32_e32 v5, 23, v16
	v_add3_u32 v5, v3, v1, v5
	v_add_u32_e32 v3, 6, v5
	v_and_b32_e32 v1, 0xfffff, v4
	v_add_u32_e32 v16, v1, v16
	v_mov_b32_e32 v17, v51
	v_cmp_ne_u32_e32 vcc, 0, v3
                                        ; implicit-def: $vgpr1
	s_and_saveexec_b64 s[28:29], vcc
	s_xor_b64 s[28:29], exec, s[28:29]
; %bb.14691:                            ;   in Loop: Header=BB6_14596 Depth=3
	v_cmp_lt_u64_e32 vcc, s[88:89], v[16:17]
	v_add_u32_e32 v1, 7, v5
	v_cndmask_b32_e32 v1, v3, v1, vcc
	v_cndmask_b32_e64 v3, 0, 1, vcc
	v_lshrrev_b64 v[16:17], v3, v[16:17]
; %bb.14692:                            ;   in Loop: Header=BB6_14596 Depth=3
	s_andn2_saveexec_b64 s[28:29], s[28:29]
; %bb.14693:                            ;   in Loop: Header=BB6_14596 Depth=3
	v_bfe_u32 v1, v16, 23, 1
; %bb.14694:                            ;   in Loop: Header=BB6_14596 Depth=3
	s_or_b64 exec, exec, s[28:29]
	v_lshrrev_b64 v[3:4], 20, v[16:17]
	v_cmp_gt_i32_e32 vcc, 16, v1
	v_cndmask_b32_e32 v17, 0, v4, vcc
	v_cndmask_b32_e32 v16, 7, v3, vcc
	v_cmp_ne_u64_e32 vcc, 0, v[16:17]
	v_cmp_ne_u32_e64 s[28:29], 0, v1
	s_or_b64 s[28:29], s[28:29], vcc
                                        ; implicit-def: $vgpr52
	s_and_saveexec_b64 vcc, s[28:29]
	s_xor_b64 s[28:29], exec, vcc
; %bb.14695:                            ;   in Loop: Header=BB6_14596 Depth=3
	v_min_i32_e32 v1, 15, v1
	v_lshl_or_b32 v0, v1, 3, v0
	v_and_or_b32 v52, v16, 7, v0
                                        ; implicit-def: $vgpr0
; %bb.14696:                            ;   in Loop: Header=BB6_14596 Depth=3
	s_andn2_saveexec_b64 s[28:29], s[28:29]
; %bb.14697:                            ;   in Loop: Header=BB6_14596 Depth=3
	v_mov_b32_e32 v52, v0
; %bb.14698:                            ;   in Loop: Header=BB6_14596 Depth=3
	s_or_b64 exec, exec, s[28:29]
.LBB6_14699:                            ;   in Loop: Header=BB6_14596 Depth=3
	s_or_b64 exec, exec, s[38:39]
                                        ; implicit-def: $vgpr0
.LBB6_14700:                            ;   in Loop: Header=BB6_14596 Depth=3
	s_andn2_saveexec_b64 s[28:29], s[36:37]
; %bb.14701:                            ;   in Loop: Header=BB6_14596 Depth=3
	v_or_b32_e32 v52, 0x7e, v0
; %bb.14702:                            ;   in Loop: Header=BB6_14596 Depth=3
	s_or_b64 exec, exec, s[28:29]
                                        ; implicit-def: $vgpr1
.LBB6_14703:                            ;   in Loop: Header=BB6_14596 Depth=3
	s_andn2_saveexec_b64 s[28:29], s[34:35]
; %bb.14704:                            ;   in Loop: Header=BB6_14596 Depth=3
	v_or_b32_sdwa v52, v1, s86 dst_sel:DWORD dst_unused:UNUSED_PAD src0_sel:BYTE_3 src1_sel:DWORD
; %bb.14705:                            ;   in Loop: Header=BB6_14596 Depth=3
	s_or_b64 exec, exec, s[28:29]
	flat_load_ubyte v0, v[12:13] offset:256 glc slc
	v_mov_b32_e32 v1, 0
	s_waitcnt vmcnt(0) lgkmcnt(0)
	v_cmp_ne_u16_e32 vcc, 0, v0
	s_and_saveexec_b64 s[28:29], vcc
	s_cbranch_execz .LBB6_14711
; %bb.14706:                            ;   in Loop: Header=BB6_14596 Depth=3
	v_cmp_ne_u16_e32 vcc, s96, v0
	v_bfrev_b32_e32 v1, 1
	s_and_saveexec_b64 s[34:35], vcc
	s_cbranch_execz .LBB6_14710
; %bb.14707:                            ;   in Loop: Header=BB6_14596 Depth=3
	v_and_b32_e32 v16, 0xffff, v0
	v_and_b32_e32 v3, 0x7f, v16
	v_cmp_ne_u32_e32 vcc, s86, v3
	v_mov_b32_e32 v1, 0x7f800001
	s_and_saveexec_b64 s[36:37], vcc
	s_cbranch_execz .LBB6_14709
; %bb.14708:                            ;   in Loop: Header=BB6_14596 Depth=3
	v_and_b32_e32 v1, 7, v16
	v_lshrrev_b32_e32 v5, 3, v3
	v_cmp_gt_u32_e32 vcc, 8, v3
	v_ffbh_u32_e32 v3, v1
	v_min_u32_e32 v6, 32, v3
	v_subrev_u32_e32 v3, 28, v6
	v_lshlrev_b64 v[3:4], v3, v[16:17]
	v_sub_u32_e32 v4, 29, v6
	v_and_b32_e32 v3, 7, v3
	v_cndmask_b32_e32 v4, v5, v4, vcc
	v_cndmask_b32_e32 v1, v1, v3, vcc
	v_lshlrev_b32_e32 v0, 24, v0
	v_bfrev_b32_e32 v3, 60
	v_lshlrev_b32_e32 v1, 20, v1
	v_and_b32_e32 v0, 0x80000000, v0
	v_lshl_add_u32 v3, v4, 23, v3
	v_or3_b32 v1, v0, v3, v1
.LBB6_14709:                            ;   in Loop: Header=BB6_14596 Depth=3
	s_or_b64 exec, exec, s[36:37]
.LBB6_14710:                            ;   in Loop: Header=BB6_14596 Depth=3
	s_or_b64 exec, exec, s[34:35]
.LBB6_14711:                            ;   in Loop: Header=BB6_14596 Depth=3
	s_or_b64 exec, exec, s[28:29]
	v_mul_f32_e32 v1, s9, v1
	v_and_b32_e32 v3, 0x7f800000, v1
	v_mov_b32_e32 v4, v51
	v_cmp_ne_u64_e32 vcc, s[76:77], v[3:4]
                                        ; implicit-def: $vgpr44
	s_and_saveexec_b64 s[28:29], vcc
	s_xor_b64 s[34:35], exec, s[28:29]
	s_cbranch_execz .LBB6_14729
; %bb.14712:                            ;   in Loop: Header=BB6_14596 Depth=3
	v_and_b32_e32 v3, 0x7fffffff, v1
	v_mov_b32_e32 v4, v51
	v_cmp_gt_u64_e32 vcc, s[78:79], v[3:4]
	v_and_b32_sdwa v0, v1, s96 dst_sel:DWORD dst_unused:UNUSED_PAD src0_sel:BYTE_3 src1_sel:DWORD
                                        ; implicit-def: $vgpr44
	s_and_saveexec_b64 s[28:29], vcc
	s_xor_b64 s[36:37], exec, s[28:29]
	s_cbranch_execz .LBB6_14726
; %bb.14713:                            ;   in Loop: Header=BB6_14596 Depth=3
	v_cmp_ne_u32_e32 vcc, 0, v1
	v_mov_b32_e32 v44, 0
	s_and_saveexec_b64 s[38:39], vcc
	s_cbranch_execz .LBB6_14725
; %bb.14714:                            ;   in Loop: Header=BB6_14596 Depth=3
	v_and_b32_e32 v4, 0x7fffff, v1
	v_bfe_u32 v1, v1, 23, 8
	v_cmp_gt_u32_e64 s[28:29], s97, v1
	v_sub_u32_e32 v3, 0x79, v1
	v_cmp_eq_u32_e32 vcc, 0, v1
	v_cndmask_b32_e64 v3, 0, v3, s[28:29]
	v_mov_b32_e32 v6, 0x78
	v_cndmask_b32_e32 v3, v3, v6, vcc
	v_add_u32_e32 v6, 20, v3
	v_or_b32_e32 v5, 0x800000, v4
	v_lshlrev_b64 v[6:7], v6, -1
	v_add_u32_e32 v16, 19, v3
	v_cndmask_b32_e32 v4, v5, v4, vcc
	v_lshlrev_b64 v[16:17], v16, 1
	v_mov_b32_e32 v5, v51
	v_bfi_b32 v7, v7, 0, 0
	v_bfi_b32 v6, v6, 0, v4
	v_cmp_eq_u64_e64 s[28:29], v[6:7], v[16:17]
	v_lshrrev_b64 v[16:17], v3, v[4:5]
	v_mov_b32_e32 v4, v16
	v_mov_b32_e32 v5, v17
	s_and_saveexec_b64 s[48:49], s[28:29]
; %bb.14715:                            ;   in Loop: Header=BB6_14596 Depth=3
	v_bfe_u32 v4, v16, 20, 1
	v_add_co_u32_e64 v4, s[28:29], v16, v4
	v_add_co_u32_e64 v4, s[28:29], -1, v4
; %bb.14716:                            ;   in Loop: Header=BB6_14596 Depth=3
	s_or_b64 exec, exec, s[48:49]
	v_add_u32_e32 v1, 0xffffff81, v1
	v_mov_b32_e32 v5, 0xffffff82
	v_cndmask_b32_e32 v1, v1, v5, vcc
	v_lshrrev_b32_e32 v5, 23, v16
	v_add3_u32 v5, v3, v1, v5
	v_add_u32_e32 v3, 6, v5
	v_and_b32_e32 v1, 0xfffff, v4
	v_add_u32_e32 v16, v1, v16
	v_mov_b32_e32 v17, v51
	v_cmp_ne_u32_e32 vcc, 0, v3
                                        ; implicit-def: $vgpr1
	s_and_saveexec_b64 s[28:29], vcc
	s_xor_b64 s[28:29], exec, s[28:29]
; %bb.14717:                            ;   in Loop: Header=BB6_14596 Depth=3
	v_cmp_lt_u64_e32 vcc, s[88:89], v[16:17]
	v_add_u32_e32 v1, 7, v5
	v_cndmask_b32_e32 v1, v3, v1, vcc
	v_cndmask_b32_e64 v3, 0, 1, vcc
	v_lshrrev_b64 v[16:17], v3, v[16:17]
; %bb.14718:                            ;   in Loop: Header=BB6_14596 Depth=3
	s_andn2_saveexec_b64 s[28:29], s[28:29]
; %bb.14719:                            ;   in Loop: Header=BB6_14596 Depth=3
	v_bfe_u32 v1, v16, 23, 1
; %bb.14720:                            ;   in Loop: Header=BB6_14596 Depth=3
	s_or_b64 exec, exec, s[28:29]
	v_lshrrev_b64 v[3:4], 20, v[16:17]
	v_cmp_gt_i32_e32 vcc, 16, v1
	v_cndmask_b32_e32 v17, 0, v4, vcc
	v_cndmask_b32_e32 v16, 7, v3, vcc
	v_cmp_ne_u64_e32 vcc, 0, v[16:17]
	v_cmp_ne_u32_e64 s[28:29], 0, v1
	s_or_b64 s[28:29], s[28:29], vcc
                                        ; implicit-def: $vgpr44
	s_and_saveexec_b64 vcc, s[28:29]
	s_xor_b64 s[28:29], exec, vcc
; %bb.14721:                            ;   in Loop: Header=BB6_14596 Depth=3
	v_min_i32_e32 v1, 15, v1
	v_lshl_or_b32 v0, v1, 3, v0
	v_and_or_b32 v44, v16, 7, v0
                                        ; implicit-def: $vgpr0
; %bb.14722:                            ;   in Loop: Header=BB6_14596 Depth=3
	s_andn2_saveexec_b64 s[28:29], s[28:29]
; %bb.14723:                            ;   in Loop: Header=BB6_14596 Depth=3
	v_mov_b32_e32 v44, v0
; %bb.14724:                            ;   in Loop: Header=BB6_14596 Depth=3
	s_or_b64 exec, exec, s[28:29]
.LBB6_14725:                            ;   in Loop: Header=BB6_14596 Depth=3
	s_or_b64 exec, exec, s[38:39]
                                        ; implicit-def: $vgpr0
.LBB6_14726:                            ;   in Loop: Header=BB6_14596 Depth=3
	s_andn2_saveexec_b64 s[28:29], s[36:37]
; %bb.14727:                            ;   in Loop: Header=BB6_14596 Depth=3
	v_or_b32_e32 v44, 0x7e, v0
; %bb.14728:                            ;   in Loop: Header=BB6_14596 Depth=3
	s_or_b64 exec, exec, s[28:29]
                                        ; implicit-def: $vgpr1
.LBB6_14729:                            ;   in Loop: Header=BB6_14596 Depth=3
	s_andn2_saveexec_b64 s[28:29], s[34:35]
; %bb.14730:                            ;   in Loop: Header=BB6_14596 Depth=3
	v_or_b32_sdwa v44, v1, s86 dst_sel:DWORD dst_unused:UNUSED_PAD src0_sel:BYTE_3 src1_sel:DWORD
; %bb.14731:                            ;   in Loop: Header=BB6_14596 Depth=3
	s_or_b64 exec, exec, s[28:29]
	flat_load_ubyte v0, v[12:13] offset:320 glc slc
	v_mov_b32_e32 v1, 0
	s_waitcnt vmcnt(0) lgkmcnt(0)
	v_cmp_ne_u16_e32 vcc, 0, v0
	s_and_saveexec_b64 s[28:29], vcc
	s_cbranch_execz .LBB6_14737
; %bb.14732:                            ;   in Loop: Header=BB6_14596 Depth=3
	v_cmp_ne_u16_e32 vcc, s96, v0
	v_bfrev_b32_e32 v1, 1
	s_and_saveexec_b64 s[34:35], vcc
	s_cbranch_execz .LBB6_14736
; %bb.14733:                            ;   in Loop: Header=BB6_14596 Depth=3
	v_and_b32_e32 v16, 0xffff, v0
	v_and_b32_e32 v3, 0x7f, v16
	v_cmp_ne_u32_e32 vcc, s86, v3
	v_mov_b32_e32 v1, 0x7f800001
	s_and_saveexec_b64 s[36:37], vcc
	s_cbranch_execz .LBB6_14735
; %bb.14734:                            ;   in Loop: Header=BB6_14596 Depth=3
	v_and_b32_e32 v1, 7, v16
	v_lshrrev_b32_e32 v5, 3, v3
	v_cmp_gt_u32_e32 vcc, 8, v3
	v_ffbh_u32_e32 v3, v1
	v_min_u32_e32 v6, 32, v3
	v_subrev_u32_e32 v3, 28, v6
	v_lshlrev_b64 v[3:4], v3, v[16:17]
	v_sub_u32_e32 v4, 29, v6
	v_and_b32_e32 v3, 7, v3
	v_cndmask_b32_e32 v4, v5, v4, vcc
	v_cndmask_b32_e32 v1, v1, v3, vcc
	v_lshlrev_b32_e32 v0, 24, v0
	v_bfrev_b32_e32 v3, 60
	v_lshlrev_b32_e32 v1, 20, v1
	v_and_b32_e32 v0, 0x80000000, v0
	v_lshl_add_u32 v3, v4, 23, v3
	v_or3_b32 v1, v0, v3, v1
.LBB6_14735:                            ;   in Loop: Header=BB6_14596 Depth=3
	s_or_b64 exec, exec, s[36:37]
.LBB6_14736:                            ;   in Loop: Header=BB6_14596 Depth=3
	s_or_b64 exec, exec, s[34:35]
.LBB6_14737:                            ;   in Loop: Header=BB6_14596 Depth=3
	s_or_b64 exec, exec, s[28:29]
	v_mul_f32_e32 v1, s9, v1
	v_and_b32_e32 v3, 0x7f800000, v1
	v_mov_b32_e32 v4, v51
	v_cmp_ne_u64_e32 vcc, s[76:77], v[3:4]
                                        ; implicit-def: $vgpr47
	s_and_saveexec_b64 s[28:29], vcc
	s_xor_b64 s[34:35], exec, s[28:29]
	s_cbranch_execz .LBB6_14755
; %bb.14738:                            ;   in Loop: Header=BB6_14596 Depth=3
	v_and_b32_e32 v3, 0x7fffffff, v1
	v_mov_b32_e32 v4, v51
	v_cmp_gt_u64_e32 vcc, s[78:79], v[3:4]
	v_and_b32_sdwa v0, v1, s96 dst_sel:DWORD dst_unused:UNUSED_PAD src0_sel:BYTE_3 src1_sel:DWORD
                                        ; implicit-def: $vgpr47
	s_and_saveexec_b64 s[28:29], vcc
	s_xor_b64 s[36:37], exec, s[28:29]
	s_cbranch_execz .LBB6_14752
; %bb.14739:                            ;   in Loop: Header=BB6_14596 Depth=3
	v_cmp_ne_u32_e32 vcc, 0, v1
	v_mov_b32_e32 v47, 0
	s_and_saveexec_b64 s[38:39], vcc
	s_cbranch_execz .LBB6_14751
; %bb.14740:                            ;   in Loop: Header=BB6_14596 Depth=3
	v_and_b32_e32 v4, 0x7fffff, v1
	v_bfe_u32 v1, v1, 23, 8
	v_cmp_gt_u32_e64 s[28:29], s97, v1
	v_sub_u32_e32 v3, 0x79, v1
	v_cmp_eq_u32_e32 vcc, 0, v1
	v_cndmask_b32_e64 v3, 0, v3, s[28:29]
	v_mov_b32_e32 v6, 0x78
	v_cndmask_b32_e32 v3, v3, v6, vcc
	v_add_u32_e32 v6, 20, v3
	v_or_b32_e32 v5, 0x800000, v4
	v_lshlrev_b64 v[6:7], v6, -1
	v_add_u32_e32 v16, 19, v3
	v_cndmask_b32_e32 v4, v5, v4, vcc
	v_lshlrev_b64 v[16:17], v16, 1
	v_mov_b32_e32 v5, v51
	v_bfi_b32 v7, v7, 0, 0
	v_bfi_b32 v6, v6, 0, v4
	v_cmp_eq_u64_e64 s[28:29], v[6:7], v[16:17]
	v_lshrrev_b64 v[16:17], v3, v[4:5]
	v_mov_b32_e32 v4, v16
	v_mov_b32_e32 v5, v17
	s_and_saveexec_b64 s[48:49], s[28:29]
; %bb.14741:                            ;   in Loop: Header=BB6_14596 Depth=3
	v_bfe_u32 v4, v16, 20, 1
	v_add_co_u32_e64 v4, s[28:29], v16, v4
	v_add_co_u32_e64 v4, s[28:29], -1, v4
; %bb.14742:                            ;   in Loop: Header=BB6_14596 Depth=3
	s_or_b64 exec, exec, s[48:49]
	v_add_u32_e32 v1, 0xffffff81, v1
	v_mov_b32_e32 v5, 0xffffff82
	v_cndmask_b32_e32 v1, v1, v5, vcc
	v_lshrrev_b32_e32 v5, 23, v16
	v_add3_u32 v5, v3, v1, v5
	v_add_u32_e32 v3, 6, v5
	v_and_b32_e32 v1, 0xfffff, v4
	v_add_u32_e32 v16, v1, v16
	v_mov_b32_e32 v17, v51
	v_cmp_ne_u32_e32 vcc, 0, v3
                                        ; implicit-def: $vgpr1
	s_and_saveexec_b64 s[28:29], vcc
	s_xor_b64 s[28:29], exec, s[28:29]
; %bb.14743:                            ;   in Loop: Header=BB6_14596 Depth=3
	v_cmp_lt_u64_e32 vcc, s[88:89], v[16:17]
	v_add_u32_e32 v1, 7, v5
	v_cndmask_b32_e32 v1, v3, v1, vcc
	v_cndmask_b32_e64 v3, 0, 1, vcc
	v_lshrrev_b64 v[16:17], v3, v[16:17]
; %bb.14744:                            ;   in Loop: Header=BB6_14596 Depth=3
	s_andn2_saveexec_b64 s[28:29], s[28:29]
; %bb.14745:                            ;   in Loop: Header=BB6_14596 Depth=3
	v_bfe_u32 v1, v16, 23, 1
; %bb.14746:                            ;   in Loop: Header=BB6_14596 Depth=3
	s_or_b64 exec, exec, s[28:29]
	v_lshrrev_b64 v[3:4], 20, v[16:17]
	v_cmp_gt_i32_e32 vcc, 16, v1
	v_cndmask_b32_e32 v17, 0, v4, vcc
	v_cndmask_b32_e32 v16, 7, v3, vcc
	v_cmp_ne_u64_e32 vcc, 0, v[16:17]
	v_cmp_ne_u32_e64 s[28:29], 0, v1
	s_or_b64 s[28:29], s[28:29], vcc
                                        ; implicit-def: $vgpr47
	s_and_saveexec_b64 vcc, s[28:29]
	s_xor_b64 s[28:29], exec, vcc
; %bb.14747:                            ;   in Loop: Header=BB6_14596 Depth=3
	v_min_i32_e32 v1, 15, v1
	v_lshl_or_b32 v0, v1, 3, v0
	v_and_or_b32 v47, v16, 7, v0
                                        ; implicit-def: $vgpr0
; %bb.14748:                            ;   in Loop: Header=BB6_14596 Depth=3
	s_andn2_saveexec_b64 s[28:29], s[28:29]
; %bb.14749:                            ;   in Loop: Header=BB6_14596 Depth=3
	v_mov_b32_e32 v47, v0
; %bb.14750:                            ;   in Loop: Header=BB6_14596 Depth=3
	s_or_b64 exec, exec, s[28:29]
.LBB6_14751:                            ;   in Loop: Header=BB6_14596 Depth=3
	s_or_b64 exec, exec, s[38:39]
                                        ; implicit-def: $vgpr0
.LBB6_14752:                            ;   in Loop: Header=BB6_14596 Depth=3
	s_andn2_saveexec_b64 s[28:29], s[36:37]
; %bb.14753:                            ;   in Loop: Header=BB6_14596 Depth=3
	v_or_b32_e32 v47, 0x7e, v0
; %bb.14754:                            ;   in Loop: Header=BB6_14596 Depth=3
	s_or_b64 exec, exec, s[28:29]
                                        ; implicit-def: $vgpr1
.LBB6_14755:                            ;   in Loop: Header=BB6_14596 Depth=3
	s_andn2_saveexec_b64 s[28:29], s[34:35]
; %bb.14756:                            ;   in Loop: Header=BB6_14596 Depth=3
	v_or_b32_sdwa v47, v1, s86 dst_sel:DWORD dst_unused:UNUSED_PAD src0_sel:BYTE_3 src1_sel:DWORD
; %bb.14757:                            ;   in Loop: Header=BB6_14596 Depth=3
	s_or_b64 exec, exec, s[28:29]
	flat_load_ubyte v0, v[12:13] offset:384 glc slc
	v_mov_b32_e32 v1, 0
	s_waitcnt vmcnt(0) lgkmcnt(0)
	v_cmp_ne_u16_e32 vcc, 0, v0
	s_and_saveexec_b64 s[28:29], vcc
	s_cbranch_execz .LBB6_14763
; %bb.14758:                            ;   in Loop: Header=BB6_14596 Depth=3
	v_cmp_ne_u16_e32 vcc, s96, v0
	v_bfrev_b32_e32 v1, 1
	s_and_saveexec_b64 s[34:35], vcc
	s_cbranch_execz .LBB6_14762
; %bb.14759:                            ;   in Loop: Header=BB6_14596 Depth=3
	v_and_b32_e32 v16, 0xffff, v0
	v_and_b32_e32 v3, 0x7f, v16
	v_cmp_ne_u32_e32 vcc, s86, v3
	v_mov_b32_e32 v1, 0x7f800001
	s_and_saveexec_b64 s[36:37], vcc
	s_cbranch_execz .LBB6_14761
; %bb.14760:                            ;   in Loop: Header=BB6_14596 Depth=3
	v_and_b32_e32 v1, 7, v16
	v_lshrrev_b32_e32 v5, 3, v3
	v_cmp_gt_u32_e32 vcc, 8, v3
	v_ffbh_u32_e32 v3, v1
	v_min_u32_e32 v6, 32, v3
	v_subrev_u32_e32 v3, 28, v6
	v_lshlrev_b64 v[3:4], v3, v[16:17]
	v_sub_u32_e32 v4, 29, v6
	v_and_b32_e32 v3, 7, v3
	v_cndmask_b32_e32 v4, v5, v4, vcc
	v_cndmask_b32_e32 v1, v1, v3, vcc
	v_lshlrev_b32_e32 v0, 24, v0
	v_bfrev_b32_e32 v3, 60
	v_lshlrev_b32_e32 v1, 20, v1
	v_and_b32_e32 v0, 0x80000000, v0
	v_lshl_add_u32 v3, v4, 23, v3
	v_or3_b32 v1, v0, v3, v1
.LBB6_14761:                            ;   in Loop: Header=BB6_14596 Depth=3
	s_or_b64 exec, exec, s[36:37]
.LBB6_14762:                            ;   in Loop: Header=BB6_14596 Depth=3
	s_or_b64 exec, exec, s[34:35]
.LBB6_14763:                            ;   in Loop: Header=BB6_14596 Depth=3
	s_or_b64 exec, exec, s[28:29]
	v_mul_f32_e32 v1, s9, v1
	v_and_b32_e32 v3, 0x7f800000, v1
	v_mov_b32_e32 v4, v51
	v_cmp_ne_u64_e32 vcc, s[76:77], v[3:4]
                                        ; implicit-def: $vgpr46
	s_and_saveexec_b64 s[28:29], vcc
	s_xor_b64 s[34:35], exec, s[28:29]
	s_cbranch_execz .LBB6_14781
; %bb.14764:                            ;   in Loop: Header=BB6_14596 Depth=3
	v_and_b32_e32 v3, 0x7fffffff, v1
	v_mov_b32_e32 v4, v51
	v_cmp_gt_u64_e32 vcc, s[78:79], v[3:4]
	v_and_b32_sdwa v0, v1, s96 dst_sel:DWORD dst_unused:UNUSED_PAD src0_sel:BYTE_3 src1_sel:DWORD
                                        ; implicit-def: $vgpr46
	s_and_saveexec_b64 s[28:29], vcc
	s_xor_b64 s[36:37], exec, s[28:29]
	s_cbranch_execz .LBB6_14778
; %bb.14765:                            ;   in Loop: Header=BB6_14596 Depth=3
	v_cmp_ne_u32_e32 vcc, 0, v1
	v_mov_b32_e32 v46, 0
	s_and_saveexec_b64 s[38:39], vcc
	s_cbranch_execz .LBB6_14777
; %bb.14766:                            ;   in Loop: Header=BB6_14596 Depth=3
	v_and_b32_e32 v4, 0x7fffff, v1
	v_bfe_u32 v1, v1, 23, 8
	v_cmp_gt_u32_e64 s[28:29], s97, v1
	v_sub_u32_e32 v3, 0x79, v1
	v_cmp_eq_u32_e32 vcc, 0, v1
	v_cndmask_b32_e64 v3, 0, v3, s[28:29]
	v_mov_b32_e32 v6, 0x78
	v_cndmask_b32_e32 v3, v3, v6, vcc
	v_add_u32_e32 v6, 20, v3
	v_or_b32_e32 v5, 0x800000, v4
	v_lshlrev_b64 v[6:7], v6, -1
	v_add_u32_e32 v16, 19, v3
	v_cndmask_b32_e32 v4, v5, v4, vcc
	v_lshlrev_b64 v[16:17], v16, 1
	v_mov_b32_e32 v5, v51
	v_bfi_b32 v7, v7, 0, 0
	v_bfi_b32 v6, v6, 0, v4
	v_cmp_eq_u64_e64 s[28:29], v[6:7], v[16:17]
	v_lshrrev_b64 v[16:17], v3, v[4:5]
	v_mov_b32_e32 v4, v16
	v_mov_b32_e32 v5, v17
	s_and_saveexec_b64 s[48:49], s[28:29]
; %bb.14767:                            ;   in Loop: Header=BB6_14596 Depth=3
	v_bfe_u32 v4, v16, 20, 1
	v_add_co_u32_e64 v4, s[28:29], v16, v4
	v_add_co_u32_e64 v4, s[28:29], -1, v4
; %bb.14768:                            ;   in Loop: Header=BB6_14596 Depth=3
	s_or_b64 exec, exec, s[48:49]
	v_add_u32_e32 v1, 0xffffff81, v1
	v_mov_b32_e32 v5, 0xffffff82
	v_cndmask_b32_e32 v1, v1, v5, vcc
	v_lshrrev_b32_e32 v5, 23, v16
	v_add3_u32 v5, v3, v1, v5
	v_add_u32_e32 v3, 6, v5
	v_and_b32_e32 v1, 0xfffff, v4
	v_add_u32_e32 v16, v1, v16
	v_mov_b32_e32 v17, v51
	v_cmp_ne_u32_e32 vcc, 0, v3
                                        ; implicit-def: $vgpr1
	s_and_saveexec_b64 s[28:29], vcc
	s_xor_b64 s[28:29], exec, s[28:29]
; %bb.14769:                            ;   in Loop: Header=BB6_14596 Depth=3
	v_cmp_lt_u64_e32 vcc, s[88:89], v[16:17]
	v_add_u32_e32 v1, 7, v5
	v_cndmask_b32_e32 v1, v3, v1, vcc
	v_cndmask_b32_e64 v3, 0, 1, vcc
	v_lshrrev_b64 v[16:17], v3, v[16:17]
; %bb.14770:                            ;   in Loop: Header=BB6_14596 Depth=3
	s_andn2_saveexec_b64 s[28:29], s[28:29]
; %bb.14771:                            ;   in Loop: Header=BB6_14596 Depth=3
	v_bfe_u32 v1, v16, 23, 1
; %bb.14772:                            ;   in Loop: Header=BB6_14596 Depth=3
	s_or_b64 exec, exec, s[28:29]
	v_lshrrev_b64 v[3:4], 20, v[16:17]
	v_cmp_gt_i32_e32 vcc, 16, v1
	v_cndmask_b32_e32 v17, 0, v4, vcc
	v_cndmask_b32_e32 v16, 7, v3, vcc
	v_cmp_ne_u64_e32 vcc, 0, v[16:17]
	v_cmp_ne_u32_e64 s[28:29], 0, v1
	s_or_b64 s[28:29], s[28:29], vcc
                                        ; implicit-def: $vgpr46
	s_and_saveexec_b64 vcc, s[28:29]
	s_xor_b64 s[28:29], exec, vcc
; %bb.14773:                            ;   in Loop: Header=BB6_14596 Depth=3
	v_min_i32_e32 v1, 15, v1
	v_lshl_or_b32 v0, v1, 3, v0
	v_and_or_b32 v46, v16, 7, v0
                                        ; implicit-def: $vgpr0
; %bb.14774:                            ;   in Loop: Header=BB6_14596 Depth=3
	s_andn2_saveexec_b64 s[28:29], s[28:29]
; %bb.14775:                            ;   in Loop: Header=BB6_14596 Depth=3
	v_mov_b32_e32 v46, v0
; %bb.14776:                            ;   in Loop: Header=BB6_14596 Depth=3
	s_or_b64 exec, exec, s[28:29]
.LBB6_14777:                            ;   in Loop: Header=BB6_14596 Depth=3
	s_or_b64 exec, exec, s[38:39]
                                        ; implicit-def: $vgpr0
.LBB6_14778:                            ;   in Loop: Header=BB6_14596 Depth=3
	s_andn2_saveexec_b64 s[28:29], s[36:37]
; %bb.14779:                            ;   in Loop: Header=BB6_14596 Depth=3
	v_or_b32_e32 v46, 0x7e, v0
; %bb.14780:                            ;   in Loop: Header=BB6_14596 Depth=3
	s_or_b64 exec, exec, s[28:29]
                                        ; implicit-def: $vgpr1
.LBB6_14781:                            ;   in Loop: Header=BB6_14596 Depth=3
	s_andn2_saveexec_b64 s[28:29], s[34:35]
; %bb.14782:                            ;   in Loop: Header=BB6_14596 Depth=3
	v_or_b32_sdwa v46, v1, s86 dst_sel:DWORD dst_unused:UNUSED_PAD src0_sel:BYTE_3 src1_sel:DWORD
; %bb.14783:                            ;   in Loop: Header=BB6_14596 Depth=3
	s_or_b64 exec, exec, s[28:29]
	flat_load_ubyte v0, v[12:13] offset:448 glc slc
	v_mov_b32_e32 v1, 0
	s_waitcnt vmcnt(0) lgkmcnt(0)
	v_cmp_ne_u16_e32 vcc, 0, v0
	s_and_saveexec_b64 s[28:29], vcc
	s_cbranch_execz .LBB6_14789
; %bb.14784:                            ;   in Loop: Header=BB6_14596 Depth=3
	v_cmp_ne_u16_e32 vcc, s96, v0
	v_bfrev_b32_e32 v1, 1
	s_and_saveexec_b64 s[34:35], vcc
	s_cbranch_execz .LBB6_14788
; %bb.14785:                            ;   in Loop: Header=BB6_14596 Depth=3
	v_and_b32_e32 v16, 0xffff, v0
	v_and_b32_e32 v3, 0x7f, v16
	v_cmp_ne_u32_e32 vcc, s86, v3
	v_mov_b32_e32 v1, 0x7f800001
	s_and_saveexec_b64 s[36:37], vcc
	s_cbranch_execz .LBB6_14787
; %bb.14786:                            ;   in Loop: Header=BB6_14596 Depth=3
	v_and_b32_e32 v1, 7, v16
	v_lshrrev_b32_e32 v5, 3, v3
	v_cmp_gt_u32_e32 vcc, 8, v3
	v_ffbh_u32_e32 v3, v1
	v_min_u32_e32 v6, 32, v3
	v_subrev_u32_e32 v3, 28, v6
	v_lshlrev_b64 v[3:4], v3, v[16:17]
	v_sub_u32_e32 v4, 29, v6
	v_and_b32_e32 v3, 7, v3
	v_cndmask_b32_e32 v4, v5, v4, vcc
	v_cndmask_b32_e32 v1, v1, v3, vcc
	v_lshlrev_b32_e32 v0, 24, v0
	v_bfrev_b32_e32 v3, 60
	v_lshlrev_b32_e32 v1, 20, v1
	v_and_b32_e32 v0, 0x80000000, v0
	v_lshl_add_u32 v3, v4, 23, v3
	v_or3_b32 v1, v0, v3, v1
.LBB6_14787:                            ;   in Loop: Header=BB6_14596 Depth=3
	s_or_b64 exec, exec, s[36:37]
.LBB6_14788:                            ;   in Loop: Header=BB6_14596 Depth=3
	s_or_b64 exec, exec, s[34:35]
.LBB6_14789:                            ;   in Loop: Header=BB6_14596 Depth=3
	s_or_b64 exec, exec, s[28:29]
	v_mul_f32_e32 v1, s9, v1
	v_and_b32_e32 v3, 0x7f800000, v1
	v_mov_b32_e32 v4, v51
	v_cmp_ne_u64_e32 vcc, s[76:77], v[3:4]
                                        ; implicit-def: $vgpr43
	s_and_saveexec_b64 s[28:29], vcc
	s_xor_b64 s[34:35], exec, s[28:29]
	s_cbranch_execz .LBB6_14807
; %bb.14790:                            ;   in Loop: Header=BB6_14596 Depth=3
	v_and_b32_e32 v3, 0x7fffffff, v1
	v_mov_b32_e32 v4, v51
	v_cmp_gt_u64_e32 vcc, s[78:79], v[3:4]
	v_and_b32_sdwa v0, v1, s96 dst_sel:DWORD dst_unused:UNUSED_PAD src0_sel:BYTE_3 src1_sel:DWORD
                                        ; implicit-def: $vgpr43
	s_and_saveexec_b64 s[28:29], vcc
	s_xor_b64 s[36:37], exec, s[28:29]
	s_cbranch_execz .LBB6_14804
; %bb.14791:                            ;   in Loop: Header=BB6_14596 Depth=3
	v_cmp_ne_u32_e32 vcc, 0, v1
	v_mov_b32_e32 v43, 0
	s_and_saveexec_b64 s[38:39], vcc
	s_cbranch_execz .LBB6_14803
; %bb.14792:                            ;   in Loop: Header=BB6_14596 Depth=3
	v_and_b32_e32 v4, 0x7fffff, v1
	v_bfe_u32 v1, v1, 23, 8
	v_cmp_gt_u32_e64 s[28:29], s97, v1
	v_sub_u32_e32 v3, 0x79, v1
	v_cmp_eq_u32_e32 vcc, 0, v1
	v_cndmask_b32_e64 v3, 0, v3, s[28:29]
	v_mov_b32_e32 v6, 0x78
	v_cndmask_b32_e32 v3, v3, v6, vcc
	v_add_u32_e32 v6, 20, v3
	v_or_b32_e32 v5, 0x800000, v4
	v_lshlrev_b64 v[6:7], v6, -1
	v_add_u32_e32 v16, 19, v3
	v_cndmask_b32_e32 v4, v5, v4, vcc
	v_lshlrev_b64 v[16:17], v16, 1
	v_mov_b32_e32 v5, v51
	v_bfi_b32 v7, v7, 0, 0
	v_bfi_b32 v6, v6, 0, v4
	v_cmp_eq_u64_e64 s[28:29], v[6:7], v[16:17]
	v_lshrrev_b64 v[16:17], v3, v[4:5]
	v_mov_b32_e32 v4, v16
	v_mov_b32_e32 v5, v17
	s_and_saveexec_b64 s[48:49], s[28:29]
; %bb.14793:                            ;   in Loop: Header=BB6_14596 Depth=3
	v_bfe_u32 v4, v16, 20, 1
	v_add_co_u32_e64 v4, s[28:29], v16, v4
	v_add_co_u32_e64 v4, s[28:29], -1, v4
; %bb.14794:                            ;   in Loop: Header=BB6_14596 Depth=3
	s_or_b64 exec, exec, s[48:49]
	v_add_u32_e32 v1, 0xffffff81, v1
	v_mov_b32_e32 v5, 0xffffff82
	v_cndmask_b32_e32 v1, v1, v5, vcc
	v_lshrrev_b32_e32 v5, 23, v16
	v_add3_u32 v5, v3, v1, v5
	v_add_u32_e32 v3, 6, v5
	v_and_b32_e32 v1, 0xfffff, v4
	v_add_u32_e32 v16, v1, v16
	v_mov_b32_e32 v17, v51
	v_cmp_ne_u32_e32 vcc, 0, v3
                                        ; implicit-def: $vgpr1
	s_and_saveexec_b64 s[28:29], vcc
	s_xor_b64 s[28:29], exec, s[28:29]
; %bb.14795:                            ;   in Loop: Header=BB6_14596 Depth=3
	v_cmp_lt_u64_e32 vcc, s[88:89], v[16:17]
	v_add_u32_e32 v1, 7, v5
	v_cndmask_b32_e32 v1, v3, v1, vcc
	v_cndmask_b32_e64 v3, 0, 1, vcc
	v_lshrrev_b64 v[16:17], v3, v[16:17]
; %bb.14796:                            ;   in Loop: Header=BB6_14596 Depth=3
	s_andn2_saveexec_b64 s[28:29], s[28:29]
; %bb.14797:                            ;   in Loop: Header=BB6_14596 Depth=3
	v_bfe_u32 v1, v16, 23, 1
; %bb.14798:                            ;   in Loop: Header=BB6_14596 Depth=3
	s_or_b64 exec, exec, s[28:29]
	v_lshrrev_b64 v[3:4], 20, v[16:17]
	v_cmp_gt_i32_e32 vcc, 16, v1
	v_cndmask_b32_e32 v17, 0, v4, vcc
	v_cndmask_b32_e32 v16, 7, v3, vcc
	v_cmp_ne_u64_e32 vcc, 0, v[16:17]
	v_cmp_ne_u32_e64 s[28:29], 0, v1
	s_or_b64 s[28:29], s[28:29], vcc
                                        ; implicit-def: $vgpr43
	s_and_saveexec_b64 vcc, s[28:29]
	s_xor_b64 s[28:29], exec, vcc
; %bb.14799:                            ;   in Loop: Header=BB6_14596 Depth=3
	v_min_i32_e32 v1, 15, v1
	v_lshl_or_b32 v0, v1, 3, v0
	v_and_or_b32 v43, v16, 7, v0
                                        ; implicit-def: $vgpr0
; %bb.14800:                            ;   in Loop: Header=BB6_14596 Depth=3
	s_andn2_saveexec_b64 s[28:29], s[28:29]
; %bb.14801:                            ;   in Loop: Header=BB6_14596 Depth=3
	v_mov_b32_e32 v43, v0
; %bb.14802:                            ;   in Loop: Header=BB6_14596 Depth=3
	s_or_b64 exec, exec, s[28:29]
.LBB6_14803:                            ;   in Loop: Header=BB6_14596 Depth=3
	s_or_b64 exec, exec, s[38:39]
                                        ; implicit-def: $vgpr0
.LBB6_14804:                            ;   in Loop: Header=BB6_14596 Depth=3
	s_andn2_saveexec_b64 s[28:29], s[36:37]
; %bb.14805:                            ;   in Loop: Header=BB6_14596 Depth=3
	v_or_b32_e32 v43, 0x7e, v0
; %bb.14806:                            ;   in Loop: Header=BB6_14596 Depth=3
	s_or_b64 exec, exec, s[28:29]
                                        ; implicit-def: $vgpr1
.LBB6_14807:                            ;   in Loop: Header=BB6_14596 Depth=3
	s_andn2_saveexec_b64 s[28:29], s[34:35]
; %bb.14808:                            ;   in Loop: Header=BB6_14596 Depth=3
	v_or_b32_sdwa v43, v1, s86 dst_sel:DWORD dst_unused:UNUSED_PAD src0_sel:BYTE_3 src1_sel:DWORD
; %bb.14809:                            ;   in Loop: Header=BB6_14596 Depth=3
	s_or_b64 exec, exec, s[28:29]
	flat_load_ubyte v0, v[12:13] offset:512 glc slc
	v_mov_b32_e32 v1, 0
	s_waitcnt vmcnt(0) lgkmcnt(0)
	v_cmp_ne_u16_e32 vcc, 0, v0
	s_and_saveexec_b64 s[28:29], vcc
	s_cbranch_execz .LBB6_14815
; %bb.14810:                            ;   in Loop: Header=BB6_14596 Depth=3
	v_cmp_ne_u16_e32 vcc, s96, v0
	v_bfrev_b32_e32 v1, 1
	s_and_saveexec_b64 s[34:35], vcc
	s_cbranch_execz .LBB6_14814
; %bb.14811:                            ;   in Loop: Header=BB6_14596 Depth=3
	v_and_b32_e32 v16, 0xffff, v0
	v_and_b32_e32 v3, 0x7f, v16
	v_cmp_ne_u32_e32 vcc, s86, v3
	v_mov_b32_e32 v1, 0x7f800001
	s_and_saveexec_b64 s[36:37], vcc
	s_cbranch_execz .LBB6_14813
; %bb.14812:                            ;   in Loop: Header=BB6_14596 Depth=3
	v_and_b32_e32 v1, 7, v16
	v_lshrrev_b32_e32 v5, 3, v3
	v_cmp_gt_u32_e32 vcc, 8, v3
	v_ffbh_u32_e32 v3, v1
	v_min_u32_e32 v6, 32, v3
	v_subrev_u32_e32 v3, 28, v6
	v_lshlrev_b64 v[3:4], v3, v[16:17]
	v_sub_u32_e32 v4, 29, v6
	v_and_b32_e32 v3, 7, v3
	v_cndmask_b32_e32 v4, v5, v4, vcc
	v_cndmask_b32_e32 v1, v1, v3, vcc
	v_lshlrev_b32_e32 v0, 24, v0
	v_bfrev_b32_e32 v3, 60
	v_lshlrev_b32_e32 v1, 20, v1
	v_and_b32_e32 v0, 0x80000000, v0
	v_lshl_add_u32 v3, v4, 23, v3
	v_or3_b32 v1, v0, v3, v1
.LBB6_14813:                            ;   in Loop: Header=BB6_14596 Depth=3
	s_or_b64 exec, exec, s[36:37]
.LBB6_14814:                            ;   in Loop: Header=BB6_14596 Depth=3
	s_or_b64 exec, exec, s[34:35]
.LBB6_14815:                            ;   in Loop: Header=BB6_14596 Depth=3
	s_or_b64 exec, exec, s[28:29]
	v_mul_f32_e32 v1, s9, v1
	v_and_b32_e32 v3, 0x7f800000, v1
	v_mov_b32_e32 v4, v51
	v_cmp_ne_u64_e32 vcc, s[76:77], v[3:4]
                                        ; implicit-def: $vgpr42
	s_and_saveexec_b64 s[28:29], vcc
	s_xor_b64 s[34:35], exec, s[28:29]
	s_cbranch_execz .LBB6_14833
; %bb.14816:                            ;   in Loop: Header=BB6_14596 Depth=3
	v_and_b32_e32 v3, 0x7fffffff, v1
	v_mov_b32_e32 v4, v51
	v_cmp_gt_u64_e32 vcc, s[78:79], v[3:4]
	v_and_b32_sdwa v0, v1, s96 dst_sel:DWORD dst_unused:UNUSED_PAD src0_sel:BYTE_3 src1_sel:DWORD
                                        ; implicit-def: $vgpr42
	s_and_saveexec_b64 s[28:29], vcc
	s_xor_b64 s[36:37], exec, s[28:29]
	s_cbranch_execz .LBB6_14830
; %bb.14817:                            ;   in Loop: Header=BB6_14596 Depth=3
	v_cmp_ne_u32_e32 vcc, 0, v1
	v_mov_b32_e32 v42, 0
	s_and_saveexec_b64 s[38:39], vcc
	s_cbranch_execz .LBB6_14829
; %bb.14818:                            ;   in Loop: Header=BB6_14596 Depth=3
	v_and_b32_e32 v4, 0x7fffff, v1
	v_bfe_u32 v1, v1, 23, 8
	v_cmp_gt_u32_e64 s[28:29], s97, v1
	v_sub_u32_e32 v3, 0x79, v1
	v_cmp_eq_u32_e32 vcc, 0, v1
	v_cndmask_b32_e64 v3, 0, v3, s[28:29]
	v_mov_b32_e32 v6, 0x78
	v_cndmask_b32_e32 v3, v3, v6, vcc
	v_add_u32_e32 v6, 20, v3
	v_or_b32_e32 v5, 0x800000, v4
	v_lshlrev_b64 v[6:7], v6, -1
	v_add_u32_e32 v16, 19, v3
	v_cndmask_b32_e32 v4, v5, v4, vcc
	v_lshlrev_b64 v[16:17], v16, 1
	v_mov_b32_e32 v5, v51
	v_bfi_b32 v7, v7, 0, 0
	v_bfi_b32 v6, v6, 0, v4
	v_cmp_eq_u64_e64 s[28:29], v[6:7], v[16:17]
	v_lshrrev_b64 v[16:17], v3, v[4:5]
	v_mov_b32_e32 v4, v16
	v_mov_b32_e32 v5, v17
	s_and_saveexec_b64 s[48:49], s[28:29]
; %bb.14819:                            ;   in Loop: Header=BB6_14596 Depth=3
	v_bfe_u32 v4, v16, 20, 1
	v_add_co_u32_e64 v4, s[28:29], v16, v4
	v_add_co_u32_e64 v4, s[28:29], -1, v4
; %bb.14820:                            ;   in Loop: Header=BB6_14596 Depth=3
	s_or_b64 exec, exec, s[48:49]
	v_add_u32_e32 v1, 0xffffff81, v1
	v_mov_b32_e32 v5, 0xffffff82
	v_cndmask_b32_e32 v1, v1, v5, vcc
	v_lshrrev_b32_e32 v5, 23, v16
	v_add3_u32 v5, v3, v1, v5
	v_add_u32_e32 v3, 6, v5
	v_and_b32_e32 v1, 0xfffff, v4
	v_add_u32_e32 v16, v1, v16
	v_mov_b32_e32 v17, v51
	v_cmp_ne_u32_e32 vcc, 0, v3
                                        ; implicit-def: $vgpr1
	s_and_saveexec_b64 s[28:29], vcc
	s_xor_b64 s[28:29], exec, s[28:29]
; %bb.14821:                            ;   in Loop: Header=BB6_14596 Depth=3
	v_cmp_lt_u64_e32 vcc, s[88:89], v[16:17]
	v_add_u32_e32 v1, 7, v5
	v_cndmask_b32_e32 v1, v3, v1, vcc
	v_cndmask_b32_e64 v3, 0, 1, vcc
	v_lshrrev_b64 v[16:17], v3, v[16:17]
; %bb.14822:                            ;   in Loop: Header=BB6_14596 Depth=3
	s_andn2_saveexec_b64 s[28:29], s[28:29]
; %bb.14823:                            ;   in Loop: Header=BB6_14596 Depth=3
	v_bfe_u32 v1, v16, 23, 1
; %bb.14824:                            ;   in Loop: Header=BB6_14596 Depth=3
	s_or_b64 exec, exec, s[28:29]
	v_lshrrev_b64 v[3:4], 20, v[16:17]
	v_cmp_gt_i32_e32 vcc, 16, v1
	v_cndmask_b32_e32 v17, 0, v4, vcc
	v_cndmask_b32_e32 v16, 7, v3, vcc
	v_cmp_ne_u64_e32 vcc, 0, v[16:17]
	v_cmp_ne_u32_e64 s[28:29], 0, v1
	s_or_b64 s[28:29], s[28:29], vcc
                                        ; implicit-def: $vgpr42
	s_and_saveexec_b64 vcc, s[28:29]
	s_xor_b64 s[28:29], exec, vcc
; %bb.14825:                            ;   in Loop: Header=BB6_14596 Depth=3
	v_min_i32_e32 v1, 15, v1
	v_lshl_or_b32 v0, v1, 3, v0
	v_and_or_b32 v42, v16, 7, v0
                                        ; implicit-def: $vgpr0
; %bb.14826:                            ;   in Loop: Header=BB6_14596 Depth=3
	s_andn2_saveexec_b64 s[28:29], s[28:29]
; %bb.14827:                            ;   in Loop: Header=BB6_14596 Depth=3
	v_mov_b32_e32 v42, v0
; %bb.14828:                            ;   in Loop: Header=BB6_14596 Depth=3
	s_or_b64 exec, exec, s[28:29]
.LBB6_14829:                            ;   in Loop: Header=BB6_14596 Depth=3
	s_or_b64 exec, exec, s[38:39]
                                        ; implicit-def: $vgpr0
.LBB6_14830:                            ;   in Loop: Header=BB6_14596 Depth=3
	s_andn2_saveexec_b64 s[28:29], s[36:37]
; %bb.14831:                            ;   in Loop: Header=BB6_14596 Depth=3
	v_or_b32_e32 v42, 0x7e, v0
; %bb.14832:                            ;   in Loop: Header=BB6_14596 Depth=3
	s_or_b64 exec, exec, s[28:29]
                                        ; implicit-def: $vgpr1
.LBB6_14833:                            ;   in Loop: Header=BB6_14596 Depth=3
	s_andn2_saveexec_b64 s[28:29], s[34:35]
; %bb.14834:                            ;   in Loop: Header=BB6_14596 Depth=3
	v_or_b32_sdwa v42, v1, s86 dst_sel:DWORD dst_unused:UNUSED_PAD src0_sel:BYTE_3 src1_sel:DWORD
; %bb.14835:                            ;   in Loop: Header=BB6_14596 Depth=3
	s_or_b64 exec, exec, s[28:29]
	flat_load_ubyte v0, v[12:13] offset:576 glc slc
	v_mov_b32_e32 v1, 0
	s_waitcnt vmcnt(0) lgkmcnt(0)
	v_cmp_ne_u16_e32 vcc, 0, v0
	s_and_saveexec_b64 s[28:29], vcc
	s_cbranch_execz .LBB6_14841
; %bb.14836:                            ;   in Loop: Header=BB6_14596 Depth=3
	v_cmp_ne_u16_e32 vcc, s96, v0
	v_bfrev_b32_e32 v1, 1
	s_and_saveexec_b64 s[34:35], vcc
	s_cbranch_execz .LBB6_14840
; %bb.14837:                            ;   in Loop: Header=BB6_14596 Depth=3
	v_and_b32_e32 v16, 0xffff, v0
	v_and_b32_e32 v3, 0x7f, v16
	v_cmp_ne_u32_e32 vcc, s86, v3
	v_mov_b32_e32 v1, 0x7f800001
	s_and_saveexec_b64 s[36:37], vcc
	s_cbranch_execz .LBB6_14839
; %bb.14838:                            ;   in Loop: Header=BB6_14596 Depth=3
	v_and_b32_e32 v1, 7, v16
	v_lshrrev_b32_e32 v5, 3, v3
	v_cmp_gt_u32_e32 vcc, 8, v3
	v_ffbh_u32_e32 v3, v1
	v_min_u32_e32 v6, 32, v3
	v_subrev_u32_e32 v3, 28, v6
	v_lshlrev_b64 v[3:4], v3, v[16:17]
	v_sub_u32_e32 v4, 29, v6
	v_and_b32_e32 v3, 7, v3
	v_cndmask_b32_e32 v4, v5, v4, vcc
	v_cndmask_b32_e32 v1, v1, v3, vcc
	v_lshlrev_b32_e32 v0, 24, v0
	v_bfrev_b32_e32 v3, 60
	v_lshlrev_b32_e32 v1, 20, v1
	v_and_b32_e32 v0, 0x80000000, v0
	v_lshl_add_u32 v3, v4, 23, v3
	v_or3_b32 v1, v0, v3, v1
.LBB6_14839:                            ;   in Loop: Header=BB6_14596 Depth=3
	s_or_b64 exec, exec, s[36:37]
.LBB6_14840:                            ;   in Loop: Header=BB6_14596 Depth=3
	s_or_b64 exec, exec, s[34:35]
.LBB6_14841:                            ;   in Loop: Header=BB6_14596 Depth=3
	s_or_b64 exec, exec, s[28:29]
	v_mul_f32_e32 v1, s9, v1
	v_and_b32_e32 v3, 0x7f800000, v1
	v_mov_b32_e32 v4, v51
	v_cmp_ne_u64_e32 vcc, s[76:77], v[3:4]
                                        ; implicit-def: $vgpr41
	s_and_saveexec_b64 s[28:29], vcc
	s_xor_b64 s[34:35], exec, s[28:29]
	s_cbranch_execz .LBB6_14859
; %bb.14842:                            ;   in Loop: Header=BB6_14596 Depth=3
	v_and_b32_e32 v3, 0x7fffffff, v1
	v_mov_b32_e32 v4, v51
	v_cmp_gt_u64_e32 vcc, s[78:79], v[3:4]
	v_and_b32_sdwa v0, v1, s96 dst_sel:DWORD dst_unused:UNUSED_PAD src0_sel:BYTE_3 src1_sel:DWORD
                                        ; implicit-def: $vgpr41
	s_and_saveexec_b64 s[28:29], vcc
	s_xor_b64 s[36:37], exec, s[28:29]
	s_cbranch_execz .LBB6_14856
; %bb.14843:                            ;   in Loop: Header=BB6_14596 Depth=3
	v_cmp_ne_u32_e32 vcc, 0, v1
	v_mov_b32_e32 v41, 0
	s_and_saveexec_b64 s[38:39], vcc
	s_cbranch_execz .LBB6_14855
; %bb.14844:                            ;   in Loop: Header=BB6_14596 Depth=3
	v_and_b32_e32 v4, 0x7fffff, v1
	v_bfe_u32 v1, v1, 23, 8
	v_cmp_gt_u32_e64 s[28:29], s97, v1
	v_sub_u32_e32 v3, 0x79, v1
	v_cmp_eq_u32_e32 vcc, 0, v1
	v_cndmask_b32_e64 v3, 0, v3, s[28:29]
	v_mov_b32_e32 v6, 0x78
	v_cndmask_b32_e32 v3, v3, v6, vcc
	v_add_u32_e32 v6, 20, v3
	v_or_b32_e32 v5, 0x800000, v4
	v_lshlrev_b64 v[6:7], v6, -1
	v_add_u32_e32 v16, 19, v3
	v_cndmask_b32_e32 v4, v5, v4, vcc
	v_lshlrev_b64 v[16:17], v16, 1
	v_mov_b32_e32 v5, v51
	v_bfi_b32 v7, v7, 0, 0
	v_bfi_b32 v6, v6, 0, v4
	v_cmp_eq_u64_e64 s[28:29], v[6:7], v[16:17]
	v_lshrrev_b64 v[16:17], v3, v[4:5]
	v_mov_b32_e32 v4, v16
	v_mov_b32_e32 v5, v17
	s_and_saveexec_b64 s[48:49], s[28:29]
; %bb.14845:                            ;   in Loop: Header=BB6_14596 Depth=3
	v_bfe_u32 v4, v16, 20, 1
	v_add_co_u32_e64 v4, s[28:29], v16, v4
	v_add_co_u32_e64 v4, s[28:29], -1, v4
; %bb.14846:                            ;   in Loop: Header=BB6_14596 Depth=3
	s_or_b64 exec, exec, s[48:49]
	v_add_u32_e32 v1, 0xffffff81, v1
	v_mov_b32_e32 v5, 0xffffff82
	v_cndmask_b32_e32 v1, v1, v5, vcc
	v_lshrrev_b32_e32 v5, 23, v16
	v_add3_u32 v5, v3, v1, v5
	v_add_u32_e32 v3, 6, v5
	v_and_b32_e32 v1, 0xfffff, v4
	v_add_u32_e32 v16, v1, v16
	v_mov_b32_e32 v17, v51
	v_cmp_ne_u32_e32 vcc, 0, v3
                                        ; implicit-def: $vgpr1
	s_and_saveexec_b64 s[28:29], vcc
	s_xor_b64 s[28:29], exec, s[28:29]
; %bb.14847:                            ;   in Loop: Header=BB6_14596 Depth=3
	v_cmp_lt_u64_e32 vcc, s[88:89], v[16:17]
	v_add_u32_e32 v1, 7, v5
	v_cndmask_b32_e32 v1, v3, v1, vcc
	v_cndmask_b32_e64 v3, 0, 1, vcc
	v_lshrrev_b64 v[16:17], v3, v[16:17]
; %bb.14848:                            ;   in Loop: Header=BB6_14596 Depth=3
	s_andn2_saveexec_b64 s[28:29], s[28:29]
; %bb.14849:                            ;   in Loop: Header=BB6_14596 Depth=3
	v_bfe_u32 v1, v16, 23, 1
; %bb.14850:                            ;   in Loop: Header=BB6_14596 Depth=3
	s_or_b64 exec, exec, s[28:29]
	v_lshrrev_b64 v[3:4], 20, v[16:17]
	v_cmp_gt_i32_e32 vcc, 16, v1
	v_cndmask_b32_e32 v17, 0, v4, vcc
	v_cndmask_b32_e32 v16, 7, v3, vcc
	v_cmp_ne_u64_e32 vcc, 0, v[16:17]
	v_cmp_ne_u32_e64 s[28:29], 0, v1
	s_or_b64 s[28:29], s[28:29], vcc
                                        ; implicit-def: $vgpr41
	s_and_saveexec_b64 vcc, s[28:29]
	s_xor_b64 s[28:29], exec, vcc
; %bb.14851:                            ;   in Loop: Header=BB6_14596 Depth=3
	v_min_i32_e32 v1, 15, v1
	v_lshl_or_b32 v0, v1, 3, v0
	v_and_or_b32 v41, v16, 7, v0
                                        ; implicit-def: $vgpr0
; %bb.14852:                            ;   in Loop: Header=BB6_14596 Depth=3
	s_andn2_saveexec_b64 s[28:29], s[28:29]
; %bb.14853:                            ;   in Loop: Header=BB6_14596 Depth=3
	v_mov_b32_e32 v41, v0
; %bb.14854:                            ;   in Loop: Header=BB6_14596 Depth=3
	s_or_b64 exec, exec, s[28:29]
.LBB6_14855:                            ;   in Loop: Header=BB6_14596 Depth=3
	s_or_b64 exec, exec, s[38:39]
                                        ; implicit-def: $vgpr0
.LBB6_14856:                            ;   in Loop: Header=BB6_14596 Depth=3
	s_andn2_saveexec_b64 s[28:29], s[36:37]
; %bb.14857:                            ;   in Loop: Header=BB6_14596 Depth=3
	v_or_b32_e32 v41, 0x7e, v0
; %bb.14858:                            ;   in Loop: Header=BB6_14596 Depth=3
	s_or_b64 exec, exec, s[28:29]
                                        ; implicit-def: $vgpr1
.LBB6_14859:                            ;   in Loop: Header=BB6_14596 Depth=3
	s_andn2_saveexec_b64 s[28:29], s[34:35]
; %bb.14860:                            ;   in Loop: Header=BB6_14596 Depth=3
	v_or_b32_sdwa v41, v1, s86 dst_sel:DWORD dst_unused:UNUSED_PAD src0_sel:BYTE_3 src1_sel:DWORD
; %bb.14861:                            ;   in Loop: Header=BB6_14596 Depth=3
	s_or_b64 exec, exec, s[28:29]
	flat_load_ubyte v0, v[12:13] offset:640 glc slc
	v_mov_b32_e32 v1, 0
	s_waitcnt vmcnt(0) lgkmcnt(0)
	v_cmp_ne_u16_e32 vcc, 0, v0
	s_and_saveexec_b64 s[28:29], vcc
	s_cbranch_execz .LBB6_14867
; %bb.14862:                            ;   in Loop: Header=BB6_14596 Depth=3
	v_cmp_ne_u16_e32 vcc, s96, v0
	v_bfrev_b32_e32 v1, 1
	s_and_saveexec_b64 s[34:35], vcc
	s_cbranch_execz .LBB6_14866
; %bb.14863:                            ;   in Loop: Header=BB6_14596 Depth=3
	v_and_b32_e32 v16, 0xffff, v0
	v_and_b32_e32 v3, 0x7f, v16
	v_cmp_ne_u32_e32 vcc, s86, v3
	v_mov_b32_e32 v1, 0x7f800001
	s_and_saveexec_b64 s[36:37], vcc
	s_cbranch_execz .LBB6_14865
; %bb.14864:                            ;   in Loop: Header=BB6_14596 Depth=3
	v_and_b32_e32 v1, 7, v16
	v_lshrrev_b32_e32 v5, 3, v3
	v_cmp_gt_u32_e32 vcc, 8, v3
	v_ffbh_u32_e32 v3, v1
	v_min_u32_e32 v6, 32, v3
	v_subrev_u32_e32 v3, 28, v6
	v_lshlrev_b64 v[3:4], v3, v[16:17]
	v_sub_u32_e32 v4, 29, v6
	v_and_b32_e32 v3, 7, v3
	v_cndmask_b32_e32 v4, v5, v4, vcc
	v_cndmask_b32_e32 v1, v1, v3, vcc
	v_lshlrev_b32_e32 v0, 24, v0
	v_bfrev_b32_e32 v3, 60
	v_lshlrev_b32_e32 v1, 20, v1
	v_and_b32_e32 v0, 0x80000000, v0
	v_lshl_add_u32 v3, v4, 23, v3
	v_or3_b32 v1, v0, v3, v1
.LBB6_14865:                            ;   in Loop: Header=BB6_14596 Depth=3
	s_or_b64 exec, exec, s[36:37]
.LBB6_14866:                            ;   in Loop: Header=BB6_14596 Depth=3
	s_or_b64 exec, exec, s[34:35]
.LBB6_14867:                            ;   in Loop: Header=BB6_14596 Depth=3
	s_or_b64 exec, exec, s[28:29]
	v_mul_f32_e32 v1, s9, v1
	v_and_b32_e32 v3, 0x7f800000, v1
	v_mov_b32_e32 v4, v51
	v_cmp_ne_u64_e32 vcc, s[76:77], v[3:4]
                                        ; implicit-def: $vgpr40
	s_and_saveexec_b64 s[28:29], vcc
	s_xor_b64 s[34:35], exec, s[28:29]
	s_cbranch_execz .LBB6_14885
; %bb.14868:                            ;   in Loop: Header=BB6_14596 Depth=3
	v_and_b32_e32 v3, 0x7fffffff, v1
	v_mov_b32_e32 v4, v51
	v_cmp_gt_u64_e32 vcc, s[78:79], v[3:4]
	v_and_b32_sdwa v0, v1, s96 dst_sel:DWORD dst_unused:UNUSED_PAD src0_sel:BYTE_3 src1_sel:DWORD
                                        ; implicit-def: $vgpr40
	s_and_saveexec_b64 s[28:29], vcc
	s_xor_b64 s[36:37], exec, s[28:29]
	s_cbranch_execz .LBB6_14882
; %bb.14869:                            ;   in Loop: Header=BB6_14596 Depth=3
	v_cmp_ne_u32_e32 vcc, 0, v1
	v_mov_b32_e32 v40, 0
	s_and_saveexec_b64 s[38:39], vcc
	s_cbranch_execz .LBB6_14881
; %bb.14870:                            ;   in Loop: Header=BB6_14596 Depth=3
	v_and_b32_e32 v4, 0x7fffff, v1
	v_bfe_u32 v1, v1, 23, 8
	v_cmp_gt_u32_e64 s[28:29], s97, v1
	v_sub_u32_e32 v3, 0x79, v1
	v_cmp_eq_u32_e32 vcc, 0, v1
	v_cndmask_b32_e64 v3, 0, v3, s[28:29]
	v_mov_b32_e32 v6, 0x78
	v_cndmask_b32_e32 v3, v3, v6, vcc
	v_add_u32_e32 v6, 20, v3
	v_or_b32_e32 v5, 0x800000, v4
	v_lshlrev_b64 v[6:7], v6, -1
	v_add_u32_e32 v16, 19, v3
	v_cndmask_b32_e32 v4, v5, v4, vcc
	v_lshlrev_b64 v[16:17], v16, 1
	v_mov_b32_e32 v5, v51
	v_bfi_b32 v7, v7, 0, 0
	v_bfi_b32 v6, v6, 0, v4
	v_cmp_eq_u64_e64 s[28:29], v[6:7], v[16:17]
	v_lshrrev_b64 v[16:17], v3, v[4:5]
	v_mov_b32_e32 v4, v16
	v_mov_b32_e32 v5, v17
	s_and_saveexec_b64 s[48:49], s[28:29]
; %bb.14871:                            ;   in Loop: Header=BB6_14596 Depth=3
	v_bfe_u32 v4, v16, 20, 1
	v_add_co_u32_e64 v4, s[28:29], v16, v4
	v_add_co_u32_e64 v4, s[28:29], -1, v4
; %bb.14872:                            ;   in Loop: Header=BB6_14596 Depth=3
	s_or_b64 exec, exec, s[48:49]
	v_add_u32_e32 v1, 0xffffff81, v1
	v_mov_b32_e32 v5, 0xffffff82
	v_cndmask_b32_e32 v1, v1, v5, vcc
	v_lshrrev_b32_e32 v5, 23, v16
	v_add3_u32 v5, v3, v1, v5
	v_add_u32_e32 v3, 6, v5
	v_and_b32_e32 v1, 0xfffff, v4
	v_add_u32_e32 v16, v1, v16
	v_mov_b32_e32 v17, v51
	v_cmp_ne_u32_e32 vcc, 0, v3
                                        ; implicit-def: $vgpr1
	s_and_saveexec_b64 s[28:29], vcc
	s_xor_b64 s[28:29], exec, s[28:29]
; %bb.14873:                            ;   in Loop: Header=BB6_14596 Depth=3
	v_cmp_lt_u64_e32 vcc, s[88:89], v[16:17]
	v_add_u32_e32 v1, 7, v5
	v_cndmask_b32_e32 v1, v3, v1, vcc
	v_cndmask_b32_e64 v3, 0, 1, vcc
	v_lshrrev_b64 v[16:17], v3, v[16:17]
; %bb.14874:                            ;   in Loop: Header=BB6_14596 Depth=3
	s_andn2_saveexec_b64 s[28:29], s[28:29]
; %bb.14875:                            ;   in Loop: Header=BB6_14596 Depth=3
	v_bfe_u32 v1, v16, 23, 1
; %bb.14876:                            ;   in Loop: Header=BB6_14596 Depth=3
	s_or_b64 exec, exec, s[28:29]
	v_lshrrev_b64 v[3:4], 20, v[16:17]
	v_cmp_gt_i32_e32 vcc, 16, v1
	v_cndmask_b32_e32 v17, 0, v4, vcc
	v_cndmask_b32_e32 v16, 7, v3, vcc
	v_cmp_ne_u64_e32 vcc, 0, v[16:17]
	v_cmp_ne_u32_e64 s[28:29], 0, v1
	s_or_b64 s[28:29], s[28:29], vcc
                                        ; implicit-def: $vgpr40
	s_and_saveexec_b64 vcc, s[28:29]
	s_xor_b64 s[28:29], exec, vcc
; %bb.14877:                            ;   in Loop: Header=BB6_14596 Depth=3
	v_min_i32_e32 v1, 15, v1
	v_lshl_or_b32 v0, v1, 3, v0
	v_and_or_b32 v40, v16, 7, v0
                                        ; implicit-def: $vgpr0
; %bb.14878:                            ;   in Loop: Header=BB6_14596 Depth=3
	s_andn2_saveexec_b64 s[28:29], s[28:29]
; %bb.14879:                            ;   in Loop: Header=BB6_14596 Depth=3
	v_mov_b32_e32 v40, v0
; %bb.14880:                            ;   in Loop: Header=BB6_14596 Depth=3
	s_or_b64 exec, exec, s[28:29]
.LBB6_14881:                            ;   in Loop: Header=BB6_14596 Depth=3
	s_or_b64 exec, exec, s[38:39]
                                        ; implicit-def: $vgpr0
.LBB6_14882:                            ;   in Loop: Header=BB6_14596 Depth=3
	s_andn2_saveexec_b64 s[28:29], s[36:37]
; %bb.14883:                            ;   in Loop: Header=BB6_14596 Depth=3
	v_or_b32_e32 v40, 0x7e, v0
; %bb.14884:                            ;   in Loop: Header=BB6_14596 Depth=3
	s_or_b64 exec, exec, s[28:29]
                                        ; implicit-def: $vgpr1
.LBB6_14885:                            ;   in Loop: Header=BB6_14596 Depth=3
	s_andn2_saveexec_b64 s[28:29], s[34:35]
; %bb.14886:                            ;   in Loop: Header=BB6_14596 Depth=3
	v_or_b32_sdwa v40, v1, s86 dst_sel:DWORD dst_unused:UNUSED_PAD src0_sel:BYTE_3 src1_sel:DWORD
; %bb.14887:                            ;   in Loop: Header=BB6_14596 Depth=3
	s_or_b64 exec, exec, s[28:29]
	flat_load_ubyte v0, v[12:13] offset:704 glc slc
	v_mov_b32_e32 v1, 0
	s_waitcnt vmcnt(0) lgkmcnt(0)
	v_cmp_ne_u16_e32 vcc, 0, v0
	s_and_saveexec_b64 s[28:29], vcc
	s_cbranch_execz .LBB6_14893
; %bb.14888:                            ;   in Loop: Header=BB6_14596 Depth=3
	v_cmp_ne_u16_e32 vcc, s96, v0
	v_bfrev_b32_e32 v1, 1
	s_and_saveexec_b64 s[34:35], vcc
	s_cbranch_execz .LBB6_14892
; %bb.14889:                            ;   in Loop: Header=BB6_14596 Depth=3
	v_and_b32_e32 v16, 0xffff, v0
	v_and_b32_e32 v3, 0x7f, v16
	v_cmp_ne_u32_e32 vcc, s86, v3
	v_mov_b32_e32 v1, 0x7f800001
	s_and_saveexec_b64 s[36:37], vcc
	s_cbranch_execz .LBB6_14891
; %bb.14890:                            ;   in Loop: Header=BB6_14596 Depth=3
	v_and_b32_e32 v1, 7, v16
	v_lshrrev_b32_e32 v5, 3, v3
	v_cmp_gt_u32_e32 vcc, 8, v3
	v_ffbh_u32_e32 v3, v1
	v_min_u32_e32 v6, 32, v3
	v_subrev_u32_e32 v3, 28, v6
	v_lshlrev_b64 v[3:4], v3, v[16:17]
	v_sub_u32_e32 v4, 29, v6
	v_and_b32_e32 v3, 7, v3
	v_cndmask_b32_e32 v4, v5, v4, vcc
	v_cndmask_b32_e32 v1, v1, v3, vcc
	v_lshlrev_b32_e32 v0, 24, v0
	v_bfrev_b32_e32 v3, 60
	v_lshlrev_b32_e32 v1, 20, v1
	v_and_b32_e32 v0, 0x80000000, v0
	v_lshl_add_u32 v3, v4, 23, v3
	v_or3_b32 v1, v0, v3, v1
.LBB6_14891:                            ;   in Loop: Header=BB6_14596 Depth=3
	s_or_b64 exec, exec, s[36:37]
.LBB6_14892:                            ;   in Loop: Header=BB6_14596 Depth=3
	s_or_b64 exec, exec, s[34:35]
.LBB6_14893:                            ;   in Loop: Header=BB6_14596 Depth=3
	s_or_b64 exec, exec, s[28:29]
	v_mul_f32_e32 v1, s9, v1
	v_and_b32_e32 v3, 0x7f800000, v1
	v_mov_b32_e32 v4, v51
	v_cmp_ne_u64_e32 vcc, s[76:77], v[3:4]
                                        ; implicit-def: $vgpr55
	s_and_saveexec_b64 s[28:29], vcc
	s_xor_b64 s[34:35], exec, s[28:29]
	s_cbranch_execz .LBB6_14911
; %bb.14894:                            ;   in Loop: Header=BB6_14596 Depth=3
	v_and_b32_e32 v3, 0x7fffffff, v1
	v_mov_b32_e32 v4, v51
	v_cmp_gt_u64_e32 vcc, s[78:79], v[3:4]
	v_and_b32_sdwa v0, v1, s96 dst_sel:DWORD dst_unused:UNUSED_PAD src0_sel:BYTE_3 src1_sel:DWORD
                                        ; implicit-def: $vgpr55
	s_and_saveexec_b64 s[28:29], vcc
	s_xor_b64 s[36:37], exec, s[28:29]
	s_cbranch_execz .LBB6_14908
; %bb.14895:                            ;   in Loop: Header=BB6_14596 Depth=3
	v_cmp_ne_u32_e32 vcc, 0, v1
	v_mov_b32_e32 v55, 0
	s_and_saveexec_b64 s[38:39], vcc
	s_cbranch_execz .LBB6_14907
; %bb.14896:                            ;   in Loop: Header=BB6_14596 Depth=3
	v_and_b32_e32 v4, 0x7fffff, v1
	v_bfe_u32 v1, v1, 23, 8
	v_cmp_gt_u32_e64 s[28:29], s97, v1
	v_sub_u32_e32 v3, 0x79, v1
	v_cmp_eq_u32_e32 vcc, 0, v1
	v_cndmask_b32_e64 v3, 0, v3, s[28:29]
	v_mov_b32_e32 v6, 0x78
	v_cndmask_b32_e32 v3, v3, v6, vcc
	v_add_u32_e32 v6, 20, v3
	v_or_b32_e32 v5, 0x800000, v4
	v_lshlrev_b64 v[6:7], v6, -1
	v_add_u32_e32 v16, 19, v3
	v_cndmask_b32_e32 v4, v5, v4, vcc
	v_lshlrev_b64 v[16:17], v16, 1
	v_mov_b32_e32 v5, v51
	v_bfi_b32 v7, v7, 0, 0
	v_bfi_b32 v6, v6, 0, v4
	v_cmp_eq_u64_e64 s[28:29], v[6:7], v[16:17]
	v_lshrrev_b64 v[16:17], v3, v[4:5]
	v_mov_b32_e32 v4, v16
	v_mov_b32_e32 v5, v17
	s_and_saveexec_b64 s[48:49], s[28:29]
; %bb.14897:                            ;   in Loop: Header=BB6_14596 Depth=3
	v_bfe_u32 v4, v16, 20, 1
	v_add_co_u32_e64 v4, s[28:29], v16, v4
	v_add_co_u32_e64 v4, s[28:29], -1, v4
; %bb.14898:                            ;   in Loop: Header=BB6_14596 Depth=3
	s_or_b64 exec, exec, s[48:49]
	v_add_u32_e32 v1, 0xffffff81, v1
	v_mov_b32_e32 v5, 0xffffff82
	v_cndmask_b32_e32 v1, v1, v5, vcc
	v_lshrrev_b32_e32 v5, 23, v16
	v_add3_u32 v5, v3, v1, v5
	v_add_u32_e32 v3, 6, v5
	v_and_b32_e32 v1, 0xfffff, v4
	v_add_u32_e32 v16, v1, v16
	v_mov_b32_e32 v17, v51
	v_cmp_ne_u32_e32 vcc, 0, v3
                                        ; implicit-def: $vgpr1
	s_and_saveexec_b64 s[28:29], vcc
	s_xor_b64 s[28:29], exec, s[28:29]
; %bb.14899:                            ;   in Loop: Header=BB6_14596 Depth=3
	v_cmp_lt_u64_e32 vcc, s[88:89], v[16:17]
	v_add_u32_e32 v1, 7, v5
	v_cndmask_b32_e32 v1, v3, v1, vcc
	v_cndmask_b32_e64 v3, 0, 1, vcc
	v_lshrrev_b64 v[16:17], v3, v[16:17]
; %bb.14900:                            ;   in Loop: Header=BB6_14596 Depth=3
	s_andn2_saveexec_b64 s[28:29], s[28:29]
; %bb.14901:                            ;   in Loop: Header=BB6_14596 Depth=3
	v_bfe_u32 v1, v16, 23, 1
; %bb.14902:                            ;   in Loop: Header=BB6_14596 Depth=3
	s_or_b64 exec, exec, s[28:29]
	v_lshrrev_b64 v[3:4], 20, v[16:17]
	v_cmp_gt_i32_e32 vcc, 16, v1
	v_cndmask_b32_e32 v17, 0, v4, vcc
	v_cndmask_b32_e32 v16, 7, v3, vcc
	v_cmp_ne_u64_e32 vcc, 0, v[16:17]
	v_cmp_ne_u32_e64 s[28:29], 0, v1
	s_or_b64 s[28:29], s[28:29], vcc
                                        ; implicit-def: $vgpr55
	s_and_saveexec_b64 vcc, s[28:29]
	s_xor_b64 s[28:29], exec, vcc
; %bb.14903:                            ;   in Loop: Header=BB6_14596 Depth=3
	v_min_i32_e32 v1, 15, v1
	v_lshl_or_b32 v0, v1, 3, v0
	v_and_or_b32 v55, v16, 7, v0
                                        ; implicit-def: $vgpr0
; %bb.14904:                            ;   in Loop: Header=BB6_14596 Depth=3
	s_andn2_saveexec_b64 s[28:29], s[28:29]
; %bb.14905:                            ;   in Loop: Header=BB6_14596 Depth=3
	v_mov_b32_e32 v55, v0
; %bb.14906:                            ;   in Loop: Header=BB6_14596 Depth=3
	s_or_b64 exec, exec, s[28:29]
.LBB6_14907:                            ;   in Loop: Header=BB6_14596 Depth=3
	s_or_b64 exec, exec, s[38:39]
                                        ; implicit-def: $vgpr0
.LBB6_14908:                            ;   in Loop: Header=BB6_14596 Depth=3
	s_andn2_saveexec_b64 s[28:29], s[36:37]
; %bb.14909:                            ;   in Loop: Header=BB6_14596 Depth=3
	v_or_b32_e32 v55, 0x7e, v0
; %bb.14910:                            ;   in Loop: Header=BB6_14596 Depth=3
	s_or_b64 exec, exec, s[28:29]
                                        ; implicit-def: $vgpr1
.LBB6_14911:                            ;   in Loop: Header=BB6_14596 Depth=3
	s_andn2_saveexec_b64 s[28:29], s[34:35]
; %bb.14912:                            ;   in Loop: Header=BB6_14596 Depth=3
	v_or_b32_sdwa v55, v1, s86 dst_sel:DWORD dst_unused:UNUSED_PAD src0_sel:BYTE_3 src1_sel:DWORD
; %bb.14913:                            ;   in Loop: Header=BB6_14596 Depth=3
	s_or_b64 exec, exec, s[28:29]
	flat_load_ubyte v0, v[12:13] offset:768 glc slc
	v_mov_b32_e32 v1, 0
	s_waitcnt vmcnt(0) lgkmcnt(0)
	v_cmp_ne_u16_e32 vcc, 0, v0
	s_and_saveexec_b64 s[28:29], vcc
	s_cbranch_execz .LBB6_14919
; %bb.14914:                            ;   in Loop: Header=BB6_14596 Depth=3
	v_cmp_ne_u16_e32 vcc, s96, v0
	v_bfrev_b32_e32 v1, 1
	s_and_saveexec_b64 s[34:35], vcc
	s_cbranch_execz .LBB6_14918
; %bb.14915:                            ;   in Loop: Header=BB6_14596 Depth=3
	v_and_b32_e32 v16, 0xffff, v0
	v_and_b32_e32 v3, 0x7f, v16
	v_cmp_ne_u32_e32 vcc, s86, v3
	v_mov_b32_e32 v1, 0x7f800001
	s_and_saveexec_b64 s[36:37], vcc
	s_cbranch_execz .LBB6_14917
; %bb.14916:                            ;   in Loop: Header=BB6_14596 Depth=3
	v_and_b32_e32 v1, 7, v16
	v_lshrrev_b32_e32 v5, 3, v3
	v_cmp_gt_u32_e32 vcc, 8, v3
	v_ffbh_u32_e32 v3, v1
	v_min_u32_e32 v6, 32, v3
	v_subrev_u32_e32 v3, 28, v6
	v_lshlrev_b64 v[3:4], v3, v[16:17]
	v_sub_u32_e32 v4, 29, v6
	v_and_b32_e32 v3, 7, v3
	v_cndmask_b32_e32 v4, v5, v4, vcc
	v_cndmask_b32_e32 v1, v1, v3, vcc
	v_lshlrev_b32_e32 v0, 24, v0
	v_bfrev_b32_e32 v3, 60
	v_lshlrev_b32_e32 v1, 20, v1
	v_and_b32_e32 v0, 0x80000000, v0
	v_lshl_add_u32 v3, v4, 23, v3
	v_or3_b32 v1, v0, v3, v1
.LBB6_14917:                            ;   in Loop: Header=BB6_14596 Depth=3
	s_or_b64 exec, exec, s[36:37]
.LBB6_14918:                            ;   in Loop: Header=BB6_14596 Depth=3
	s_or_b64 exec, exec, s[34:35]
.LBB6_14919:                            ;   in Loop: Header=BB6_14596 Depth=3
	s_or_b64 exec, exec, s[28:29]
	v_mul_f32_e32 v1, s9, v1
	v_and_b32_e32 v3, 0x7f800000, v1
	v_mov_b32_e32 v4, v51
	v_cmp_ne_u64_e32 vcc, s[76:77], v[3:4]
                                        ; implicit-def: $vgpr54
	s_and_saveexec_b64 s[28:29], vcc
	s_xor_b64 s[34:35], exec, s[28:29]
	s_cbranch_execz .LBB6_14937
; %bb.14920:                            ;   in Loop: Header=BB6_14596 Depth=3
	v_and_b32_e32 v3, 0x7fffffff, v1
	v_mov_b32_e32 v4, v51
	v_cmp_gt_u64_e32 vcc, s[78:79], v[3:4]
	v_and_b32_sdwa v0, v1, s96 dst_sel:DWORD dst_unused:UNUSED_PAD src0_sel:BYTE_3 src1_sel:DWORD
                                        ; implicit-def: $vgpr54
	s_and_saveexec_b64 s[28:29], vcc
	s_xor_b64 s[36:37], exec, s[28:29]
	s_cbranch_execz .LBB6_14934
; %bb.14921:                            ;   in Loop: Header=BB6_14596 Depth=3
	v_cmp_ne_u32_e32 vcc, 0, v1
	v_mov_b32_e32 v54, 0
	s_and_saveexec_b64 s[38:39], vcc
	s_cbranch_execz .LBB6_14933
; %bb.14922:                            ;   in Loop: Header=BB6_14596 Depth=3
	v_and_b32_e32 v4, 0x7fffff, v1
	v_bfe_u32 v1, v1, 23, 8
	v_cmp_gt_u32_e64 s[28:29], s97, v1
	v_sub_u32_e32 v3, 0x79, v1
	v_cmp_eq_u32_e32 vcc, 0, v1
	v_cndmask_b32_e64 v3, 0, v3, s[28:29]
	v_mov_b32_e32 v6, 0x78
	v_cndmask_b32_e32 v3, v3, v6, vcc
	v_add_u32_e32 v6, 20, v3
	v_or_b32_e32 v5, 0x800000, v4
	v_lshlrev_b64 v[6:7], v6, -1
	v_add_u32_e32 v16, 19, v3
	v_cndmask_b32_e32 v4, v5, v4, vcc
	v_lshlrev_b64 v[16:17], v16, 1
	v_mov_b32_e32 v5, v51
	v_bfi_b32 v7, v7, 0, 0
	v_bfi_b32 v6, v6, 0, v4
	v_cmp_eq_u64_e64 s[28:29], v[6:7], v[16:17]
	v_lshrrev_b64 v[16:17], v3, v[4:5]
	v_mov_b32_e32 v4, v16
	v_mov_b32_e32 v5, v17
	s_and_saveexec_b64 s[48:49], s[28:29]
; %bb.14923:                            ;   in Loop: Header=BB6_14596 Depth=3
	v_bfe_u32 v4, v16, 20, 1
	v_add_co_u32_e64 v4, s[28:29], v16, v4
	v_add_co_u32_e64 v4, s[28:29], -1, v4
; %bb.14924:                            ;   in Loop: Header=BB6_14596 Depth=3
	s_or_b64 exec, exec, s[48:49]
	v_add_u32_e32 v1, 0xffffff81, v1
	v_mov_b32_e32 v5, 0xffffff82
	v_cndmask_b32_e32 v1, v1, v5, vcc
	v_lshrrev_b32_e32 v5, 23, v16
	v_add3_u32 v5, v3, v1, v5
	v_add_u32_e32 v3, 6, v5
	v_and_b32_e32 v1, 0xfffff, v4
	v_add_u32_e32 v16, v1, v16
	v_mov_b32_e32 v17, v51
	v_cmp_ne_u32_e32 vcc, 0, v3
                                        ; implicit-def: $vgpr1
	s_and_saveexec_b64 s[28:29], vcc
	s_xor_b64 s[28:29], exec, s[28:29]
; %bb.14925:                            ;   in Loop: Header=BB6_14596 Depth=3
	v_cmp_lt_u64_e32 vcc, s[88:89], v[16:17]
	v_add_u32_e32 v1, 7, v5
	v_cndmask_b32_e32 v1, v3, v1, vcc
	v_cndmask_b32_e64 v3, 0, 1, vcc
	v_lshrrev_b64 v[16:17], v3, v[16:17]
; %bb.14926:                            ;   in Loop: Header=BB6_14596 Depth=3
	s_andn2_saveexec_b64 s[28:29], s[28:29]
; %bb.14927:                            ;   in Loop: Header=BB6_14596 Depth=3
	v_bfe_u32 v1, v16, 23, 1
; %bb.14928:                            ;   in Loop: Header=BB6_14596 Depth=3
	s_or_b64 exec, exec, s[28:29]
	v_lshrrev_b64 v[3:4], 20, v[16:17]
	v_cmp_gt_i32_e32 vcc, 16, v1
	v_cndmask_b32_e32 v17, 0, v4, vcc
	v_cndmask_b32_e32 v16, 7, v3, vcc
	v_cmp_ne_u64_e32 vcc, 0, v[16:17]
	v_cmp_ne_u32_e64 s[28:29], 0, v1
	s_or_b64 s[28:29], s[28:29], vcc
                                        ; implicit-def: $vgpr54
	s_and_saveexec_b64 vcc, s[28:29]
	s_xor_b64 s[28:29], exec, vcc
; %bb.14929:                            ;   in Loop: Header=BB6_14596 Depth=3
	v_min_i32_e32 v1, 15, v1
	v_lshl_or_b32 v0, v1, 3, v0
	v_and_or_b32 v54, v16, 7, v0
                                        ; implicit-def: $vgpr0
; %bb.14930:                            ;   in Loop: Header=BB6_14596 Depth=3
	s_andn2_saveexec_b64 s[28:29], s[28:29]
; %bb.14931:                            ;   in Loop: Header=BB6_14596 Depth=3
	v_mov_b32_e32 v54, v0
; %bb.14932:                            ;   in Loop: Header=BB6_14596 Depth=3
	s_or_b64 exec, exec, s[28:29]
.LBB6_14933:                            ;   in Loop: Header=BB6_14596 Depth=3
	s_or_b64 exec, exec, s[38:39]
                                        ; implicit-def: $vgpr0
.LBB6_14934:                            ;   in Loop: Header=BB6_14596 Depth=3
	s_andn2_saveexec_b64 s[28:29], s[36:37]
; %bb.14935:                            ;   in Loop: Header=BB6_14596 Depth=3
	v_or_b32_e32 v54, 0x7e, v0
; %bb.14936:                            ;   in Loop: Header=BB6_14596 Depth=3
	s_or_b64 exec, exec, s[28:29]
                                        ; implicit-def: $vgpr1
.LBB6_14937:                            ;   in Loop: Header=BB6_14596 Depth=3
	s_andn2_saveexec_b64 s[28:29], s[34:35]
; %bb.14938:                            ;   in Loop: Header=BB6_14596 Depth=3
	v_or_b32_sdwa v54, v1, s86 dst_sel:DWORD dst_unused:UNUSED_PAD src0_sel:BYTE_3 src1_sel:DWORD
; %bb.14939:                            ;   in Loop: Header=BB6_14596 Depth=3
	s_or_b64 exec, exec, s[28:29]
	flat_load_ubyte v0, v[12:13] offset:832 glc slc
	v_mov_b32_e32 v1, 0
	s_waitcnt vmcnt(0) lgkmcnt(0)
	v_cmp_ne_u16_e32 vcc, 0, v0
	s_and_saveexec_b64 s[28:29], vcc
	s_cbranch_execz .LBB6_14945
; %bb.14940:                            ;   in Loop: Header=BB6_14596 Depth=3
	v_cmp_ne_u16_e32 vcc, s96, v0
	v_bfrev_b32_e32 v1, 1
	s_and_saveexec_b64 s[34:35], vcc
	s_cbranch_execz .LBB6_14944
; %bb.14941:                            ;   in Loop: Header=BB6_14596 Depth=3
	v_and_b32_e32 v16, 0xffff, v0
	v_and_b32_e32 v3, 0x7f, v16
	v_cmp_ne_u32_e32 vcc, s86, v3
	v_mov_b32_e32 v1, 0x7f800001
	s_and_saveexec_b64 s[36:37], vcc
	s_cbranch_execz .LBB6_14943
; %bb.14942:                            ;   in Loop: Header=BB6_14596 Depth=3
	v_and_b32_e32 v1, 7, v16
	v_lshrrev_b32_e32 v5, 3, v3
	v_cmp_gt_u32_e32 vcc, 8, v3
	v_ffbh_u32_e32 v3, v1
	v_min_u32_e32 v6, 32, v3
	v_subrev_u32_e32 v3, 28, v6
	v_lshlrev_b64 v[3:4], v3, v[16:17]
	v_sub_u32_e32 v4, 29, v6
	v_and_b32_e32 v3, 7, v3
	v_cndmask_b32_e32 v4, v5, v4, vcc
	v_cndmask_b32_e32 v1, v1, v3, vcc
	v_lshlrev_b32_e32 v0, 24, v0
	v_bfrev_b32_e32 v3, 60
	v_lshlrev_b32_e32 v1, 20, v1
	v_and_b32_e32 v0, 0x80000000, v0
	v_lshl_add_u32 v3, v4, 23, v3
	v_or3_b32 v1, v0, v3, v1
.LBB6_14943:                            ;   in Loop: Header=BB6_14596 Depth=3
	s_or_b64 exec, exec, s[36:37]
.LBB6_14944:                            ;   in Loop: Header=BB6_14596 Depth=3
	s_or_b64 exec, exec, s[34:35]
.LBB6_14945:                            ;   in Loop: Header=BB6_14596 Depth=3
	s_or_b64 exec, exec, s[28:29]
	v_mul_f32_e32 v1, s9, v1
	v_and_b32_e32 v3, 0x7f800000, v1
	v_mov_b32_e32 v4, v51
	v_cmp_ne_u64_e32 vcc, s[76:77], v[3:4]
                                        ; implicit-def: $vgpr50
	s_and_saveexec_b64 s[28:29], vcc
	s_xor_b64 s[34:35], exec, s[28:29]
	s_cbranch_execz .LBB6_14963
; %bb.14946:                            ;   in Loop: Header=BB6_14596 Depth=3
	v_and_b32_e32 v3, 0x7fffffff, v1
	v_mov_b32_e32 v4, v51
	v_cmp_gt_u64_e32 vcc, s[78:79], v[3:4]
	v_and_b32_sdwa v0, v1, s96 dst_sel:DWORD dst_unused:UNUSED_PAD src0_sel:BYTE_3 src1_sel:DWORD
                                        ; implicit-def: $vgpr50
	s_and_saveexec_b64 s[28:29], vcc
	s_xor_b64 s[36:37], exec, s[28:29]
	s_cbranch_execz .LBB6_14960
; %bb.14947:                            ;   in Loop: Header=BB6_14596 Depth=3
	v_cmp_ne_u32_e32 vcc, 0, v1
	v_mov_b32_e32 v50, 0
	s_and_saveexec_b64 s[38:39], vcc
	s_cbranch_execz .LBB6_14959
; %bb.14948:                            ;   in Loop: Header=BB6_14596 Depth=3
	v_and_b32_e32 v4, 0x7fffff, v1
	v_bfe_u32 v1, v1, 23, 8
	v_cmp_gt_u32_e64 s[28:29], s97, v1
	v_sub_u32_e32 v3, 0x79, v1
	v_cmp_eq_u32_e32 vcc, 0, v1
	v_cndmask_b32_e64 v3, 0, v3, s[28:29]
	v_mov_b32_e32 v6, 0x78
	v_cndmask_b32_e32 v3, v3, v6, vcc
	v_add_u32_e32 v6, 20, v3
	v_or_b32_e32 v5, 0x800000, v4
	v_lshlrev_b64 v[6:7], v6, -1
	v_add_u32_e32 v16, 19, v3
	v_cndmask_b32_e32 v4, v5, v4, vcc
	v_lshlrev_b64 v[16:17], v16, 1
	v_mov_b32_e32 v5, v51
	v_bfi_b32 v7, v7, 0, 0
	v_bfi_b32 v6, v6, 0, v4
	v_cmp_eq_u64_e64 s[28:29], v[6:7], v[16:17]
	v_lshrrev_b64 v[16:17], v3, v[4:5]
	v_mov_b32_e32 v4, v16
	v_mov_b32_e32 v5, v17
	s_and_saveexec_b64 s[48:49], s[28:29]
; %bb.14949:                            ;   in Loop: Header=BB6_14596 Depth=3
	v_bfe_u32 v4, v16, 20, 1
	v_add_co_u32_e64 v4, s[28:29], v16, v4
	v_add_co_u32_e64 v4, s[28:29], -1, v4
; %bb.14950:                            ;   in Loop: Header=BB6_14596 Depth=3
	s_or_b64 exec, exec, s[48:49]
	v_add_u32_e32 v1, 0xffffff81, v1
	v_mov_b32_e32 v5, 0xffffff82
	v_cndmask_b32_e32 v1, v1, v5, vcc
	v_lshrrev_b32_e32 v5, 23, v16
	v_add3_u32 v5, v3, v1, v5
	v_add_u32_e32 v3, 6, v5
	v_and_b32_e32 v1, 0xfffff, v4
	v_add_u32_e32 v16, v1, v16
	v_mov_b32_e32 v17, v51
	v_cmp_ne_u32_e32 vcc, 0, v3
                                        ; implicit-def: $vgpr1
	s_and_saveexec_b64 s[28:29], vcc
	s_xor_b64 s[28:29], exec, s[28:29]
; %bb.14951:                            ;   in Loop: Header=BB6_14596 Depth=3
	v_cmp_lt_u64_e32 vcc, s[88:89], v[16:17]
	v_add_u32_e32 v1, 7, v5
	v_cndmask_b32_e32 v1, v3, v1, vcc
	v_cndmask_b32_e64 v3, 0, 1, vcc
	v_lshrrev_b64 v[16:17], v3, v[16:17]
; %bb.14952:                            ;   in Loop: Header=BB6_14596 Depth=3
	s_andn2_saveexec_b64 s[28:29], s[28:29]
; %bb.14953:                            ;   in Loop: Header=BB6_14596 Depth=3
	v_bfe_u32 v1, v16, 23, 1
; %bb.14954:                            ;   in Loop: Header=BB6_14596 Depth=3
	s_or_b64 exec, exec, s[28:29]
	v_lshrrev_b64 v[3:4], 20, v[16:17]
	v_cmp_gt_i32_e32 vcc, 16, v1
	v_cndmask_b32_e32 v17, 0, v4, vcc
	v_cndmask_b32_e32 v16, 7, v3, vcc
	v_cmp_ne_u64_e32 vcc, 0, v[16:17]
	v_cmp_ne_u32_e64 s[28:29], 0, v1
	s_or_b64 s[28:29], s[28:29], vcc
                                        ; implicit-def: $vgpr50
	s_and_saveexec_b64 vcc, s[28:29]
	s_xor_b64 s[28:29], exec, vcc
; %bb.14955:                            ;   in Loop: Header=BB6_14596 Depth=3
	v_min_i32_e32 v1, 15, v1
	v_lshl_or_b32 v0, v1, 3, v0
	v_and_or_b32 v50, v16, 7, v0
                                        ; implicit-def: $vgpr0
; %bb.14956:                            ;   in Loop: Header=BB6_14596 Depth=3
	s_andn2_saveexec_b64 s[28:29], s[28:29]
; %bb.14957:                            ;   in Loop: Header=BB6_14596 Depth=3
	v_mov_b32_e32 v50, v0
; %bb.14958:                            ;   in Loop: Header=BB6_14596 Depth=3
	s_or_b64 exec, exec, s[28:29]
.LBB6_14959:                            ;   in Loop: Header=BB6_14596 Depth=3
	s_or_b64 exec, exec, s[38:39]
                                        ; implicit-def: $vgpr0
.LBB6_14960:                            ;   in Loop: Header=BB6_14596 Depth=3
	s_andn2_saveexec_b64 s[28:29], s[36:37]
; %bb.14961:                            ;   in Loop: Header=BB6_14596 Depth=3
	v_or_b32_e32 v50, 0x7e, v0
; %bb.14962:                            ;   in Loop: Header=BB6_14596 Depth=3
	s_or_b64 exec, exec, s[28:29]
                                        ; implicit-def: $vgpr1
.LBB6_14963:                            ;   in Loop: Header=BB6_14596 Depth=3
	s_andn2_saveexec_b64 s[28:29], s[34:35]
; %bb.14964:                            ;   in Loop: Header=BB6_14596 Depth=3
	v_or_b32_sdwa v50, v1, s86 dst_sel:DWORD dst_unused:UNUSED_PAD src0_sel:BYTE_3 src1_sel:DWORD
; %bb.14965:                            ;   in Loop: Header=BB6_14596 Depth=3
	s_or_b64 exec, exec, s[28:29]
	flat_load_ubyte v0, v[12:13] offset:896 glc slc
	v_mov_b32_e32 v1, 0
	s_waitcnt vmcnt(0) lgkmcnt(0)
	v_cmp_ne_u16_e32 vcc, 0, v0
	s_and_saveexec_b64 s[28:29], vcc
	s_cbranch_execz .LBB6_14971
; %bb.14966:                            ;   in Loop: Header=BB6_14596 Depth=3
	v_cmp_ne_u16_e32 vcc, s96, v0
	v_bfrev_b32_e32 v1, 1
	s_and_saveexec_b64 s[34:35], vcc
	s_cbranch_execz .LBB6_14970
; %bb.14967:                            ;   in Loop: Header=BB6_14596 Depth=3
	v_and_b32_e32 v16, 0xffff, v0
	v_and_b32_e32 v3, 0x7f, v16
	v_cmp_ne_u32_e32 vcc, s86, v3
	v_mov_b32_e32 v1, 0x7f800001
	s_and_saveexec_b64 s[36:37], vcc
	s_cbranch_execz .LBB6_14969
; %bb.14968:                            ;   in Loop: Header=BB6_14596 Depth=3
	v_and_b32_e32 v1, 7, v16
	v_lshrrev_b32_e32 v5, 3, v3
	v_cmp_gt_u32_e32 vcc, 8, v3
	v_ffbh_u32_e32 v3, v1
	v_min_u32_e32 v6, 32, v3
	v_subrev_u32_e32 v3, 28, v6
	v_lshlrev_b64 v[3:4], v3, v[16:17]
	v_sub_u32_e32 v4, 29, v6
	v_and_b32_e32 v3, 7, v3
	v_cndmask_b32_e32 v4, v5, v4, vcc
	v_cndmask_b32_e32 v1, v1, v3, vcc
	v_lshlrev_b32_e32 v0, 24, v0
	v_bfrev_b32_e32 v3, 60
	v_lshlrev_b32_e32 v1, 20, v1
	v_and_b32_e32 v0, 0x80000000, v0
	v_lshl_add_u32 v3, v4, 23, v3
	v_or3_b32 v1, v0, v3, v1
.LBB6_14969:                            ;   in Loop: Header=BB6_14596 Depth=3
	s_or_b64 exec, exec, s[36:37]
.LBB6_14970:                            ;   in Loop: Header=BB6_14596 Depth=3
	s_or_b64 exec, exec, s[34:35]
.LBB6_14971:                            ;   in Loop: Header=BB6_14596 Depth=3
	s_or_b64 exec, exec, s[28:29]
	v_mul_f32_e32 v1, s9, v1
	v_and_b32_e32 v3, 0x7f800000, v1
	v_mov_b32_e32 v4, v51
	v_cmp_ne_u64_e32 vcc, s[76:77], v[3:4]
                                        ; implicit-def: $vgpr49
	s_and_saveexec_b64 s[28:29], vcc
	s_xor_b64 s[34:35], exec, s[28:29]
	s_cbranch_execz .LBB6_14989
; %bb.14972:                            ;   in Loop: Header=BB6_14596 Depth=3
	v_and_b32_e32 v3, 0x7fffffff, v1
	v_mov_b32_e32 v4, v51
	v_cmp_gt_u64_e32 vcc, s[78:79], v[3:4]
	v_and_b32_sdwa v0, v1, s96 dst_sel:DWORD dst_unused:UNUSED_PAD src0_sel:BYTE_3 src1_sel:DWORD
                                        ; implicit-def: $vgpr49
	s_and_saveexec_b64 s[28:29], vcc
	s_xor_b64 s[36:37], exec, s[28:29]
	s_cbranch_execz .LBB6_14986
; %bb.14973:                            ;   in Loop: Header=BB6_14596 Depth=3
	v_cmp_ne_u32_e32 vcc, 0, v1
	v_mov_b32_e32 v49, 0
	s_and_saveexec_b64 s[38:39], vcc
	s_cbranch_execz .LBB6_14985
; %bb.14974:                            ;   in Loop: Header=BB6_14596 Depth=3
	v_and_b32_e32 v4, 0x7fffff, v1
	v_bfe_u32 v1, v1, 23, 8
	v_cmp_gt_u32_e64 s[28:29], s97, v1
	v_sub_u32_e32 v3, 0x79, v1
	v_cmp_eq_u32_e32 vcc, 0, v1
	v_cndmask_b32_e64 v3, 0, v3, s[28:29]
	v_mov_b32_e32 v6, 0x78
	v_cndmask_b32_e32 v3, v3, v6, vcc
	v_add_u32_e32 v6, 20, v3
	v_or_b32_e32 v5, 0x800000, v4
	v_lshlrev_b64 v[6:7], v6, -1
	v_add_u32_e32 v16, 19, v3
	v_cndmask_b32_e32 v4, v5, v4, vcc
	v_lshlrev_b64 v[16:17], v16, 1
	v_mov_b32_e32 v5, v51
	v_bfi_b32 v7, v7, 0, 0
	v_bfi_b32 v6, v6, 0, v4
	v_cmp_eq_u64_e64 s[28:29], v[6:7], v[16:17]
	v_lshrrev_b64 v[16:17], v3, v[4:5]
	v_mov_b32_e32 v4, v16
	v_mov_b32_e32 v5, v17
	s_and_saveexec_b64 s[48:49], s[28:29]
; %bb.14975:                            ;   in Loop: Header=BB6_14596 Depth=3
	v_bfe_u32 v4, v16, 20, 1
	v_add_co_u32_e64 v4, s[28:29], v16, v4
	v_add_co_u32_e64 v4, s[28:29], -1, v4
; %bb.14976:                            ;   in Loop: Header=BB6_14596 Depth=3
	s_or_b64 exec, exec, s[48:49]
	v_add_u32_e32 v1, 0xffffff81, v1
	v_mov_b32_e32 v5, 0xffffff82
	v_cndmask_b32_e32 v1, v1, v5, vcc
	v_lshrrev_b32_e32 v5, 23, v16
	v_add3_u32 v5, v3, v1, v5
	v_add_u32_e32 v3, 6, v5
	v_and_b32_e32 v1, 0xfffff, v4
	v_add_u32_e32 v16, v1, v16
	v_mov_b32_e32 v17, v51
	v_cmp_ne_u32_e32 vcc, 0, v3
                                        ; implicit-def: $vgpr1
	s_and_saveexec_b64 s[28:29], vcc
	s_xor_b64 s[28:29], exec, s[28:29]
; %bb.14977:                            ;   in Loop: Header=BB6_14596 Depth=3
	v_cmp_lt_u64_e32 vcc, s[88:89], v[16:17]
	v_add_u32_e32 v1, 7, v5
	v_cndmask_b32_e32 v1, v3, v1, vcc
	v_cndmask_b32_e64 v3, 0, 1, vcc
	v_lshrrev_b64 v[16:17], v3, v[16:17]
; %bb.14978:                            ;   in Loop: Header=BB6_14596 Depth=3
	s_andn2_saveexec_b64 s[28:29], s[28:29]
; %bb.14979:                            ;   in Loop: Header=BB6_14596 Depth=3
	v_bfe_u32 v1, v16, 23, 1
; %bb.14980:                            ;   in Loop: Header=BB6_14596 Depth=3
	s_or_b64 exec, exec, s[28:29]
	v_lshrrev_b64 v[3:4], 20, v[16:17]
	v_cmp_gt_i32_e32 vcc, 16, v1
	v_cndmask_b32_e32 v17, 0, v4, vcc
	v_cndmask_b32_e32 v16, 7, v3, vcc
	v_cmp_ne_u64_e32 vcc, 0, v[16:17]
	v_cmp_ne_u32_e64 s[28:29], 0, v1
	s_or_b64 s[28:29], s[28:29], vcc
                                        ; implicit-def: $vgpr49
	s_and_saveexec_b64 vcc, s[28:29]
	s_xor_b64 s[28:29], exec, vcc
; %bb.14981:                            ;   in Loop: Header=BB6_14596 Depth=3
	v_min_i32_e32 v1, 15, v1
	v_lshl_or_b32 v0, v1, 3, v0
	v_and_or_b32 v49, v16, 7, v0
                                        ; implicit-def: $vgpr0
; %bb.14982:                            ;   in Loop: Header=BB6_14596 Depth=3
	s_andn2_saveexec_b64 s[28:29], s[28:29]
; %bb.14983:                            ;   in Loop: Header=BB6_14596 Depth=3
	v_mov_b32_e32 v49, v0
; %bb.14984:                            ;   in Loop: Header=BB6_14596 Depth=3
	s_or_b64 exec, exec, s[28:29]
.LBB6_14985:                            ;   in Loop: Header=BB6_14596 Depth=3
	s_or_b64 exec, exec, s[38:39]
                                        ; implicit-def: $vgpr0
.LBB6_14986:                            ;   in Loop: Header=BB6_14596 Depth=3
	s_andn2_saveexec_b64 s[28:29], s[36:37]
; %bb.14987:                            ;   in Loop: Header=BB6_14596 Depth=3
	v_or_b32_e32 v49, 0x7e, v0
; %bb.14988:                            ;   in Loop: Header=BB6_14596 Depth=3
	s_or_b64 exec, exec, s[28:29]
                                        ; implicit-def: $vgpr1
.LBB6_14989:                            ;   in Loop: Header=BB6_14596 Depth=3
	s_andn2_saveexec_b64 s[28:29], s[34:35]
; %bb.14990:                            ;   in Loop: Header=BB6_14596 Depth=3
	v_or_b32_sdwa v49, v1, s86 dst_sel:DWORD dst_unused:UNUSED_PAD src0_sel:BYTE_3 src1_sel:DWORD
; %bb.14991:                            ;   in Loop: Header=BB6_14596 Depth=3
	s_or_b64 exec, exec, s[28:29]
	flat_load_ubyte v0, v[12:13] offset:960 glc slc
	v_mov_b32_e32 v1, 0
	s_waitcnt vmcnt(0) lgkmcnt(0)
	v_cmp_ne_u16_e32 vcc, 0, v0
	s_and_saveexec_b64 s[28:29], vcc
	s_cbranch_execz .LBB6_14997
; %bb.14992:                            ;   in Loop: Header=BB6_14596 Depth=3
	v_cmp_ne_u16_e32 vcc, s96, v0
	v_bfrev_b32_e32 v1, 1
	s_and_saveexec_b64 s[34:35], vcc
	s_cbranch_execz .LBB6_14996
; %bb.14993:                            ;   in Loop: Header=BB6_14596 Depth=3
	v_and_b32_e32 v16, 0xffff, v0
	v_and_b32_e32 v3, 0x7f, v16
	v_cmp_ne_u32_e32 vcc, s86, v3
	v_mov_b32_e32 v1, 0x7f800001
	s_and_saveexec_b64 s[36:37], vcc
	s_cbranch_execz .LBB6_14995
; %bb.14994:                            ;   in Loop: Header=BB6_14596 Depth=3
	v_and_b32_e32 v1, 7, v16
	v_lshrrev_b32_e32 v5, 3, v3
	v_cmp_gt_u32_e32 vcc, 8, v3
	v_ffbh_u32_e32 v3, v1
	v_min_u32_e32 v6, 32, v3
	v_subrev_u32_e32 v3, 28, v6
	v_lshlrev_b64 v[3:4], v3, v[16:17]
	v_sub_u32_e32 v4, 29, v6
	v_and_b32_e32 v3, 7, v3
	v_cndmask_b32_e32 v4, v5, v4, vcc
	v_cndmask_b32_e32 v1, v1, v3, vcc
	v_lshlrev_b32_e32 v0, 24, v0
	v_bfrev_b32_e32 v3, 60
	v_lshlrev_b32_e32 v1, 20, v1
	v_and_b32_e32 v0, 0x80000000, v0
	v_lshl_add_u32 v3, v4, 23, v3
	v_or3_b32 v1, v0, v3, v1
.LBB6_14995:                            ;   in Loop: Header=BB6_14596 Depth=3
	s_or_b64 exec, exec, s[36:37]
.LBB6_14996:                            ;   in Loop: Header=BB6_14596 Depth=3
	s_or_b64 exec, exec, s[34:35]
.LBB6_14997:                            ;   in Loop: Header=BB6_14596 Depth=3
	s_or_b64 exec, exec, s[28:29]
	v_mul_f32_e32 v1, s9, v1
	v_and_b32_e32 v3, 0x7f800000, v1
	v_mov_b32_e32 v4, v51
	v_cmp_ne_u64_e32 vcc, s[76:77], v[3:4]
                                        ; implicit-def: $vgpr48
	s_and_saveexec_b64 s[28:29], vcc
	s_xor_b64 s[34:35], exec, s[28:29]
	s_cbranch_execz .LBB6_15015
; %bb.14998:                            ;   in Loop: Header=BB6_14596 Depth=3
	v_and_b32_e32 v3, 0x7fffffff, v1
	v_mov_b32_e32 v4, v51
	v_cmp_gt_u64_e32 vcc, s[78:79], v[3:4]
	v_and_b32_sdwa v0, v1, s96 dst_sel:DWORD dst_unused:UNUSED_PAD src0_sel:BYTE_3 src1_sel:DWORD
                                        ; implicit-def: $vgpr48
	s_and_saveexec_b64 s[28:29], vcc
	s_xor_b64 s[36:37], exec, s[28:29]
	s_cbranch_execz .LBB6_15012
; %bb.14999:                            ;   in Loop: Header=BB6_14596 Depth=3
	v_cmp_ne_u32_e32 vcc, 0, v1
	v_mov_b32_e32 v48, 0
	s_and_saveexec_b64 s[38:39], vcc
	s_cbranch_execz .LBB6_15011
; %bb.15000:                            ;   in Loop: Header=BB6_14596 Depth=3
	v_and_b32_e32 v4, 0x7fffff, v1
	v_bfe_u32 v1, v1, 23, 8
	v_cmp_gt_u32_e64 s[28:29], s97, v1
	v_sub_u32_e32 v3, 0x79, v1
	v_cmp_eq_u32_e32 vcc, 0, v1
	v_cndmask_b32_e64 v3, 0, v3, s[28:29]
	v_mov_b32_e32 v6, 0x78
	v_cndmask_b32_e32 v3, v3, v6, vcc
	v_add_u32_e32 v6, 20, v3
	v_or_b32_e32 v5, 0x800000, v4
	v_lshlrev_b64 v[6:7], v6, -1
	v_add_u32_e32 v16, 19, v3
	v_cndmask_b32_e32 v4, v5, v4, vcc
	v_lshlrev_b64 v[16:17], v16, 1
	v_mov_b32_e32 v5, v51
	v_bfi_b32 v7, v7, 0, 0
	v_bfi_b32 v6, v6, 0, v4
	v_cmp_eq_u64_e64 s[28:29], v[6:7], v[16:17]
	v_lshrrev_b64 v[16:17], v3, v[4:5]
	v_mov_b32_e32 v4, v16
	v_mov_b32_e32 v5, v17
	s_and_saveexec_b64 s[48:49], s[28:29]
; %bb.15001:                            ;   in Loop: Header=BB6_14596 Depth=3
	v_bfe_u32 v4, v16, 20, 1
	v_add_co_u32_e64 v4, s[28:29], v16, v4
	v_add_co_u32_e64 v4, s[28:29], -1, v4
; %bb.15002:                            ;   in Loop: Header=BB6_14596 Depth=3
	s_or_b64 exec, exec, s[48:49]
	v_add_u32_e32 v1, 0xffffff81, v1
	v_mov_b32_e32 v5, 0xffffff82
	v_cndmask_b32_e32 v1, v1, v5, vcc
	v_lshrrev_b32_e32 v5, 23, v16
	v_add3_u32 v5, v3, v1, v5
	v_add_u32_e32 v3, 6, v5
	v_and_b32_e32 v1, 0xfffff, v4
	v_add_u32_e32 v16, v1, v16
	v_mov_b32_e32 v17, v51
	v_cmp_ne_u32_e32 vcc, 0, v3
                                        ; implicit-def: $vgpr1
	s_and_saveexec_b64 s[28:29], vcc
	s_xor_b64 s[28:29], exec, s[28:29]
; %bb.15003:                            ;   in Loop: Header=BB6_14596 Depth=3
	v_cmp_lt_u64_e32 vcc, s[88:89], v[16:17]
	v_add_u32_e32 v1, 7, v5
	v_cndmask_b32_e32 v1, v3, v1, vcc
	v_cndmask_b32_e64 v3, 0, 1, vcc
	v_lshrrev_b64 v[16:17], v3, v[16:17]
; %bb.15004:                            ;   in Loop: Header=BB6_14596 Depth=3
	s_andn2_saveexec_b64 s[28:29], s[28:29]
; %bb.15005:                            ;   in Loop: Header=BB6_14596 Depth=3
	v_bfe_u32 v1, v16, 23, 1
; %bb.15006:                            ;   in Loop: Header=BB6_14596 Depth=3
	s_or_b64 exec, exec, s[28:29]
	v_lshrrev_b64 v[3:4], 20, v[16:17]
	v_cmp_gt_i32_e32 vcc, 16, v1
	v_cndmask_b32_e32 v17, 0, v4, vcc
	v_cndmask_b32_e32 v16, 7, v3, vcc
	v_cmp_ne_u64_e32 vcc, 0, v[16:17]
	v_cmp_ne_u32_e64 s[28:29], 0, v1
	s_or_b64 s[28:29], s[28:29], vcc
                                        ; implicit-def: $vgpr48
	s_and_saveexec_b64 vcc, s[28:29]
	s_xor_b64 s[28:29], exec, vcc
; %bb.15007:                            ;   in Loop: Header=BB6_14596 Depth=3
	v_min_i32_e32 v1, 15, v1
	v_lshl_or_b32 v0, v1, 3, v0
	v_and_or_b32 v48, v16, 7, v0
                                        ; implicit-def: $vgpr0
; %bb.15008:                            ;   in Loop: Header=BB6_14596 Depth=3
	s_andn2_saveexec_b64 s[28:29], s[28:29]
; %bb.15009:                            ;   in Loop: Header=BB6_14596 Depth=3
	v_mov_b32_e32 v48, v0
; %bb.15010:                            ;   in Loop: Header=BB6_14596 Depth=3
	s_or_b64 exec, exec, s[28:29]
.LBB6_15011:                            ;   in Loop: Header=BB6_14596 Depth=3
	s_or_b64 exec, exec, s[38:39]
                                        ; implicit-def: $vgpr0
.LBB6_15012:                            ;   in Loop: Header=BB6_14596 Depth=3
	s_andn2_saveexec_b64 s[28:29], s[36:37]
; %bb.15013:                            ;   in Loop: Header=BB6_14596 Depth=3
	v_or_b32_e32 v48, 0x7e, v0
; %bb.15014:                            ;   in Loop: Header=BB6_14596 Depth=3
	s_or_b64 exec, exec, s[28:29]
                                        ; implicit-def: $vgpr1
.LBB6_15015:                            ;   in Loop: Header=BB6_14596 Depth=3
	s_andn2_saveexec_b64 s[28:29], s[34:35]
; %bb.15016:                            ;   in Loop: Header=BB6_14596 Depth=3
	v_or_b32_sdwa v48, v1, s86 dst_sel:DWORD dst_unused:UNUSED_PAD src0_sel:BYTE_3 src1_sel:DWORD
; %bb.15017:                            ;   in Loop: Header=BB6_14596 Depth=3
	s_or_b64 exec, exec, s[28:29]
	flat_load_ubyte v0, v[12:13] offset:1024 glc slc
	v_mov_b32_e32 v1, 0
	s_waitcnt vmcnt(0) lgkmcnt(0)
	v_cmp_ne_u16_e32 vcc, 0, v0
	s_and_saveexec_b64 s[28:29], vcc
	s_cbranch_execz .LBB6_15023
; %bb.15018:                            ;   in Loop: Header=BB6_14596 Depth=3
	v_cmp_ne_u16_e32 vcc, s96, v0
	v_bfrev_b32_e32 v1, 1
	s_and_saveexec_b64 s[34:35], vcc
	s_cbranch_execz .LBB6_15022
; %bb.15019:                            ;   in Loop: Header=BB6_14596 Depth=3
	v_and_b32_e32 v16, 0xffff, v0
	v_and_b32_e32 v3, 0x7f, v16
	v_cmp_ne_u32_e32 vcc, s86, v3
	v_mov_b32_e32 v1, 0x7f800001
	s_and_saveexec_b64 s[36:37], vcc
	s_cbranch_execz .LBB6_15021
; %bb.15020:                            ;   in Loop: Header=BB6_14596 Depth=3
	v_and_b32_e32 v1, 7, v16
	v_lshrrev_b32_e32 v5, 3, v3
	v_cmp_gt_u32_e32 vcc, 8, v3
	v_ffbh_u32_e32 v3, v1
	v_min_u32_e32 v6, 32, v3
	v_subrev_u32_e32 v3, 28, v6
	v_lshlrev_b64 v[3:4], v3, v[16:17]
	v_sub_u32_e32 v4, 29, v6
	v_and_b32_e32 v3, 7, v3
	v_cndmask_b32_e32 v4, v5, v4, vcc
	v_cndmask_b32_e32 v1, v1, v3, vcc
	v_lshlrev_b32_e32 v0, 24, v0
	v_bfrev_b32_e32 v3, 60
	v_lshlrev_b32_e32 v1, 20, v1
	v_and_b32_e32 v0, 0x80000000, v0
	v_lshl_add_u32 v3, v4, 23, v3
	v_or3_b32 v1, v0, v3, v1
.LBB6_15021:                            ;   in Loop: Header=BB6_14596 Depth=3
	s_or_b64 exec, exec, s[36:37]
.LBB6_15022:                            ;   in Loop: Header=BB6_14596 Depth=3
	s_or_b64 exec, exec, s[34:35]
.LBB6_15023:                            ;   in Loop: Header=BB6_14596 Depth=3
	s_or_b64 exec, exec, s[28:29]
	v_mul_f32_e32 v1, s9, v1
	v_and_b32_e32 v3, 0x7f800000, v1
	v_mov_b32_e32 v4, v51
	v_cmp_ne_u64_e32 vcc, s[76:77], v[3:4]
                                        ; implicit-def: $vgpr0
                                        ; kill: killed $vgpr0
	s_and_saveexec_b64 s[28:29], vcc
	s_xor_b64 s[34:35], exec, s[28:29]
	s_cbranch_execz .LBB6_15041
; %bb.15024:                            ;   in Loop: Header=BB6_14596 Depth=3
	v_and_b32_e32 v3, 0x7fffffff, v1
	v_mov_b32_e32 v4, v51
	v_cmp_gt_u64_e32 vcc, s[78:79], v[3:4]
	v_and_b32_sdwa v0, v1, s96 dst_sel:DWORD dst_unused:UNUSED_PAD src0_sel:BYTE_3 src1_sel:DWORD
                                        ; implicit-def: $vgpr3
                                        ; kill: killed $vgpr3
	s_and_saveexec_b64 s[28:29], vcc
	s_xor_b64 s[36:37], exec, s[28:29]
	s_cbranch_execz .LBB6_15038
; %bb.15025:                            ;   in Loop: Header=BB6_14596 Depth=3
	v_cmp_ne_u32_e32 vcc, 0, v1
	v_mov_b32_e32 v3, 0
	buffer_store_dword v3, off, s[0:3], s33 offset:152 ; 4-byte Folded Spill
	s_and_saveexec_b64 s[38:39], vcc
	s_cbranch_execz .LBB6_15037
; %bb.15026:                            ;   in Loop: Header=BB6_14596 Depth=3
	v_and_b32_e32 v4, 0x7fffff, v1
	v_bfe_u32 v1, v1, 23, 8
	v_cmp_gt_u32_e64 s[28:29], s97, v1
	v_sub_u32_e32 v3, 0x79, v1
	v_cmp_eq_u32_e32 vcc, 0, v1
	v_cndmask_b32_e64 v3, 0, v3, s[28:29]
	v_mov_b32_e32 v6, 0x78
	v_cndmask_b32_e32 v3, v3, v6, vcc
	v_add_u32_e32 v6, 20, v3
	v_or_b32_e32 v5, 0x800000, v4
	v_lshlrev_b64 v[6:7], v6, -1
	v_add_u32_e32 v16, 19, v3
	v_cndmask_b32_e32 v4, v5, v4, vcc
	v_lshlrev_b64 v[16:17], v16, 1
	v_mov_b32_e32 v5, v51
	v_bfi_b32 v7, v7, 0, 0
	v_bfi_b32 v6, v6, 0, v4
	v_cmp_eq_u64_e64 s[28:29], v[6:7], v[16:17]
	v_lshrrev_b64 v[16:17], v3, v[4:5]
	v_mov_b32_e32 v4, v16
	v_mov_b32_e32 v5, v17
	s_and_saveexec_b64 s[48:49], s[28:29]
; %bb.15027:                            ;   in Loop: Header=BB6_14596 Depth=3
	v_bfe_u32 v4, v16, 20, 1
	v_add_co_u32_e64 v4, s[28:29], v16, v4
	v_add_co_u32_e64 v4, s[28:29], -1, v4
; %bb.15028:                            ;   in Loop: Header=BB6_14596 Depth=3
	s_or_b64 exec, exec, s[48:49]
	v_add_u32_e32 v1, 0xffffff81, v1
	v_mov_b32_e32 v5, 0xffffff82
	v_cndmask_b32_e32 v1, v1, v5, vcc
	v_lshrrev_b32_e32 v5, 23, v16
	v_add3_u32 v5, v3, v1, v5
	v_add_u32_e32 v3, 6, v5
	v_and_b32_e32 v1, 0xfffff, v4
	v_add_u32_e32 v16, v1, v16
	v_mov_b32_e32 v17, v51
	v_cmp_ne_u32_e32 vcc, 0, v3
                                        ; implicit-def: $vgpr1
	s_and_saveexec_b64 s[28:29], vcc
	s_xor_b64 s[28:29], exec, s[28:29]
; %bb.15029:                            ;   in Loop: Header=BB6_14596 Depth=3
	v_cmp_lt_u64_e32 vcc, s[88:89], v[16:17]
	v_add_u32_e32 v1, 7, v5
	v_cndmask_b32_e32 v1, v3, v1, vcc
	v_cndmask_b32_e64 v3, 0, 1, vcc
	v_lshrrev_b64 v[16:17], v3, v[16:17]
; %bb.15030:                            ;   in Loop: Header=BB6_14596 Depth=3
	s_andn2_saveexec_b64 s[28:29], s[28:29]
; %bb.15031:                            ;   in Loop: Header=BB6_14596 Depth=3
	v_bfe_u32 v1, v16, 23, 1
; %bb.15032:                            ;   in Loop: Header=BB6_14596 Depth=3
	s_or_b64 exec, exec, s[28:29]
	v_lshrrev_b64 v[3:4], 20, v[16:17]
	v_cmp_gt_i32_e32 vcc, 16, v1
	v_cndmask_b32_e32 v17, 0, v4, vcc
	v_cndmask_b32_e32 v16, 7, v3, vcc
	v_cmp_ne_u64_e32 vcc, 0, v[16:17]
	v_cmp_ne_u32_e64 s[28:29], 0, v1
	s_or_b64 s[28:29], s[28:29], vcc
                                        ; implicit-def: $vgpr3
                                        ; kill: killed $vgpr3
	s_and_saveexec_b64 vcc, s[28:29]
	s_xor_b64 s[28:29], exec, vcc
	s_cbranch_execz .LBB6_15034
; %bb.15033:                            ;   in Loop: Header=BB6_14596 Depth=3
	v_min_i32_e32 v1, 15, v1
	v_lshl_or_b32 v0, v1, 3, v0
	v_and_or_b32 v0, v16, 7, v0
	buffer_store_dword v0, off, s[0:3], s33 offset:152 ; 4-byte Folded Spill
                                        ; implicit-def: $vgpr0
.LBB6_15034:                            ;   in Loop: Header=BB6_14596 Depth=3
	s_andn2_saveexec_b64 s[28:29], s[28:29]
	s_cbranch_execz .LBB6_15036
; %bb.15035:                            ;   in Loop: Header=BB6_14596 Depth=3
	buffer_store_dword v0, off, s[0:3], s33 offset:152 ; 4-byte Folded Spill
.LBB6_15036:                            ;   in Loop: Header=BB6_14596 Depth=3
	s_or_b64 exec, exec, s[28:29]
.LBB6_15037:                            ;   in Loop: Header=BB6_14596 Depth=3
	s_or_b64 exec, exec, s[38:39]
                                        ; implicit-def: $vgpr0
.LBB6_15038:                            ;   in Loop: Header=BB6_14596 Depth=3
	s_andn2_saveexec_b64 s[28:29], s[36:37]
	s_cbranch_execz .LBB6_15040
; %bb.15039:                            ;   in Loop: Header=BB6_14596 Depth=3
	v_or_b32_e32 v0, 0x7e, v0
	buffer_store_dword v0, off, s[0:3], s33 offset:152 ; 4-byte Folded Spill
.LBB6_15040:                            ;   in Loop: Header=BB6_14596 Depth=3
	s_or_b64 exec, exec, s[28:29]
                                        ; implicit-def: $vgpr1
.LBB6_15041:                            ;   in Loop: Header=BB6_14596 Depth=3
	s_andn2_saveexec_b64 s[28:29], s[34:35]
	s_cbranch_execz .LBB6_15043
; %bb.15042:                            ;   in Loop: Header=BB6_14596 Depth=3
	v_or_b32_sdwa v0, v1, s86 dst_sel:DWORD dst_unused:UNUSED_PAD src0_sel:BYTE_3 src1_sel:DWORD
	buffer_store_dword v0, off, s[0:3], s33 offset:152 ; 4-byte Folded Spill
.LBB6_15043:                            ;   in Loop: Header=BB6_14596 Depth=3
	s_or_b64 exec, exec, s[28:29]
	flat_load_ubyte v0, v[12:13] offset:1088 glc slc
	v_mov_b32_e32 v1, 0
	s_waitcnt vmcnt(0) lgkmcnt(0)
	v_cmp_ne_u16_e32 vcc, 0, v0
	s_and_saveexec_b64 s[28:29], vcc
	s_cbranch_execz .LBB6_15049
; %bb.15044:                            ;   in Loop: Header=BB6_14596 Depth=3
	v_cmp_ne_u16_e32 vcc, s96, v0
	v_bfrev_b32_e32 v1, 1
	s_and_saveexec_b64 s[34:35], vcc
	s_cbranch_execz .LBB6_15048
; %bb.15045:                            ;   in Loop: Header=BB6_14596 Depth=3
	v_and_b32_e32 v16, 0xffff, v0
	v_and_b32_e32 v3, 0x7f, v16
	v_cmp_ne_u32_e32 vcc, s86, v3
	v_mov_b32_e32 v1, 0x7f800001
	s_and_saveexec_b64 s[36:37], vcc
	s_cbranch_execz .LBB6_15047
; %bb.15046:                            ;   in Loop: Header=BB6_14596 Depth=3
	v_and_b32_e32 v1, 7, v16
	v_lshrrev_b32_e32 v5, 3, v3
	v_cmp_gt_u32_e32 vcc, 8, v3
	v_ffbh_u32_e32 v3, v1
	v_min_u32_e32 v6, 32, v3
	v_subrev_u32_e32 v3, 28, v6
	v_lshlrev_b64 v[3:4], v3, v[16:17]
	v_sub_u32_e32 v4, 29, v6
	v_and_b32_e32 v3, 7, v3
	v_cndmask_b32_e32 v4, v5, v4, vcc
	v_cndmask_b32_e32 v1, v1, v3, vcc
	v_lshlrev_b32_e32 v0, 24, v0
	v_bfrev_b32_e32 v3, 60
	v_lshlrev_b32_e32 v1, 20, v1
	v_and_b32_e32 v0, 0x80000000, v0
	v_lshl_add_u32 v3, v4, 23, v3
	v_or3_b32 v1, v0, v3, v1
.LBB6_15047:                            ;   in Loop: Header=BB6_14596 Depth=3
	s_or_b64 exec, exec, s[36:37]
.LBB6_15048:                            ;   in Loop: Header=BB6_14596 Depth=3
	s_or_b64 exec, exec, s[34:35]
.LBB6_15049:                            ;   in Loop: Header=BB6_14596 Depth=3
	s_or_b64 exec, exec, s[28:29]
	v_mul_f32_e32 v1, s9, v1
	v_and_b32_e32 v3, 0x7f800000, v1
	v_mov_b32_e32 v4, v51
	v_cmp_ne_u64_e32 vcc, s[76:77], v[3:4]
                                        ; implicit-def: $vgpr0
                                        ; kill: killed $vgpr0
	s_and_saveexec_b64 s[28:29], vcc
	s_xor_b64 s[34:35], exec, s[28:29]
	s_cbranch_execz .LBB6_15067
; %bb.15050:                            ;   in Loop: Header=BB6_14596 Depth=3
	v_and_b32_e32 v3, 0x7fffffff, v1
	v_mov_b32_e32 v4, v51
	v_cmp_gt_u64_e32 vcc, s[78:79], v[3:4]
	v_and_b32_sdwa v0, v1, s96 dst_sel:DWORD dst_unused:UNUSED_PAD src0_sel:BYTE_3 src1_sel:DWORD
                                        ; implicit-def: $vgpr3
                                        ; kill: killed $vgpr3
	s_and_saveexec_b64 s[28:29], vcc
	s_xor_b64 s[36:37], exec, s[28:29]
	s_cbranch_execz .LBB6_15064
; %bb.15051:                            ;   in Loop: Header=BB6_14596 Depth=3
	v_cmp_ne_u32_e32 vcc, 0, v1
	v_mov_b32_e32 v3, 0
	buffer_store_dword v3, off, s[0:3], s33 offset:148 ; 4-byte Folded Spill
	s_and_saveexec_b64 s[38:39], vcc
	s_cbranch_execz .LBB6_15063
; %bb.15052:                            ;   in Loop: Header=BB6_14596 Depth=3
	v_and_b32_e32 v4, 0x7fffff, v1
	v_bfe_u32 v1, v1, 23, 8
	v_cmp_gt_u32_e64 s[28:29], s97, v1
	v_sub_u32_e32 v3, 0x79, v1
	v_cmp_eq_u32_e32 vcc, 0, v1
	v_cndmask_b32_e64 v3, 0, v3, s[28:29]
	v_mov_b32_e32 v6, 0x78
	v_cndmask_b32_e32 v3, v3, v6, vcc
	v_add_u32_e32 v6, 20, v3
	v_or_b32_e32 v5, 0x800000, v4
	v_lshlrev_b64 v[6:7], v6, -1
	v_add_u32_e32 v16, 19, v3
	v_cndmask_b32_e32 v4, v5, v4, vcc
	v_lshlrev_b64 v[16:17], v16, 1
	v_mov_b32_e32 v5, v51
	v_bfi_b32 v7, v7, 0, 0
	v_bfi_b32 v6, v6, 0, v4
	v_cmp_eq_u64_e64 s[28:29], v[6:7], v[16:17]
	v_lshrrev_b64 v[16:17], v3, v[4:5]
	v_mov_b32_e32 v4, v16
	v_mov_b32_e32 v5, v17
	s_and_saveexec_b64 s[48:49], s[28:29]
; %bb.15053:                            ;   in Loop: Header=BB6_14596 Depth=3
	v_bfe_u32 v4, v16, 20, 1
	v_add_co_u32_e64 v4, s[28:29], v16, v4
	v_add_co_u32_e64 v4, s[28:29], -1, v4
; %bb.15054:                            ;   in Loop: Header=BB6_14596 Depth=3
	s_or_b64 exec, exec, s[48:49]
	v_add_u32_e32 v1, 0xffffff81, v1
	v_mov_b32_e32 v5, 0xffffff82
	v_cndmask_b32_e32 v1, v1, v5, vcc
	v_lshrrev_b32_e32 v5, 23, v16
	v_add3_u32 v5, v3, v1, v5
	v_add_u32_e32 v3, 6, v5
	v_and_b32_e32 v1, 0xfffff, v4
	v_add_u32_e32 v16, v1, v16
	v_mov_b32_e32 v17, v51
	v_cmp_ne_u32_e32 vcc, 0, v3
                                        ; implicit-def: $vgpr1
	s_and_saveexec_b64 s[28:29], vcc
	s_xor_b64 s[28:29], exec, s[28:29]
; %bb.15055:                            ;   in Loop: Header=BB6_14596 Depth=3
	v_cmp_lt_u64_e32 vcc, s[88:89], v[16:17]
	v_add_u32_e32 v1, 7, v5
	v_cndmask_b32_e32 v1, v3, v1, vcc
	v_cndmask_b32_e64 v3, 0, 1, vcc
	v_lshrrev_b64 v[16:17], v3, v[16:17]
; %bb.15056:                            ;   in Loop: Header=BB6_14596 Depth=3
	s_andn2_saveexec_b64 s[28:29], s[28:29]
; %bb.15057:                            ;   in Loop: Header=BB6_14596 Depth=3
	v_bfe_u32 v1, v16, 23, 1
; %bb.15058:                            ;   in Loop: Header=BB6_14596 Depth=3
	s_or_b64 exec, exec, s[28:29]
	v_lshrrev_b64 v[3:4], 20, v[16:17]
	v_cmp_gt_i32_e32 vcc, 16, v1
	v_cndmask_b32_e32 v17, 0, v4, vcc
	v_cndmask_b32_e32 v16, 7, v3, vcc
	v_cmp_ne_u64_e32 vcc, 0, v[16:17]
	v_cmp_ne_u32_e64 s[28:29], 0, v1
	s_or_b64 s[28:29], s[28:29], vcc
                                        ; implicit-def: $vgpr3
                                        ; kill: killed $vgpr3
	s_and_saveexec_b64 vcc, s[28:29]
	s_xor_b64 s[28:29], exec, vcc
	s_cbranch_execz .LBB6_15060
; %bb.15059:                            ;   in Loop: Header=BB6_14596 Depth=3
	v_min_i32_e32 v1, 15, v1
	v_lshl_or_b32 v0, v1, 3, v0
	v_and_or_b32 v0, v16, 7, v0
	buffer_store_dword v0, off, s[0:3], s33 offset:148 ; 4-byte Folded Spill
                                        ; implicit-def: $vgpr0
.LBB6_15060:                            ;   in Loop: Header=BB6_14596 Depth=3
	s_andn2_saveexec_b64 s[28:29], s[28:29]
	s_cbranch_execz .LBB6_15062
; %bb.15061:                            ;   in Loop: Header=BB6_14596 Depth=3
	buffer_store_dword v0, off, s[0:3], s33 offset:148 ; 4-byte Folded Spill
.LBB6_15062:                            ;   in Loop: Header=BB6_14596 Depth=3
	s_or_b64 exec, exec, s[28:29]
.LBB6_15063:                            ;   in Loop: Header=BB6_14596 Depth=3
	s_or_b64 exec, exec, s[38:39]
                                        ; implicit-def: $vgpr0
.LBB6_15064:                            ;   in Loop: Header=BB6_14596 Depth=3
	s_andn2_saveexec_b64 s[28:29], s[36:37]
	s_cbranch_execz .LBB6_15066
; %bb.15065:                            ;   in Loop: Header=BB6_14596 Depth=3
	v_or_b32_e32 v0, 0x7e, v0
	buffer_store_dword v0, off, s[0:3], s33 offset:148 ; 4-byte Folded Spill
.LBB6_15066:                            ;   in Loop: Header=BB6_14596 Depth=3
	s_or_b64 exec, exec, s[28:29]
                                        ; implicit-def: $vgpr1
.LBB6_15067:                            ;   in Loop: Header=BB6_14596 Depth=3
	s_andn2_saveexec_b64 s[28:29], s[34:35]
	s_cbranch_execz .LBB6_15069
; %bb.15068:                            ;   in Loop: Header=BB6_14596 Depth=3
	v_or_b32_sdwa v0, v1, s86 dst_sel:DWORD dst_unused:UNUSED_PAD src0_sel:BYTE_3 src1_sel:DWORD
	buffer_store_dword v0, off, s[0:3], s33 offset:148 ; 4-byte Folded Spill
.LBB6_15069:                            ;   in Loop: Header=BB6_14596 Depth=3
	s_or_b64 exec, exec, s[28:29]
	flat_load_ubyte v0, v[12:13] offset:1152 glc slc
	v_mov_b32_e32 v1, 0
	s_waitcnt vmcnt(0) lgkmcnt(0)
	v_cmp_ne_u16_e32 vcc, 0, v0
	s_and_saveexec_b64 s[28:29], vcc
	s_cbranch_execz .LBB6_15075
; %bb.15070:                            ;   in Loop: Header=BB6_14596 Depth=3
	v_cmp_ne_u16_e32 vcc, s96, v0
	v_bfrev_b32_e32 v1, 1
	s_and_saveexec_b64 s[34:35], vcc
	s_cbranch_execz .LBB6_15074
; %bb.15071:                            ;   in Loop: Header=BB6_14596 Depth=3
	v_and_b32_e32 v16, 0xffff, v0
	v_and_b32_e32 v3, 0x7f, v16
	v_cmp_ne_u32_e32 vcc, s86, v3
	v_mov_b32_e32 v1, 0x7f800001
	s_and_saveexec_b64 s[36:37], vcc
	s_cbranch_execz .LBB6_15073
; %bb.15072:                            ;   in Loop: Header=BB6_14596 Depth=3
	v_and_b32_e32 v1, 7, v16
	v_lshrrev_b32_e32 v5, 3, v3
	v_cmp_gt_u32_e32 vcc, 8, v3
	v_ffbh_u32_e32 v3, v1
	v_min_u32_e32 v6, 32, v3
	v_subrev_u32_e32 v3, 28, v6
	v_lshlrev_b64 v[3:4], v3, v[16:17]
	v_sub_u32_e32 v4, 29, v6
	v_and_b32_e32 v3, 7, v3
	v_cndmask_b32_e32 v4, v5, v4, vcc
	v_cndmask_b32_e32 v1, v1, v3, vcc
	v_lshlrev_b32_e32 v0, 24, v0
	v_bfrev_b32_e32 v3, 60
	v_lshlrev_b32_e32 v1, 20, v1
	v_and_b32_e32 v0, 0x80000000, v0
	v_lshl_add_u32 v3, v4, 23, v3
	v_or3_b32 v1, v0, v3, v1
.LBB6_15073:                            ;   in Loop: Header=BB6_14596 Depth=3
	s_or_b64 exec, exec, s[36:37]
.LBB6_15074:                            ;   in Loop: Header=BB6_14596 Depth=3
	s_or_b64 exec, exec, s[34:35]
.LBB6_15075:                            ;   in Loop: Header=BB6_14596 Depth=3
	s_or_b64 exec, exec, s[28:29]
	v_mul_f32_e32 v1, s9, v1
	v_and_b32_e32 v3, 0x7f800000, v1
	v_mov_b32_e32 v4, v51
	v_cmp_ne_u64_e32 vcc, s[76:77], v[3:4]
                                        ; implicit-def: $vgpr0
                                        ; kill: killed $vgpr0
	s_and_saveexec_b64 s[28:29], vcc
	s_xor_b64 s[34:35], exec, s[28:29]
	s_cbranch_execz .LBB6_15093
; %bb.15076:                            ;   in Loop: Header=BB6_14596 Depth=3
	v_and_b32_e32 v3, 0x7fffffff, v1
	v_mov_b32_e32 v4, v51
	v_cmp_gt_u64_e32 vcc, s[78:79], v[3:4]
	v_and_b32_sdwa v0, v1, s96 dst_sel:DWORD dst_unused:UNUSED_PAD src0_sel:BYTE_3 src1_sel:DWORD
                                        ; implicit-def: $vgpr3
                                        ; kill: killed $vgpr3
	s_and_saveexec_b64 s[28:29], vcc
	s_xor_b64 s[36:37], exec, s[28:29]
	s_cbranch_execz .LBB6_15090
; %bb.15077:                            ;   in Loop: Header=BB6_14596 Depth=3
	v_cmp_ne_u32_e32 vcc, 0, v1
	v_mov_b32_e32 v3, 0
	buffer_store_dword v3, off, s[0:3], s33 offset:144 ; 4-byte Folded Spill
	s_and_saveexec_b64 s[38:39], vcc
	s_cbranch_execz .LBB6_15089
; %bb.15078:                            ;   in Loop: Header=BB6_14596 Depth=3
	v_and_b32_e32 v4, 0x7fffff, v1
	v_bfe_u32 v1, v1, 23, 8
	v_cmp_gt_u32_e64 s[28:29], s97, v1
	v_sub_u32_e32 v3, 0x79, v1
	v_cmp_eq_u32_e32 vcc, 0, v1
	v_cndmask_b32_e64 v3, 0, v3, s[28:29]
	v_mov_b32_e32 v6, 0x78
	v_cndmask_b32_e32 v3, v3, v6, vcc
	v_add_u32_e32 v6, 20, v3
	v_or_b32_e32 v5, 0x800000, v4
	v_lshlrev_b64 v[6:7], v6, -1
	v_add_u32_e32 v16, 19, v3
	v_cndmask_b32_e32 v4, v5, v4, vcc
	v_lshlrev_b64 v[16:17], v16, 1
	v_mov_b32_e32 v5, v51
	v_bfi_b32 v7, v7, 0, 0
	v_bfi_b32 v6, v6, 0, v4
	v_cmp_eq_u64_e64 s[28:29], v[6:7], v[16:17]
	v_lshrrev_b64 v[16:17], v3, v[4:5]
	v_mov_b32_e32 v4, v16
	v_mov_b32_e32 v5, v17
	s_and_saveexec_b64 s[48:49], s[28:29]
; %bb.15079:                            ;   in Loop: Header=BB6_14596 Depth=3
	v_bfe_u32 v4, v16, 20, 1
	v_add_co_u32_e64 v4, s[28:29], v16, v4
	v_add_co_u32_e64 v4, s[28:29], -1, v4
; %bb.15080:                            ;   in Loop: Header=BB6_14596 Depth=3
	s_or_b64 exec, exec, s[48:49]
	v_add_u32_e32 v1, 0xffffff81, v1
	v_mov_b32_e32 v5, 0xffffff82
	v_cndmask_b32_e32 v1, v1, v5, vcc
	v_lshrrev_b32_e32 v5, 23, v16
	v_add3_u32 v5, v3, v1, v5
	v_add_u32_e32 v3, 6, v5
	v_and_b32_e32 v1, 0xfffff, v4
	v_add_u32_e32 v16, v1, v16
	v_mov_b32_e32 v17, v51
	v_cmp_ne_u32_e32 vcc, 0, v3
                                        ; implicit-def: $vgpr1
	s_and_saveexec_b64 s[28:29], vcc
	s_xor_b64 s[28:29], exec, s[28:29]
; %bb.15081:                            ;   in Loop: Header=BB6_14596 Depth=3
	v_cmp_lt_u64_e32 vcc, s[88:89], v[16:17]
	v_add_u32_e32 v1, 7, v5
	v_cndmask_b32_e32 v1, v3, v1, vcc
	v_cndmask_b32_e64 v3, 0, 1, vcc
	v_lshrrev_b64 v[16:17], v3, v[16:17]
; %bb.15082:                            ;   in Loop: Header=BB6_14596 Depth=3
	s_andn2_saveexec_b64 s[28:29], s[28:29]
; %bb.15083:                            ;   in Loop: Header=BB6_14596 Depth=3
	v_bfe_u32 v1, v16, 23, 1
; %bb.15084:                            ;   in Loop: Header=BB6_14596 Depth=3
	s_or_b64 exec, exec, s[28:29]
	v_lshrrev_b64 v[3:4], 20, v[16:17]
	v_cmp_gt_i32_e32 vcc, 16, v1
	v_cndmask_b32_e32 v17, 0, v4, vcc
	v_cndmask_b32_e32 v16, 7, v3, vcc
	v_cmp_ne_u64_e32 vcc, 0, v[16:17]
	v_cmp_ne_u32_e64 s[28:29], 0, v1
	s_or_b64 s[28:29], s[28:29], vcc
                                        ; implicit-def: $vgpr3
                                        ; kill: killed $vgpr3
	s_and_saveexec_b64 vcc, s[28:29]
	s_xor_b64 s[28:29], exec, vcc
	s_cbranch_execz .LBB6_15086
; %bb.15085:                            ;   in Loop: Header=BB6_14596 Depth=3
	v_min_i32_e32 v1, 15, v1
	v_lshl_or_b32 v0, v1, 3, v0
	v_and_or_b32 v0, v16, 7, v0
	buffer_store_dword v0, off, s[0:3], s33 offset:144 ; 4-byte Folded Spill
                                        ; implicit-def: $vgpr0
.LBB6_15086:                            ;   in Loop: Header=BB6_14596 Depth=3
	s_andn2_saveexec_b64 s[28:29], s[28:29]
	s_cbranch_execz .LBB6_15088
; %bb.15087:                            ;   in Loop: Header=BB6_14596 Depth=3
	buffer_store_dword v0, off, s[0:3], s33 offset:144 ; 4-byte Folded Spill
.LBB6_15088:                            ;   in Loop: Header=BB6_14596 Depth=3
	s_or_b64 exec, exec, s[28:29]
.LBB6_15089:                            ;   in Loop: Header=BB6_14596 Depth=3
	s_or_b64 exec, exec, s[38:39]
                                        ; implicit-def: $vgpr0
.LBB6_15090:                            ;   in Loop: Header=BB6_14596 Depth=3
	s_andn2_saveexec_b64 s[28:29], s[36:37]
	s_cbranch_execz .LBB6_15092
; %bb.15091:                            ;   in Loop: Header=BB6_14596 Depth=3
	v_or_b32_e32 v0, 0x7e, v0
	buffer_store_dword v0, off, s[0:3], s33 offset:144 ; 4-byte Folded Spill
.LBB6_15092:                            ;   in Loop: Header=BB6_14596 Depth=3
	s_or_b64 exec, exec, s[28:29]
                                        ; implicit-def: $vgpr1
.LBB6_15093:                            ;   in Loop: Header=BB6_14596 Depth=3
	s_andn2_saveexec_b64 s[28:29], s[34:35]
	s_cbranch_execz .LBB6_15095
; %bb.15094:                            ;   in Loop: Header=BB6_14596 Depth=3
	v_or_b32_sdwa v0, v1, s86 dst_sel:DWORD dst_unused:UNUSED_PAD src0_sel:BYTE_3 src1_sel:DWORD
	buffer_store_dword v0, off, s[0:3], s33 offset:144 ; 4-byte Folded Spill
.LBB6_15095:                            ;   in Loop: Header=BB6_14596 Depth=3
	s_or_b64 exec, exec, s[28:29]
	flat_load_ubyte v0, v[12:13] offset:1216 glc slc
	v_mov_b32_e32 v1, 0
	s_waitcnt vmcnt(0) lgkmcnt(0)
	v_cmp_ne_u16_e32 vcc, 0, v0
	s_and_saveexec_b64 s[28:29], vcc
	s_cbranch_execz .LBB6_15101
; %bb.15096:                            ;   in Loop: Header=BB6_14596 Depth=3
	v_cmp_ne_u16_e32 vcc, s96, v0
	v_bfrev_b32_e32 v1, 1
	s_and_saveexec_b64 s[34:35], vcc
	s_cbranch_execz .LBB6_15100
; %bb.15097:                            ;   in Loop: Header=BB6_14596 Depth=3
	v_and_b32_e32 v16, 0xffff, v0
	v_and_b32_e32 v3, 0x7f, v16
	v_cmp_ne_u32_e32 vcc, s86, v3
	v_mov_b32_e32 v1, 0x7f800001
	s_and_saveexec_b64 s[36:37], vcc
	s_cbranch_execz .LBB6_15099
; %bb.15098:                            ;   in Loop: Header=BB6_14596 Depth=3
	v_and_b32_e32 v1, 7, v16
	v_lshrrev_b32_e32 v5, 3, v3
	v_cmp_gt_u32_e32 vcc, 8, v3
	v_ffbh_u32_e32 v3, v1
	v_min_u32_e32 v6, 32, v3
	v_subrev_u32_e32 v3, 28, v6
	v_lshlrev_b64 v[3:4], v3, v[16:17]
	v_sub_u32_e32 v4, 29, v6
	v_and_b32_e32 v3, 7, v3
	v_cndmask_b32_e32 v4, v5, v4, vcc
	v_cndmask_b32_e32 v1, v1, v3, vcc
	v_lshlrev_b32_e32 v0, 24, v0
	v_bfrev_b32_e32 v3, 60
	v_lshlrev_b32_e32 v1, 20, v1
	v_and_b32_e32 v0, 0x80000000, v0
	v_lshl_add_u32 v3, v4, 23, v3
	v_or3_b32 v1, v0, v3, v1
.LBB6_15099:                            ;   in Loop: Header=BB6_14596 Depth=3
	s_or_b64 exec, exec, s[36:37]
.LBB6_15100:                            ;   in Loop: Header=BB6_14596 Depth=3
	s_or_b64 exec, exec, s[34:35]
.LBB6_15101:                            ;   in Loop: Header=BB6_14596 Depth=3
	s_or_b64 exec, exec, s[28:29]
	v_mul_f32_e32 v1, s9, v1
	v_and_b32_e32 v3, 0x7f800000, v1
	v_mov_b32_e32 v4, v51
	v_cmp_ne_u64_e32 vcc, s[76:77], v[3:4]
                                        ; implicit-def: $vgpr0
                                        ; kill: killed $vgpr0
	s_and_saveexec_b64 s[28:29], vcc
	s_xor_b64 s[34:35], exec, s[28:29]
	s_cbranch_execz .LBB6_15119
; %bb.15102:                            ;   in Loop: Header=BB6_14596 Depth=3
	v_and_b32_e32 v3, 0x7fffffff, v1
	v_mov_b32_e32 v4, v51
	v_cmp_gt_u64_e32 vcc, s[78:79], v[3:4]
	v_and_b32_sdwa v0, v1, s96 dst_sel:DWORD dst_unused:UNUSED_PAD src0_sel:BYTE_3 src1_sel:DWORD
                                        ; implicit-def: $vgpr3
                                        ; kill: killed $vgpr3
	s_and_saveexec_b64 s[28:29], vcc
	s_xor_b64 s[36:37], exec, s[28:29]
	s_cbranch_execz .LBB6_15116
; %bb.15103:                            ;   in Loop: Header=BB6_14596 Depth=3
	v_cmp_ne_u32_e32 vcc, 0, v1
	v_mov_b32_e32 v3, 0
	buffer_store_dword v3, off, s[0:3], s33 offset:140 ; 4-byte Folded Spill
	s_and_saveexec_b64 s[38:39], vcc
	s_cbranch_execz .LBB6_15115
; %bb.15104:                            ;   in Loop: Header=BB6_14596 Depth=3
	v_and_b32_e32 v4, 0x7fffff, v1
	v_bfe_u32 v1, v1, 23, 8
	v_cmp_gt_u32_e64 s[28:29], s97, v1
	v_sub_u32_e32 v3, 0x79, v1
	v_cmp_eq_u32_e32 vcc, 0, v1
	v_cndmask_b32_e64 v3, 0, v3, s[28:29]
	v_mov_b32_e32 v6, 0x78
	v_cndmask_b32_e32 v3, v3, v6, vcc
	v_add_u32_e32 v6, 20, v3
	v_or_b32_e32 v5, 0x800000, v4
	v_lshlrev_b64 v[6:7], v6, -1
	v_add_u32_e32 v16, 19, v3
	v_cndmask_b32_e32 v4, v5, v4, vcc
	v_lshlrev_b64 v[16:17], v16, 1
	v_mov_b32_e32 v5, v51
	v_bfi_b32 v7, v7, 0, 0
	v_bfi_b32 v6, v6, 0, v4
	v_cmp_eq_u64_e64 s[28:29], v[6:7], v[16:17]
	v_lshrrev_b64 v[16:17], v3, v[4:5]
	v_mov_b32_e32 v4, v16
	v_mov_b32_e32 v5, v17
	s_and_saveexec_b64 s[48:49], s[28:29]
; %bb.15105:                            ;   in Loop: Header=BB6_14596 Depth=3
	v_bfe_u32 v4, v16, 20, 1
	v_add_co_u32_e64 v4, s[28:29], v16, v4
	v_add_co_u32_e64 v4, s[28:29], -1, v4
; %bb.15106:                            ;   in Loop: Header=BB6_14596 Depth=3
	s_or_b64 exec, exec, s[48:49]
	v_add_u32_e32 v1, 0xffffff81, v1
	v_mov_b32_e32 v5, 0xffffff82
	v_cndmask_b32_e32 v1, v1, v5, vcc
	v_lshrrev_b32_e32 v5, 23, v16
	v_add3_u32 v5, v3, v1, v5
	v_add_u32_e32 v3, 6, v5
	v_and_b32_e32 v1, 0xfffff, v4
	v_add_u32_e32 v16, v1, v16
	v_mov_b32_e32 v17, v51
	v_cmp_ne_u32_e32 vcc, 0, v3
                                        ; implicit-def: $vgpr1
	s_and_saveexec_b64 s[28:29], vcc
	s_xor_b64 s[28:29], exec, s[28:29]
; %bb.15107:                            ;   in Loop: Header=BB6_14596 Depth=3
	v_cmp_lt_u64_e32 vcc, s[88:89], v[16:17]
	v_add_u32_e32 v1, 7, v5
	v_cndmask_b32_e32 v1, v3, v1, vcc
	v_cndmask_b32_e64 v3, 0, 1, vcc
	v_lshrrev_b64 v[16:17], v3, v[16:17]
; %bb.15108:                            ;   in Loop: Header=BB6_14596 Depth=3
	s_andn2_saveexec_b64 s[28:29], s[28:29]
; %bb.15109:                            ;   in Loop: Header=BB6_14596 Depth=3
	v_bfe_u32 v1, v16, 23, 1
; %bb.15110:                            ;   in Loop: Header=BB6_14596 Depth=3
	s_or_b64 exec, exec, s[28:29]
	v_lshrrev_b64 v[3:4], 20, v[16:17]
	v_cmp_gt_i32_e32 vcc, 16, v1
	v_cndmask_b32_e32 v17, 0, v4, vcc
	v_cndmask_b32_e32 v16, 7, v3, vcc
	v_cmp_ne_u64_e32 vcc, 0, v[16:17]
	v_cmp_ne_u32_e64 s[28:29], 0, v1
	s_or_b64 s[28:29], s[28:29], vcc
                                        ; implicit-def: $vgpr3
                                        ; kill: killed $vgpr3
	s_and_saveexec_b64 vcc, s[28:29]
	s_xor_b64 s[28:29], exec, vcc
	s_cbranch_execz .LBB6_15112
; %bb.15111:                            ;   in Loop: Header=BB6_14596 Depth=3
	v_min_i32_e32 v1, 15, v1
	v_lshl_or_b32 v0, v1, 3, v0
	v_and_or_b32 v0, v16, 7, v0
	buffer_store_dword v0, off, s[0:3], s33 offset:140 ; 4-byte Folded Spill
                                        ; implicit-def: $vgpr0
.LBB6_15112:                            ;   in Loop: Header=BB6_14596 Depth=3
	s_andn2_saveexec_b64 s[28:29], s[28:29]
	s_cbranch_execz .LBB6_15114
; %bb.15113:                            ;   in Loop: Header=BB6_14596 Depth=3
	buffer_store_dword v0, off, s[0:3], s33 offset:140 ; 4-byte Folded Spill
.LBB6_15114:                            ;   in Loop: Header=BB6_14596 Depth=3
	s_or_b64 exec, exec, s[28:29]
.LBB6_15115:                            ;   in Loop: Header=BB6_14596 Depth=3
	s_or_b64 exec, exec, s[38:39]
                                        ; implicit-def: $vgpr0
.LBB6_15116:                            ;   in Loop: Header=BB6_14596 Depth=3
	s_andn2_saveexec_b64 s[28:29], s[36:37]
	s_cbranch_execz .LBB6_15118
; %bb.15117:                            ;   in Loop: Header=BB6_14596 Depth=3
	v_or_b32_e32 v0, 0x7e, v0
	buffer_store_dword v0, off, s[0:3], s33 offset:140 ; 4-byte Folded Spill
.LBB6_15118:                            ;   in Loop: Header=BB6_14596 Depth=3
	s_or_b64 exec, exec, s[28:29]
                                        ; implicit-def: $vgpr1
.LBB6_15119:                            ;   in Loop: Header=BB6_14596 Depth=3
	s_andn2_saveexec_b64 s[28:29], s[34:35]
	s_cbranch_execz .LBB6_15121
; %bb.15120:                            ;   in Loop: Header=BB6_14596 Depth=3
	v_or_b32_sdwa v0, v1, s86 dst_sel:DWORD dst_unused:UNUSED_PAD src0_sel:BYTE_3 src1_sel:DWORD
	buffer_store_dword v0, off, s[0:3], s33 offset:140 ; 4-byte Folded Spill
.LBB6_15121:                            ;   in Loop: Header=BB6_14596 Depth=3
	s_or_b64 exec, exec, s[28:29]
	flat_load_ubyte v0, v[12:13] offset:1280 glc slc
	v_mov_b32_e32 v1, 0
	s_waitcnt vmcnt(0) lgkmcnt(0)
	v_cmp_ne_u16_e32 vcc, 0, v0
	s_and_saveexec_b64 s[28:29], vcc
	s_cbranch_execz .LBB6_15127
; %bb.15122:                            ;   in Loop: Header=BB6_14596 Depth=3
	v_cmp_ne_u16_e32 vcc, s96, v0
	v_bfrev_b32_e32 v1, 1
	s_and_saveexec_b64 s[34:35], vcc
	s_cbranch_execz .LBB6_15126
; %bb.15123:                            ;   in Loop: Header=BB6_14596 Depth=3
	v_and_b32_e32 v16, 0xffff, v0
	v_and_b32_e32 v3, 0x7f, v16
	v_cmp_ne_u32_e32 vcc, s86, v3
	v_mov_b32_e32 v1, 0x7f800001
	s_and_saveexec_b64 s[36:37], vcc
	s_cbranch_execz .LBB6_15125
; %bb.15124:                            ;   in Loop: Header=BB6_14596 Depth=3
	v_and_b32_e32 v1, 7, v16
	v_lshrrev_b32_e32 v5, 3, v3
	v_cmp_gt_u32_e32 vcc, 8, v3
	v_ffbh_u32_e32 v3, v1
	v_min_u32_e32 v6, 32, v3
	v_subrev_u32_e32 v3, 28, v6
	v_lshlrev_b64 v[3:4], v3, v[16:17]
	v_sub_u32_e32 v4, 29, v6
	v_and_b32_e32 v3, 7, v3
	v_cndmask_b32_e32 v4, v5, v4, vcc
	v_cndmask_b32_e32 v1, v1, v3, vcc
	v_lshlrev_b32_e32 v0, 24, v0
	v_bfrev_b32_e32 v3, 60
	v_lshlrev_b32_e32 v1, 20, v1
	v_and_b32_e32 v0, 0x80000000, v0
	v_lshl_add_u32 v3, v4, 23, v3
	v_or3_b32 v1, v0, v3, v1
.LBB6_15125:                            ;   in Loop: Header=BB6_14596 Depth=3
	s_or_b64 exec, exec, s[36:37]
.LBB6_15126:                            ;   in Loop: Header=BB6_14596 Depth=3
	s_or_b64 exec, exec, s[34:35]
.LBB6_15127:                            ;   in Loop: Header=BB6_14596 Depth=3
	s_or_b64 exec, exec, s[28:29]
	v_mul_f32_e32 v1, s9, v1
	v_and_b32_e32 v3, 0x7f800000, v1
	v_mov_b32_e32 v4, v51
	v_cmp_ne_u64_e32 vcc, s[76:77], v[3:4]
                                        ; implicit-def: $vgpr0
                                        ; kill: killed $vgpr0
	s_and_saveexec_b64 s[28:29], vcc
	s_xor_b64 s[34:35], exec, s[28:29]
	s_cbranch_execz .LBB6_15145
; %bb.15128:                            ;   in Loop: Header=BB6_14596 Depth=3
	v_and_b32_e32 v3, 0x7fffffff, v1
	v_mov_b32_e32 v4, v51
	v_cmp_gt_u64_e32 vcc, s[78:79], v[3:4]
	v_and_b32_sdwa v0, v1, s96 dst_sel:DWORD dst_unused:UNUSED_PAD src0_sel:BYTE_3 src1_sel:DWORD
                                        ; implicit-def: $vgpr3
                                        ; kill: killed $vgpr3
	s_and_saveexec_b64 s[28:29], vcc
	s_xor_b64 s[36:37], exec, s[28:29]
	s_cbranch_execz .LBB6_15142
; %bb.15129:                            ;   in Loop: Header=BB6_14596 Depth=3
	v_cmp_ne_u32_e32 vcc, 0, v1
	v_mov_b32_e32 v3, 0
	buffer_store_dword v3, off, s[0:3], s33 offset:136 ; 4-byte Folded Spill
	s_and_saveexec_b64 s[38:39], vcc
	s_cbranch_execz .LBB6_15141
; %bb.15130:                            ;   in Loop: Header=BB6_14596 Depth=3
	v_and_b32_e32 v4, 0x7fffff, v1
	v_bfe_u32 v1, v1, 23, 8
	v_cmp_gt_u32_e64 s[28:29], s97, v1
	v_sub_u32_e32 v3, 0x79, v1
	v_cmp_eq_u32_e32 vcc, 0, v1
	v_cndmask_b32_e64 v3, 0, v3, s[28:29]
	v_mov_b32_e32 v6, 0x78
	v_cndmask_b32_e32 v3, v3, v6, vcc
	v_add_u32_e32 v6, 20, v3
	v_or_b32_e32 v5, 0x800000, v4
	v_lshlrev_b64 v[6:7], v6, -1
	v_add_u32_e32 v16, 19, v3
	v_cndmask_b32_e32 v4, v5, v4, vcc
	v_lshlrev_b64 v[16:17], v16, 1
	v_mov_b32_e32 v5, v51
	v_bfi_b32 v7, v7, 0, 0
	v_bfi_b32 v6, v6, 0, v4
	v_cmp_eq_u64_e64 s[28:29], v[6:7], v[16:17]
	v_lshrrev_b64 v[16:17], v3, v[4:5]
	v_mov_b32_e32 v4, v16
	v_mov_b32_e32 v5, v17
	s_and_saveexec_b64 s[48:49], s[28:29]
; %bb.15131:                            ;   in Loop: Header=BB6_14596 Depth=3
	v_bfe_u32 v4, v16, 20, 1
	v_add_co_u32_e64 v4, s[28:29], v16, v4
	v_add_co_u32_e64 v4, s[28:29], -1, v4
; %bb.15132:                            ;   in Loop: Header=BB6_14596 Depth=3
	s_or_b64 exec, exec, s[48:49]
	v_add_u32_e32 v1, 0xffffff81, v1
	v_mov_b32_e32 v5, 0xffffff82
	v_cndmask_b32_e32 v1, v1, v5, vcc
	v_lshrrev_b32_e32 v5, 23, v16
	v_add3_u32 v5, v3, v1, v5
	v_add_u32_e32 v3, 6, v5
	v_and_b32_e32 v1, 0xfffff, v4
	v_add_u32_e32 v16, v1, v16
	v_mov_b32_e32 v17, v51
	v_cmp_ne_u32_e32 vcc, 0, v3
                                        ; implicit-def: $vgpr1
	s_and_saveexec_b64 s[28:29], vcc
	s_xor_b64 s[28:29], exec, s[28:29]
; %bb.15133:                            ;   in Loop: Header=BB6_14596 Depth=3
	v_cmp_lt_u64_e32 vcc, s[88:89], v[16:17]
	v_add_u32_e32 v1, 7, v5
	v_cndmask_b32_e32 v1, v3, v1, vcc
	v_cndmask_b32_e64 v3, 0, 1, vcc
	v_lshrrev_b64 v[16:17], v3, v[16:17]
; %bb.15134:                            ;   in Loop: Header=BB6_14596 Depth=3
	s_andn2_saveexec_b64 s[28:29], s[28:29]
; %bb.15135:                            ;   in Loop: Header=BB6_14596 Depth=3
	v_bfe_u32 v1, v16, 23, 1
; %bb.15136:                            ;   in Loop: Header=BB6_14596 Depth=3
	s_or_b64 exec, exec, s[28:29]
	v_lshrrev_b64 v[3:4], 20, v[16:17]
	v_cmp_gt_i32_e32 vcc, 16, v1
	v_cndmask_b32_e32 v17, 0, v4, vcc
	v_cndmask_b32_e32 v16, 7, v3, vcc
	v_cmp_ne_u64_e32 vcc, 0, v[16:17]
	v_cmp_ne_u32_e64 s[28:29], 0, v1
	s_or_b64 s[28:29], s[28:29], vcc
                                        ; implicit-def: $vgpr3
                                        ; kill: killed $vgpr3
	s_and_saveexec_b64 vcc, s[28:29]
	s_xor_b64 s[28:29], exec, vcc
	s_cbranch_execz .LBB6_15138
; %bb.15137:                            ;   in Loop: Header=BB6_14596 Depth=3
	v_min_i32_e32 v1, 15, v1
	v_lshl_or_b32 v0, v1, 3, v0
	v_and_or_b32 v0, v16, 7, v0
	buffer_store_dword v0, off, s[0:3], s33 offset:136 ; 4-byte Folded Spill
                                        ; implicit-def: $vgpr0
.LBB6_15138:                            ;   in Loop: Header=BB6_14596 Depth=3
	s_andn2_saveexec_b64 s[28:29], s[28:29]
	s_cbranch_execz .LBB6_15140
; %bb.15139:                            ;   in Loop: Header=BB6_14596 Depth=3
	buffer_store_dword v0, off, s[0:3], s33 offset:136 ; 4-byte Folded Spill
.LBB6_15140:                            ;   in Loop: Header=BB6_14596 Depth=3
	s_or_b64 exec, exec, s[28:29]
.LBB6_15141:                            ;   in Loop: Header=BB6_14596 Depth=3
	s_or_b64 exec, exec, s[38:39]
                                        ; implicit-def: $vgpr0
.LBB6_15142:                            ;   in Loop: Header=BB6_14596 Depth=3
	s_andn2_saveexec_b64 s[28:29], s[36:37]
	s_cbranch_execz .LBB6_15144
; %bb.15143:                            ;   in Loop: Header=BB6_14596 Depth=3
	v_or_b32_e32 v0, 0x7e, v0
	buffer_store_dword v0, off, s[0:3], s33 offset:136 ; 4-byte Folded Spill
.LBB6_15144:                            ;   in Loop: Header=BB6_14596 Depth=3
	s_or_b64 exec, exec, s[28:29]
                                        ; implicit-def: $vgpr1
.LBB6_15145:                            ;   in Loop: Header=BB6_14596 Depth=3
	s_andn2_saveexec_b64 s[28:29], s[34:35]
	s_cbranch_execz .LBB6_15147
; %bb.15146:                            ;   in Loop: Header=BB6_14596 Depth=3
	v_or_b32_sdwa v0, v1, s86 dst_sel:DWORD dst_unused:UNUSED_PAD src0_sel:BYTE_3 src1_sel:DWORD
	buffer_store_dword v0, off, s[0:3], s33 offset:136 ; 4-byte Folded Spill
.LBB6_15147:                            ;   in Loop: Header=BB6_14596 Depth=3
	s_or_b64 exec, exec, s[28:29]
	flat_load_ubyte v0, v[12:13] offset:1344 glc slc
	v_mov_b32_e32 v1, 0
	s_waitcnt vmcnt(0) lgkmcnt(0)
	v_cmp_ne_u16_e32 vcc, 0, v0
	s_and_saveexec_b64 s[28:29], vcc
	s_cbranch_execz .LBB6_15153
; %bb.15148:                            ;   in Loop: Header=BB6_14596 Depth=3
	v_cmp_ne_u16_e32 vcc, s96, v0
	v_bfrev_b32_e32 v1, 1
	s_and_saveexec_b64 s[34:35], vcc
	s_cbranch_execz .LBB6_15152
; %bb.15149:                            ;   in Loop: Header=BB6_14596 Depth=3
	v_and_b32_e32 v16, 0xffff, v0
	v_and_b32_e32 v3, 0x7f, v16
	v_cmp_ne_u32_e32 vcc, s86, v3
	v_mov_b32_e32 v1, 0x7f800001
	s_and_saveexec_b64 s[36:37], vcc
	s_cbranch_execz .LBB6_15151
; %bb.15150:                            ;   in Loop: Header=BB6_14596 Depth=3
	v_and_b32_e32 v1, 7, v16
	v_lshrrev_b32_e32 v5, 3, v3
	v_cmp_gt_u32_e32 vcc, 8, v3
	v_ffbh_u32_e32 v3, v1
	v_min_u32_e32 v6, 32, v3
	v_subrev_u32_e32 v3, 28, v6
	v_lshlrev_b64 v[3:4], v3, v[16:17]
	v_sub_u32_e32 v4, 29, v6
	v_and_b32_e32 v3, 7, v3
	v_cndmask_b32_e32 v4, v5, v4, vcc
	v_cndmask_b32_e32 v1, v1, v3, vcc
	v_lshlrev_b32_e32 v0, 24, v0
	v_bfrev_b32_e32 v3, 60
	v_lshlrev_b32_e32 v1, 20, v1
	v_and_b32_e32 v0, 0x80000000, v0
	v_lshl_add_u32 v3, v4, 23, v3
	v_or3_b32 v1, v0, v3, v1
.LBB6_15151:                            ;   in Loop: Header=BB6_14596 Depth=3
	s_or_b64 exec, exec, s[36:37]
.LBB6_15152:                            ;   in Loop: Header=BB6_14596 Depth=3
	s_or_b64 exec, exec, s[34:35]
.LBB6_15153:                            ;   in Loop: Header=BB6_14596 Depth=3
	s_or_b64 exec, exec, s[28:29]
	v_mul_f32_e32 v1, s9, v1
	v_and_b32_e32 v3, 0x7f800000, v1
	v_mov_b32_e32 v4, v51
	v_cmp_ne_u64_e32 vcc, s[76:77], v[3:4]
                                        ; implicit-def: $vgpr0
                                        ; kill: killed $vgpr0
	s_and_saveexec_b64 s[28:29], vcc
	s_xor_b64 s[34:35], exec, s[28:29]
	s_cbranch_execz .LBB6_15171
; %bb.15154:                            ;   in Loop: Header=BB6_14596 Depth=3
	v_and_b32_e32 v3, 0x7fffffff, v1
	v_mov_b32_e32 v4, v51
	v_cmp_gt_u64_e32 vcc, s[78:79], v[3:4]
	v_and_b32_sdwa v0, v1, s96 dst_sel:DWORD dst_unused:UNUSED_PAD src0_sel:BYTE_3 src1_sel:DWORD
                                        ; implicit-def: $vgpr3
                                        ; kill: killed $vgpr3
	s_and_saveexec_b64 s[28:29], vcc
	s_xor_b64 s[36:37], exec, s[28:29]
	s_cbranch_execz .LBB6_15168
; %bb.15155:                            ;   in Loop: Header=BB6_14596 Depth=3
	v_cmp_ne_u32_e32 vcc, 0, v1
	v_mov_b32_e32 v3, 0
	buffer_store_dword v3, off, s[0:3], s33 offset:132 ; 4-byte Folded Spill
	s_and_saveexec_b64 s[38:39], vcc
	s_cbranch_execz .LBB6_15167
; %bb.15156:                            ;   in Loop: Header=BB6_14596 Depth=3
	v_and_b32_e32 v4, 0x7fffff, v1
	v_bfe_u32 v1, v1, 23, 8
	v_cmp_gt_u32_e64 s[28:29], s97, v1
	v_sub_u32_e32 v3, 0x79, v1
	v_cmp_eq_u32_e32 vcc, 0, v1
	v_cndmask_b32_e64 v3, 0, v3, s[28:29]
	v_mov_b32_e32 v6, 0x78
	v_cndmask_b32_e32 v3, v3, v6, vcc
	v_add_u32_e32 v6, 20, v3
	v_or_b32_e32 v5, 0x800000, v4
	v_lshlrev_b64 v[6:7], v6, -1
	v_add_u32_e32 v16, 19, v3
	v_cndmask_b32_e32 v4, v5, v4, vcc
	v_lshlrev_b64 v[16:17], v16, 1
	v_mov_b32_e32 v5, v51
	v_bfi_b32 v7, v7, 0, 0
	v_bfi_b32 v6, v6, 0, v4
	v_cmp_eq_u64_e64 s[28:29], v[6:7], v[16:17]
	v_lshrrev_b64 v[16:17], v3, v[4:5]
	v_mov_b32_e32 v4, v16
	v_mov_b32_e32 v5, v17
	s_and_saveexec_b64 s[48:49], s[28:29]
; %bb.15157:                            ;   in Loop: Header=BB6_14596 Depth=3
	v_bfe_u32 v4, v16, 20, 1
	v_add_co_u32_e64 v4, s[28:29], v16, v4
	v_add_co_u32_e64 v4, s[28:29], -1, v4
; %bb.15158:                            ;   in Loop: Header=BB6_14596 Depth=3
	s_or_b64 exec, exec, s[48:49]
	v_add_u32_e32 v1, 0xffffff81, v1
	v_mov_b32_e32 v5, 0xffffff82
	v_cndmask_b32_e32 v1, v1, v5, vcc
	v_lshrrev_b32_e32 v5, 23, v16
	v_add3_u32 v5, v3, v1, v5
	v_add_u32_e32 v3, 6, v5
	v_and_b32_e32 v1, 0xfffff, v4
	v_add_u32_e32 v16, v1, v16
	v_mov_b32_e32 v17, v51
	v_cmp_ne_u32_e32 vcc, 0, v3
                                        ; implicit-def: $vgpr1
	s_and_saveexec_b64 s[28:29], vcc
	s_xor_b64 s[28:29], exec, s[28:29]
; %bb.15159:                            ;   in Loop: Header=BB6_14596 Depth=3
	v_cmp_lt_u64_e32 vcc, s[88:89], v[16:17]
	v_add_u32_e32 v1, 7, v5
	v_cndmask_b32_e32 v1, v3, v1, vcc
	v_cndmask_b32_e64 v3, 0, 1, vcc
	v_lshrrev_b64 v[16:17], v3, v[16:17]
; %bb.15160:                            ;   in Loop: Header=BB6_14596 Depth=3
	s_andn2_saveexec_b64 s[28:29], s[28:29]
; %bb.15161:                            ;   in Loop: Header=BB6_14596 Depth=3
	v_bfe_u32 v1, v16, 23, 1
; %bb.15162:                            ;   in Loop: Header=BB6_14596 Depth=3
	s_or_b64 exec, exec, s[28:29]
	v_lshrrev_b64 v[3:4], 20, v[16:17]
	v_cmp_gt_i32_e32 vcc, 16, v1
	v_cndmask_b32_e32 v17, 0, v4, vcc
	v_cndmask_b32_e32 v16, 7, v3, vcc
	v_cmp_ne_u64_e32 vcc, 0, v[16:17]
	v_cmp_ne_u32_e64 s[28:29], 0, v1
	s_or_b64 s[28:29], s[28:29], vcc
                                        ; implicit-def: $vgpr3
                                        ; kill: killed $vgpr3
	s_and_saveexec_b64 vcc, s[28:29]
	s_xor_b64 s[28:29], exec, vcc
	s_cbranch_execz .LBB6_15164
; %bb.15163:                            ;   in Loop: Header=BB6_14596 Depth=3
	v_min_i32_e32 v1, 15, v1
	v_lshl_or_b32 v0, v1, 3, v0
	v_and_or_b32 v0, v16, 7, v0
	buffer_store_dword v0, off, s[0:3], s33 offset:132 ; 4-byte Folded Spill
                                        ; implicit-def: $vgpr0
.LBB6_15164:                            ;   in Loop: Header=BB6_14596 Depth=3
	s_andn2_saveexec_b64 s[28:29], s[28:29]
	s_cbranch_execz .LBB6_15166
; %bb.15165:                            ;   in Loop: Header=BB6_14596 Depth=3
	buffer_store_dword v0, off, s[0:3], s33 offset:132 ; 4-byte Folded Spill
.LBB6_15166:                            ;   in Loop: Header=BB6_14596 Depth=3
	s_or_b64 exec, exec, s[28:29]
.LBB6_15167:                            ;   in Loop: Header=BB6_14596 Depth=3
	s_or_b64 exec, exec, s[38:39]
                                        ; implicit-def: $vgpr0
.LBB6_15168:                            ;   in Loop: Header=BB6_14596 Depth=3
	s_andn2_saveexec_b64 s[28:29], s[36:37]
	s_cbranch_execz .LBB6_15170
; %bb.15169:                            ;   in Loop: Header=BB6_14596 Depth=3
	v_or_b32_e32 v0, 0x7e, v0
	buffer_store_dword v0, off, s[0:3], s33 offset:132 ; 4-byte Folded Spill
.LBB6_15170:                            ;   in Loop: Header=BB6_14596 Depth=3
	s_or_b64 exec, exec, s[28:29]
                                        ; implicit-def: $vgpr1
.LBB6_15171:                            ;   in Loop: Header=BB6_14596 Depth=3
	s_andn2_saveexec_b64 s[28:29], s[34:35]
	s_cbranch_execz .LBB6_15173
; %bb.15172:                            ;   in Loop: Header=BB6_14596 Depth=3
	v_or_b32_sdwa v0, v1, s86 dst_sel:DWORD dst_unused:UNUSED_PAD src0_sel:BYTE_3 src1_sel:DWORD
	buffer_store_dword v0, off, s[0:3], s33 offset:132 ; 4-byte Folded Spill
.LBB6_15173:                            ;   in Loop: Header=BB6_14596 Depth=3
	s_or_b64 exec, exec, s[28:29]
	flat_load_ubyte v0, v[12:13] offset:1408 glc slc
	v_mov_b32_e32 v1, 0
	s_waitcnt vmcnt(0) lgkmcnt(0)
	v_cmp_ne_u16_e32 vcc, 0, v0
	s_and_saveexec_b64 s[28:29], vcc
	s_cbranch_execz .LBB6_15179
; %bb.15174:                            ;   in Loop: Header=BB6_14596 Depth=3
	v_cmp_ne_u16_e32 vcc, s96, v0
	v_bfrev_b32_e32 v1, 1
	s_and_saveexec_b64 s[34:35], vcc
	s_cbranch_execz .LBB6_15178
; %bb.15175:                            ;   in Loop: Header=BB6_14596 Depth=3
	v_and_b32_e32 v16, 0xffff, v0
	v_and_b32_e32 v3, 0x7f, v16
	v_cmp_ne_u32_e32 vcc, s86, v3
	v_mov_b32_e32 v1, 0x7f800001
	s_and_saveexec_b64 s[36:37], vcc
	s_cbranch_execz .LBB6_15177
; %bb.15176:                            ;   in Loop: Header=BB6_14596 Depth=3
	v_and_b32_e32 v1, 7, v16
	v_lshrrev_b32_e32 v5, 3, v3
	v_cmp_gt_u32_e32 vcc, 8, v3
	v_ffbh_u32_e32 v3, v1
	v_min_u32_e32 v6, 32, v3
	v_subrev_u32_e32 v3, 28, v6
	v_lshlrev_b64 v[3:4], v3, v[16:17]
	v_sub_u32_e32 v4, 29, v6
	v_and_b32_e32 v3, 7, v3
	v_cndmask_b32_e32 v4, v5, v4, vcc
	v_cndmask_b32_e32 v1, v1, v3, vcc
	v_lshlrev_b32_e32 v0, 24, v0
	v_bfrev_b32_e32 v3, 60
	v_lshlrev_b32_e32 v1, 20, v1
	v_and_b32_e32 v0, 0x80000000, v0
	v_lshl_add_u32 v3, v4, 23, v3
	v_or3_b32 v1, v0, v3, v1
.LBB6_15177:                            ;   in Loop: Header=BB6_14596 Depth=3
	s_or_b64 exec, exec, s[36:37]
.LBB6_15178:                            ;   in Loop: Header=BB6_14596 Depth=3
	s_or_b64 exec, exec, s[34:35]
.LBB6_15179:                            ;   in Loop: Header=BB6_14596 Depth=3
	s_or_b64 exec, exec, s[28:29]
	v_mul_f32_e32 v1, s9, v1
	v_and_b32_e32 v3, 0x7f800000, v1
	v_mov_b32_e32 v4, v51
	v_cmp_ne_u64_e32 vcc, s[76:77], v[3:4]
                                        ; implicit-def: $vgpr0
                                        ; kill: killed $vgpr0
	s_and_saveexec_b64 s[28:29], vcc
	s_xor_b64 s[34:35], exec, s[28:29]
	s_cbranch_execz .LBB6_15197
; %bb.15180:                            ;   in Loop: Header=BB6_14596 Depth=3
	v_and_b32_e32 v3, 0x7fffffff, v1
	v_mov_b32_e32 v4, v51
	v_cmp_gt_u64_e32 vcc, s[78:79], v[3:4]
	v_and_b32_sdwa v0, v1, s96 dst_sel:DWORD dst_unused:UNUSED_PAD src0_sel:BYTE_3 src1_sel:DWORD
                                        ; implicit-def: $vgpr3
                                        ; kill: killed $vgpr3
	s_and_saveexec_b64 s[28:29], vcc
	s_xor_b64 s[36:37], exec, s[28:29]
	s_cbranch_execz .LBB6_15194
; %bb.15181:                            ;   in Loop: Header=BB6_14596 Depth=3
	v_cmp_ne_u32_e32 vcc, 0, v1
	v_mov_b32_e32 v3, 0
	buffer_store_dword v3, off, s[0:3], s33 offset:128 ; 4-byte Folded Spill
	s_and_saveexec_b64 s[38:39], vcc
	s_cbranch_execz .LBB6_15193
; %bb.15182:                            ;   in Loop: Header=BB6_14596 Depth=3
	v_and_b32_e32 v4, 0x7fffff, v1
	v_bfe_u32 v1, v1, 23, 8
	v_cmp_gt_u32_e64 s[28:29], s97, v1
	v_sub_u32_e32 v3, 0x79, v1
	v_cmp_eq_u32_e32 vcc, 0, v1
	v_cndmask_b32_e64 v3, 0, v3, s[28:29]
	v_mov_b32_e32 v6, 0x78
	v_cndmask_b32_e32 v3, v3, v6, vcc
	v_add_u32_e32 v6, 20, v3
	v_or_b32_e32 v5, 0x800000, v4
	v_lshlrev_b64 v[6:7], v6, -1
	v_add_u32_e32 v16, 19, v3
	v_cndmask_b32_e32 v4, v5, v4, vcc
	v_lshlrev_b64 v[16:17], v16, 1
	v_mov_b32_e32 v5, v51
	v_bfi_b32 v7, v7, 0, 0
	v_bfi_b32 v6, v6, 0, v4
	v_cmp_eq_u64_e64 s[28:29], v[6:7], v[16:17]
	v_lshrrev_b64 v[16:17], v3, v[4:5]
	v_mov_b32_e32 v4, v16
	v_mov_b32_e32 v5, v17
	s_and_saveexec_b64 s[48:49], s[28:29]
; %bb.15183:                            ;   in Loop: Header=BB6_14596 Depth=3
	v_bfe_u32 v4, v16, 20, 1
	v_add_co_u32_e64 v4, s[28:29], v16, v4
	v_add_co_u32_e64 v4, s[28:29], -1, v4
; %bb.15184:                            ;   in Loop: Header=BB6_14596 Depth=3
	s_or_b64 exec, exec, s[48:49]
	v_add_u32_e32 v1, 0xffffff81, v1
	v_mov_b32_e32 v5, 0xffffff82
	v_cndmask_b32_e32 v1, v1, v5, vcc
	v_lshrrev_b32_e32 v5, 23, v16
	v_add3_u32 v5, v3, v1, v5
	v_add_u32_e32 v3, 6, v5
	v_and_b32_e32 v1, 0xfffff, v4
	v_add_u32_e32 v16, v1, v16
	v_mov_b32_e32 v17, v51
	v_cmp_ne_u32_e32 vcc, 0, v3
                                        ; implicit-def: $vgpr1
	s_and_saveexec_b64 s[28:29], vcc
	s_xor_b64 s[28:29], exec, s[28:29]
; %bb.15185:                            ;   in Loop: Header=BB6_14596 Depth=3
	v_cmp_lt_u64_e32 vcc, s[88:89], v[16:17]
	v_add_u32_e32 v1, 7, v5
	v_cndmask_b32_e32 v1, v3, v1, vcc
	v_cndmask_b32_e64 v3, 0, 1, vcc
	v_lshrrev_b64 v[16:17], v3, v[16:17]
; %bb.15186:                            ;   in Loop: Header=BB6_14596 Depth=3
	s_andn2_saveexec_b64 s[28:29], s[28:29]
; %bb.15187:                            ;   in Loop: Header=BB6_14596 Depth=3
	v_bfe_u32 v1, v16, 23, 1
; %bb.15188:                            ;   in Loop: Header=BB6_14596 Depth=3
	s_or_b64 exec, exec, s[28:29]
	v_lshrrev_b64 v[3:4], 20, v[16:17]
	v_cmp_gt_i32_e32 vcc, 16, v1
	v_cndmask_b32_e32 v17, 0, v4, vcc
	v_cndmask_b32_e32 v16, 7, v3, vcc
	v_cmp_ne_u64_e32 vcc, 0, v[16:17]
	v_cmp_ne_u32_e64 s[28:29], 0, v1
	s_or_b64 s[28:29], s[28:29], vcc
                                        ; implicit-def: $vgpr3
                                        ; kill: killed $vgpr3
	s_and_saveexec_b64 vcc, s[28:29]
	s_xor_b64 s[28:29], exec, vcc
	s_cbranch_execz .LBB6_15190
; %bb.15189:                            ;   in Loop: Header=BB6_14596 Depth=3
	v_min_i32_e32 v1, 15, v1
	v_lshl_or_b32 v0, v1, 3, v0
	v_and_or_b32 v0, v16, 7, v0
	buffer_store_dword v0, off, s[0:3], s33 offset:128 ; 4-byte Folded Spill
                                        ; implicit-def: $vgpr0
.LBB6_15190:                            ;   in Loop: Header=BB6_14596 Depth=3
	s_andn2_saveexec_b64 s[28:29], s[28:29]
	s_cbranch_execz .LBB6_15192
; %bb.15191:                            ;   in Loop: Header=BB6_14596 Depth=3
	buffer_store_dword v0, off, s[0:3], s33 offset:128 ; 4-byte Folded Spill
.LBB6_15192:                            ;   in Loop: Header=BB6_14596 Depth=3
	s_or_b64 exec, exec, s[28:29]
.LBB6_15193:                            ;   in Loop: Header=BB6_14596 Depth=3
	s_or_b64 exec, exec, s[38:39]
                                        ; implicit-def: $vgpr0
.LBB6_15194:                            ;   in Loop: Header=BB6_14596 Depth=3
	s_andn2_saveexec_b64 s[28:29], s[36:37]
	s_cbranch_execz .LBB6_15196
; %bb.15195:                            ;   in Loop: Header=BB6_14596 Depth=3
	v_or_b32_e32 v0, 0x7e, v0
	buffer_store_dword v0, off, s[0:3], s33 offset:128 ; 4-byte Folded Spill
.LBB6_15196:                            ;   in Loop: Header=BB6_14596 Depth=3
	s_or_b64 exec, exec, s[28:29]
                                        ; implicit-def: $vgpr1
.LBB6_15197:                            ;   in Loop: Header=BB6_14596 Depth=3
	s_andn2_saveexec_b64 s[28:29], s[34:35]
	s_cbranch_execz .LBB6_15199
; %bb.15198:                            ;   in Loop: Header=BB6_14596 Depth=3
	v_or_b32_sdwa v0, v1, s86 dst_sel:DWORD dst_unused:UNUSED_PAD src0_sel:BYTE_3 src1_sel:DWORD
	buffer_store_dword v0, off, s[0:3], s33 offset:128 ; 4-byte Folded Spill
.LBB6_15199:                            ;   in Loop: Header=BB6_14596 Depth=3
	s_or_b64 exec, exec, s[28:29]
	flat_load_ubyte v0, v[12:13] offset:1472 glc slc
	v_mov_b32_e32 v1, 0
	s_waitcnt vmcnt(0) lgkmcnt(0)
	v_cmp_ne_u16_e32 vcc, 0, v0
	s_and_saveexec_b64 s[28:29], vcc
	s_cbranch_execz .LBB6_15205
; %bb.15200:                            ;   in Loop: Header=BB6_14596 Depth=3
	v_cmp_ne_u16_e32 vcc, s96, v0
	v_bfrev_b32_e32 v1, 1
	s_and_saveexec_b64 s[34:35], vcc
	s_cbranch_execz .LBB6_15204
; %bb.15201:                            ;   in Loop: Header=BB6_14596 Depth=3
	v_and_b32_e32 v16, 0xffff, v0
	v_and_b32_e32 v3, 0x7f, v16
	v_cmp_ne_u32_e32 vcc, s86, v3
	v_mov_b32_e32 v1, 0x7f800001
	s_and_saveexec_b64 s[36:37], vcc
	s_cbranch_execz .LBB6_15203
; %bb.15202:                            ;   in Loop: Header=BB6_14596 Depth=3
	v_and_b32_e32 v1, 7, v16
	v_lshrrev_b32_e32 v5, 3, v3
	v_cmp_gt_u32_e32 vcc, 8, v3
	v_ffbh_u32_e32 v3, v1
	v_min_u32_e32 v6, 32, v3
	v_subrev_u32_e32 v3, 28, v6
	v_lshlrev_b64 v[3:4], v3, v[16:17]
	v_sub_u32_e32 v4, 29, v6
	v_and_b32_e32 v3, 7, v3
	v_cndmask_b32_e32 v4, v5, v4, vcc
	v_cndmask_b32_e32 v1, v1, v3, vcc
	v_lshlrev_b32_e32 v0, 24, v0
	v_bfrev_b32_e32 v3, 60
	v_lshlrev_b32_e32 v1, 20, v1
	v_and_b32_e32 v0, 0x80000000, v0
	v_lshl_add_u32 v3, v4, 23, v3
	v_or3_b32 v1, v0, v3, v1
.LBB6_15203:                            ;   in Loop: Header=BB6_14596 Depth=3
	s_or_b64 exec, exec, s[36:37]
.LBB6_15204:                            ;   in Loop: Header=BB6_14596 Depth=3
	s_or_b64 exec, exec, s[34:35]
.LBB6_15205:                            ;   in Loop: Header=BB6_14596 Depth=3
	s_or_b64 exec, exec, s[28:29]
	v_mul_f32_e32 v1, s9, v1
	v_and_b32_e32 v3, 0x7f800000, v1
	v_mov_b32_e32 v4, v51
	v_cmp_ne_u64_e32 vcc, s[76:77], v[3:4]
                                        ; implicit-def: $vgpr0
                                        ; kill: killed $vgpr0
	s_and_saveexec_b64 s[28:29], vcc
	s_xor_b64 s[34:35], exec, s[28:29]
	s_cbranch_execz .LBB6_15223
; %bb.15206:                            ;   in Loop: Header=BB6_14596 Depth=3
	v_and_b32_e32 v3, 0x7fffffff, v1
	v_mov_b32_e32 v4, v51
	v_cmp_gt_u64_e32 vcc, s[78:79], v[3:4]
	v_and_b32_sdwa v0, v1, s96 dst_sel:DWORD dst_unused:UNUSED_PAD src0_sel:BYTE_3 src1_sel:DWORD
                                        ; implicit-def: $vgpr3
                                        ; kill: killed $vgpr3
	s_and_saveexec_b64 s[28:29], vcc
	s_xor_b64 s[36:37], exec, s[28:29]
	s_cbranch_execz .LBB6_15220
; %bb.15207:                            ;   in Loop: Header=BB6_14596 Depth=3
	v_cmp_ne_u32_e32 vcc, 0, v1
	v_mov_b32_e32 v3, 0
	buffer_store_dword v3, off, s[0:3], s33 offset:124 ; 4-byte Folded Spill
	s_and_saveexec_b64 s[38:39], vcc
	s_cbranch_execz .LBB6_15219
; %bb.15208:                            ;   in Loop: Header=BB6_14596 Depth=3
	v_and_b32_e32 v4, 0x7fffff, v1
	v_bfe_u32 v1, v1, 23, 8
	v_cmp_gt_u32_e64 s[28:29], s97, v1
	v_sub_u32_e32 v3, 0x79, v1
	v_cmp_eq_u32_e32 vcc, 0, v1
	v_cndmask_b32_e64 v3, 0, v3, s[28:29]
	v_mov_b32_e32 v6, 0x78
	v_cndmask_b32_e32 v3, v3, v6, vcc
	v_add_u32_e32 v6, 20, v3
	v_or_b32_e32 v5, 0x800000, v4
	v_lshlrev_b64 v[6:7], v6, -1
	v_add_u32_e32 v16, 19, v3
	v_cndmask_b32_e32 v4, v5, v4, vcc
	v_lshlrev_b64 v[16:17], v16, 1
	v_mov_b32_e32 v5, v51
	v_bfi_b32 v7, v7, 0, 0
	v_bfi_b32 v6, v6, 0, v4
	v_cmp_eq_u64_e64 s[28:29], v[6:7], v[16:17]
	v_lshrrev_b64 v[16:17], v3, v[4:5]
	v_mov_b32_e32 v4, v16
	v_mov_b32_e32 v5, v17
	s_and_saveexec_b64 s[48:49], s[28:29]
; %bb.15209:                            ;   in Loop: Header=BB6_14596 Depth=3
	v_bfe_u32 v4, v16, 20, 1
	v_add_co_u32_e64 v4, s[28:29], v16, v4
	v_add_co_u32_e64 v4, s[28:29], -1, v4
; %bb.15210:                            ;   in Loop: Header=BB6_14596 Depth=3
	s_or_b64 exec, exec, s[48:49]
	v_add_u32_e32 v1, 0xffffff81, v1
	v_mov_b32_e32 v5, 0xffffff82
	v_cndmask_b32_e32 v1, v1, v5, vcc
	v_lshrrev_b32_e32 v5, 23, v16
	v_add3_u32 v5, v3, v1, v5
	v_add_u32_e32 v3, 6, v5
	v_and_b32_e32 v1, 0xfffff, v4
	v_add_u32_e32 v16, v1, v16
	v_mov_b32_e32 v17, v51
	v_cmp_ne_u32_e32 vcc, 0, v3
                                        ; implicit-def: $vgpr1
	s_and_saveexec_b64 s[28:29], vcc
	s_xor_b64 s[28:29], exec, s[28:29]
; %bb.15211:                            ;   in Loop: Header=BB6_14596 Depth=3
	v_cmp_lt_u64_e32 vcc, s[88:89], v[16:17]
	v_add_u32_e32 v1, 7, v5
	v_cndmask_b32_e32 v1, v3, v1, vcc
	v_cndmask_b32_e64 v3, 0, 1, vcc
	v_lshrrev_b64 v[16:17], v3, v[16:17]
; %bb.15212:                            ;   in Loop: Header=BB6_14596 Depth=3
	s_andn2_saveexec_b64 s[28:29], s[28:29]
; %bb.15213:                            ;   in Loop: Header=BB6_14596 Depth=3
	v_bfe_u32 v1, v16, 23, 1
; %bb.15214:                            ;   in Loop: Header=BB6_14596 Depth=3
	s_or_b64 exec, exec, s[28:29]
	v_lshrrev_b64 v[3:4], 20, v[16:17]
	v_cmp_gt_i32_e32 vcc, 16, v1
	v_cndmask_b32_e32 v17, 0, v4, vcc
	v_cndmask_b32_e32 v16, 7, v3, vcc
	v_cmp_ne_u64_e32 vcc, 0, v[16:17]
	v_cmp_ne_u32_e64 s[28:29], 0, v1
	s_or_b64 s[28:29], s[28:29], vcc
                                        ; implicit-def: $vgpr3
                                        ; kill: killed $vgpr3
	s_and_saveexec_b64 vcc, s[28:29]
	s_xor_b64 s[28:29], exec, vcc
	s_cbranch_execz .LBB6_15216
; %bb.15215:                            ;   in Loop: Header=BB6_14596 Depth=3
	v_min_i32_e32 v1, 15, v1
	v_lshl_or_b32 v0, v1, 3, v0
	v_and_or_b32 v0, v16, 7, v0
	buffer_store_dword v0, off, s[0:3], s33 offset:124 ; 4-byte Folded Spill
                                        ; implicit-def: $vgpr0
.LBB6_15216:                            ;   in Loop: Header=BB6_14596 Depth=3
	s_andn2_saveexec_b64 s[28:29], s[28:29]
	s_cbranch_execz .LBB6_15218
; %bb.15217:                            ;   in Loop: Header=BB6_14596 Depth=3
	buffer_store_dword v0, off, s[0:3], s33 offset:124 ; 4-byte Folded Spill
.LBB6_15218:                            ;   in Loop: Header=BB6_14596 Depth=3
	s_or_b64 exec, exec, s[28:29]
.LBB6_15219:                            ;   in Loop: Header=BB6_14596 Depth=3
	s_or_b64 exec, exec, s[38:39]
                                        ; implicit-def: $vgpr0
.LBB6_15220:                            ;   in Loop: Header=BB6_14596 Depth=3
	s_andn2_saveexec_b64 s[28:29], s[36:37]
	s_cbranch_execz .LBB6_15222
; %bb.15221:                            ;   in Loop: Header=BB6_14596 Depth=3
	v_or_b32_e32 v0, 0x7e, v0
	buffer_store_dword v0, off, s[0:3], s33 offset:124 ; 4-byte Folded Spill
.LBB6_15222:                            ;   in Loop: Header=BB6_14596 Depth=3
	s_or_b64 exec, exec, s[28:29]
                                        ; implicit-def: $vgpr1
.LBB6_15223:                            ;   in Loop: Header=BB6_14596 Depth=3
	s_andn2_saveexec_b64 s[28:29], s[34:35]
	s_cbranch_execz .LBB6_15225
; %bb.15224:                            ;   in Loop: Header=BB6_14596 Depth=3
	v_or_b32_sdwa v0, v1, s86 dst_sel:DWORD dst_unused:UNUSED_PAD src0_sel:BYTE_3 src1_sel:DWORD
	buffer_store_dword v0, off, s[0:3], s33 offset:124 ; 4-byte Folded Spill
.LBB6_15225:                            ;   in Loop: Header=BB6_14596 Depth=3
	s_or_b64 exec, exec, s[28:29]
	flat_load_ubyte v0, v[12:13] offset:1536 glc slc
	v_mov_b32_e32 v1, 0
	s_waitcnt vmcnt(0) lgkmcnt(0)
	v_cmp_ne_u16_e32 vcc, 0, v0
	s_and_saveexec_b64 s[28:29], vcc
	s_cbranch_execz .LBB6_15231
; %bb.15226:                            ;   in Loop: Header=BB6_14596 Depth=3
	v_cmp_ne_u16_e32 vcc, s96, v0
	v_bfrev_b32_e32 v1, 1
	s_and_saveexec_b64 s[34:35], vcc
	s_cbranch_execz .LBB6_15230
; %bb.15227:                            ;   in Loop: Header=BB6_14596 Depth=3
	v_and_b32_e32 v16, 0xffff, v0
	v_and_b32_e32 v3, 0x7f, v16
	v_cmp_ne_u32_e32 vcc, s86, v3
	v_mov_b32_e32 v1, 0x7f800001
	s_and_saveexec_b64 s[36:37], vcc
	s_cbranch_execz .LBB6_15229
; %bb.15228:                            ;   in Loop: Header=BB6_14596 Depth=3
	v_and_b32_e32 v1, 7, v16
	v_lshrrev_b32_e32 v5, 3, v3
	v_cmp_gt_u32_e32 vcc, 8, v3
	v_ffbh_u32_e32 v3, v1
	v_min_u32_e32 v6, 32, v3
	v_subrev_u32_e32 v3, 28, v6
	v_lshlrev_b64 v[3:4], v3, v[16:17]
	v_sub_u32_e32 v4, 29, v6
	v_and_b32_e32 v3, 7, v3
	v_cndmask_b32_e32 v4, v5, v4, vcc
	v_cndmask_b32_e32 v1, v1, v3, vcc
	v_lshlrev_b32_e32 v0, 24, v0
	v_bfrev_b32_e32 v3, 60
	v_lshlrev_b32_e32 v1, 20, v1
	v_and_b32_e32 v0, 0x80000000, v0
	v_lshl_add_u32 v3, v4, 23, v3
	v_or3_b32 v1, v0, v3, v1
.LBB6_15229:                            ;   in Loop: Header=BB6_14596 Depth=3
	s_or_b64 exec, exec, s[36:37]
.LBB6_15230:                            ;   in Loop: Header=BB6_14596 Depth=3
	s_or_b64 exec, exec, s[34:35]
.LBB6_15231:                            ;   in Loop: Header=BB6_14596 Depth=3
	s_or_b64 exec, exec, s[28:29]
	v_mul_f32_e32 v1, s9, v1
	v_and_b32_e32 v3, 0x7f800000, v1
	v_mov_b32_e32 v4, v51
	v_cmp_ne_u64_e32 vcc, s[76:77], v[3:4]
                                        ; implicit-def: $vgpr0
                                        ; kill: killed $vgpr0
	s_and_saveexec_b64 s[28:29], vcc
	s_xor_b64 s[34:35], exec, s[28:29]
	s_cbranch_execz .LBB6_15249
; %bb.15232:                            ;   in Loop: Header=BB6_14596 Depth=3
	v_and_b32_e32 v3, 0x7fffffff, v1
	v_mov_b32_e32 v4, v51
	v_cmp_gt_u64_e32 vcc, s[78:79], v[3:4]
	v_and_b32_sdwa v0, v1, s96 dst_sel:DWORD dst_unused:UNUSED_PAD src0_sel:BYTE_3 src1_sel:DWORD
                                        ; implicit-def: $vgpr3
                                        ; kill: killed $vgpr3
	s_and_saveexec_b64 s[28:29], vcc
	s_xor_b64 s[36:37], exec, s[28:29]
	s_cbranch_execz .LBB6_15246
; %bb.15233:                            ;   in Loop: Header=BB6_14596 Depth=3
	v_cmp_ne_u32_e32 vcc, 0, v1
	v_mov_b32_e32 v3, 0
	buffer_store_dword v3, off, s[0:3], s33 offset:120 ; 4-byte Folded Spill
	s_and_saveexec_b64 s[38:39], vcc
	s_cbranch_execz .LBB6_15245
; %bb.15234:                            ;   in Loop: Header=BB6_14596 Depth=3
	v_and_b32_e32 v4, 0x7fffff, v1
	v_bfe_u32 v1, v1, 23, 8
	v_cmp_gt_u32_e64 s[28:29], s97, v1
	v_sub_u32_e32 v3, 0x79, v1
	v_cmp_eq_u32_e32 vcc, 0, v1
	v_cndmask_b32_e64 v3, 0, v3, s[28:29]
	v_mov_b32_e32 v6, 0x78
	v_cndmask_b32_e32 v3, v3, v6, vcc
	v_add_u32_e32 v6, 20, v3
	v_or_b32_e32 v5, 0x800000, v4
	v_lshlrev_b64 v[6:7], v6, -1
	v_add_u32_e32 v16, 19, v3
	v_cndmask_b32_e32 v4, v5, v4, vcc
	v_lshlrev_b64 v[16:17], v16, 1
	v_mov_b32_e32 v5, v51
	v_bfi_b32 v7, v7, 0, 0
	v_bfi_b32 v6, v6, 0, v4
	v_cmp_eq_u64_e64 s[28:29], v[6:7], v[16:17]
	v_lshrrev_b64 v[16:17], v3, v[4:5]
	v_mov_b32_e32 v4, v16
	v_mov_b32_e32 v5, v17
	s_and_saveexec_b64 s[48:49], s[28:29]
; %bb.15235:                            ;   in Loop: Header=BB6_14596 Depth=3
	v_bfe_u32 v4, v16, 20, 1
	v_add_co_u32_e64 v4, s[28:29], v16, v4
	v_add_co_u32_e64 v4, s[28:29], -1, v4
; %bb.15236:                            ;   in Loop: Header=BB6_14596 Depth=3
	s_or_b64 exec, exec, s[48:49]
	v_add_u32_e32 v1, 0xffffff81, v1
	v_mov_b32_e32 v5, 0xffffff82
	v_cndmask_b32_e32 v1, v1, v5, vcc
	v_lshrrev_b32_e32 v5, 23, v16
	v_add3_u32 v5, v3, v1, v5
	v_add_u32_e32 v3, 6, v5
	v_and_b32_e32 v1, 0xfffff, v4
	v_add_u32_e32 v16, v1, v16
	v_mov_b32_e32 v17, v51
	v_cmp_ne_u32_e32 vcc, 0, v3
                                        ; implicit-def: $vgpr1
	s_and_saveexec_b64 s[28:29], vcc
	s_xor_b64 s[28:29], exec, s[28:29]
; %bb.15237:                            ;   in Loop: Header=BB6_14596 Depth=3
	v_cmp_lt_u64_e32 vcc, s[88:89], v[16:17]
	v_add_u32_e32 v1, 7, v5
	v_cndmask_b32_e32 v1, v3, v1, vcc
	v_cndmask_b32_e64 v3, 0, 1, vcc
	v_lshrrev_b64 v[16:17], v3, v[16:17]
; %bb.15238:                            ;   in Loop: Header=BB6_14596 Depth=3
	s_andn2_saveexec_b64 s[28:29], s[28:29]
; %bb.15239:                            ;   in Loop: Header=BB6_14596 Depth=3
	v_bfe_u32 v1, v16, 23, 1
; %bb.15240:                            ;   in Loop: Header=BB6_14596 Depth=3
	s_or_b64 exec, exec, s[28:29]
	v_lshrrev_b64 v[3:4], 20, v[16:17]
	v_cmp_gt_i32_e32 vcc, 16, v1
	v_cndmask_b32_e32 v17, 0, v4, vcc
	v_cndmask_b32_e32 v16, 7, v3, vcc
	v_cmp_ne_u64_e32 vcc, 0, v[16:17]
	v_cmp_ne_u32_e64 s[28:29], 0, v1
	s_or_b64 s[28:29], s[28:29], vcc
                                        ; implicit-def: $vgpr3
                                        ; kill: killed $vgpr3
	s_and_saveexec_b64 vcc, s[28:29]
	s_xor_b64 s[28:29], exec, vcc
	s_cbranch_execz .LBB6_15242
; %bb.15241:                            ;   in Loop: Header=BB6_14596 Depth=3
	v_min_i32_e32 v1, 15, v1
	v_lshl_or_b32 v0, v1, 3, v0
	v_and_or_b32 v0, v16, 7, v0
	buffer_store_dword v0, off, s[0:3], s33 offset:120 ; 4-byte Folded Spill
                                        ; implicit-def: $vgpr0
.LBB6_15242:                            ;   in Loop: Header=BB6_14596 Depth=3
	s_andn2_saveexec_b64 s[28:29], s[28:29]
	s_cbranch_execz .LBB6_15244
; %bb.15243:                            ;   in Loop: Header=BB6_14596 Depth=3
	buffer_store_dword v0, off, s[0:3], s33 offset:120 ; 4-byte Folded Spill
.LBB6_15244:                            ;   in Loop: Header=BB6_14596 Depth=3
	s_or_b64 exec, exec, s[28:29]
.LBB6_15245:                            ;   in Loop: Header=BB6_14596 Depth=3
	s_or_b64 exec, exec, s[38:39]
                                        ; implicit-def: $vgpr0
.LBB6_15246:                            ;   in Loop: Header=BB6_14596 Depth=3
	s_andn2_saveexec_b64 s[28:29], s[36:37]
	s_cbranch_execz .LBB6_15248
; %bb.15247:                            ;   in Loop: Header=BB6_14596 Depth=3
	v_or_b32_e32 v0, 0x7e, v0
	buffer_store_dword v0, off, s[0:3], s33 offset:120 ; 4-byte Folded Spill
.LBB6_15248:                            ;   in Loop: Header=BB6_14596 Depth=3
	s_or_b64 exec, exec, s[28:29]
                                        ; implicit-def: $vgpr1
.LBB6_15249:                            ;   in Loop: Header=BB6_14596 Depth=3
	s_andn2_saveexec_b64 s[28:29], s[34:35]
	s_cbranch_execz .LBB6_15251
; %bb.15250:                            ;   in Loop: Header=BB6_14596 Depth=3
	v_or_b32_sdwa v0, v1, s86 dst_sel:DWORD dst_unused:UNUSED_PAD src0_sel:BYTE_3 src1_sel:DWORD
	buffer_store_dword v0, off, s[0:3], s33 offset:120 ; 4-byte Folded Spill
.LBB6_15251:                            ;   in Loop: Header=BB6_14596 Depth=3
	s_or_b64 exec, exec, s[28:29]
	flat_load_ubyte v0, v[12:13] offset:1600 glc slc
	v_mov_b32_e32 v1, 0
	s_waitcnt vmcnt(0) lgkmcnt(0)
	v_cmp_ne_u16_e32 vcc, 0, v0
	s_and_saveexec_b64 s[28:29], vcc
	s_cbranch_execz .LBB6_15257
; %bb.15252:                            ;   in Loop: Header=BB6_14596 Depth=3
	v_cmp_ne_u16_e32 vcc, s96, v0
	v_bfrev_b32_e32 v1, 1
	s_and_saveexec_b64 s[34:35], vcc
	s_cbranch_execz .LBB6_15256
; %bb.15253:                            ;   in Loop: Header=BB6_14596 Depth=3
	v_and_b32_e32 v16, 0xffff, v0
	v_and_b32_e32 v3, 0x7f, v16
	v_cmp_ne_u32_e32 vcc, s86, v3
	v_mov_b32_e32 v1, 0x7f800001
	s_and_saveexec_b64 s[36:37], vcc
	s_cbranch_execz .LBB6_15255
; %bb.15254:                            ;   in Loop: Header=BB6_14596 Depth=3
	v_and_b32_e32 v1, 7, v16
	v_lshrrev_b32_e32 v5, 3, v3
	v_cmp_gt_u32_e32 vcc, 8, v3
	v_ffbh_u32_e32 v3, v1
	v_min_u32_e32 v6, 32, v3
	v_subrev_u32_e32 v3, 28, v6
	v_lshlrev_b64 v[3:4], v3, v[16:17]
	v_sub_u32_e32 v4, 29, v6
	v_and_b32_e32 v3, 7, v3
	v_cndmask_b32_e32 v4, v5, v4, vcc
	v_cndmask_b32_e32 v1, v1, v3, vcc
	v_lshlrev_b32_e32 v0, 24, v0
	v_bfrev_b32_e32 v3, 60
	v_lshlrev_b32_e32 v1, 20, v1
	v_and_b32_e32 v0, 0x80000000, v0
	v_lshl_add_u32 v3, v4, 23, v3
	v_or3_b32 v1, v0, v3, v1
.LBB6_15255:                            ;   in Loop: Header=BB6_14596 Depth=3
	s_or_b64 exec, exec, s[36:37]
.LBB6_15256:                            ;   in Loop: Header=BB6_14596 Depth=3
	s_or_b64 exec, exec, s[34:35]
.LBB6_15257:                            ;   in Loop: Header=BB6_14596 Depth=3
	s_or_b64 exec, exec, s[28:29]
	v_mul_f32_e32 v1, s9, v1
	v_and_b32_e32 v3, 0x7f800000, v1
	v_mov_b32_e32 v4, v51
	v_cmp_ne_u64_e32 vcc, s[76:77], v[3:4]
                                        ; implicit-def: $vgpr0
                                        ; kill: killed $vgpr0
	s_and_saveexec_b64 s[28:29], vcc
	s_xor_b64 s[34:35], exec, s[28:29]
	s_cbranch_execz .LBB6_15275
; %bb.15258:                            ;   in Loop: Header=BB6_14596 Depth=3
	v_and_b32_e32 v3, 0x7fffffff, v1
	v_mov_b32_e32 v4, v51
	v_cmp_gt_u64_e32 vcc, s[78:79], v[3:4]
	v_and_b32_sdwa v0, v1, s96 dst_sel:DWORD dst_unused:UNUSED_PAD src0_sel:BYTE_3 src1_sel:DWORD
                                        ; implicit-def: $vgpr3
                                        ; kill: killed $vgpr3
	s_and_saveexec_b64 s[28:29], vcc
	s_xor_b64 s[36:37], exec, s[28:29]
	s_cbranch_execz .LBB6_15272
; %bb.15259:                            ;   in Loop: Header=BB6_14596 Depth=3
	v_cmp_ne_u32_e32 vcc, 0, v1
	v_mov_b32_e32 v3, 0
	buffer_store_dword v3, off, s[0:3], s33 offset:116 ; 4-byte Folded Spill
	s_and_saveexec_b64 s[38:39], vcc
	s_cbranch_execz .LBB6_15271
; %bb.15260:                            ;   in Loop: Header=BB6_14596 Depth=3
	v_and_b32_e32 v4, 0x7fffff, v1
	v_bfe_u32 v1, v1, 23, 8
	v_cmp_gt_u32_e64 s[28:29], s97, v1
	v_sub_u32_e32 v3, 0x79, v1
	v_cmp_eq_u32_e32 vcc, 0, v1
	v_cndmask_b32_e64 v3, 0, v3, s[28:29]
	v_mov_b32_e32 v6, 0x78
	v_cndmask_b32_e32 v3, v3, v6, vcc
	v_add_u32_e32 v6, 20, v3
	v_or_b32_e32 v5, 0x800000, v4
	v_lshlrev_b64 v[6:7], v6, -1
	v_add_u32_e32 v16, 19, v3
	v_cndmask_b32_e32 v4, v5, v4, vcc
	v_lshlrev_b64 v[16:17], v16, 1
	v_mov_b32_e32 v5, v51
	v_bfi_b32 v7, v7, 0, 0
	v_bfi_b32 v6, v6, 0, v4
	v_cmp_eq_u64_e64 s[28:29], v[6:7], v[16:17]
	v_lshrrev_b64 v[16:17], v3, v[4:5]
	v_mov_b32_e32 v4, v16
	v_mov_b32_e32 v5, v17
	s_and_saveexec_b64 s[48:49], s[28:29]
; %bb.15261:                            ;   in Loop: Header=BB6_14596 Depth=3
	v_bfe_u32 v4, v16, 20, 1
	v_add_co_u32_e64 v4, s[28:29], v16, v4
	v_add_co_u32_e64 v4, s[28:29], -1, v4
; %bb.15262:                            ;   in Loop: Header=BB6_14596 Depth=3
	s_or_b64 exec, exec, s[48:49]
	v_add_u32_e32 v1, 0xffffff81, v1
	v_mov_b32_e32 v5, 0xffffff82
	v_cndmask_b32_e32 v1, v1, v5, vcc
	v_lshrrev_b32_e32 v5, 23, v16
	v_add3_u32 v5, v3, v1, v5
	v_add_u32_e32 v3, 6, v5
	v_and_b32_e32 v1, 0xfffff, v4
	v_add_u32_e32 v16, v1, v16
	v_mov_b32_e32 v17, v51
	v_cmp_ne_u32_e32 vcc, 0, v3
                                        ; implicit-def: $vgpr1
	s_and_saveexec_b64 s[28:29], vcc
	s_xor_b64 s[28:29], exec, s[28:29]
; %bb.15263:                            ;   in Loop: Header=BB6_14596 Depth=3
	v_cmp_lt_u64_e32 vcc, s[88:89], v[16:17]
	v_add_u32_e32 v1, 7, v5
	v_cndmask_b32_e32 v1, v3, v1, vcc
	v_cndmask_b32_e64 v3, 0, 1, vcc
	v_lshrrev_b64 v[16:17], v3, v[16:17]
; %bb.15264:                            ;   in Loop: Header=BB6_14596 Depth=3
	s_andn2_saveexec_b64 s[28:29], s[28:29]
; %bb.15265:                            ;   in Loop: Header=BB6_14596 Depth=3
	v_bfe_u32 v1, v16, 23, 1
; %bb.15266:                            ;   in Loop: Header=BB6_14596 Depth=3
	s_or_b64 exec, exec, s[28:29]
	v_lshrrev_b64 v[3:4], 20, v[16:17]
	v_cmp_gt_i32_e32 vcc, 16, v1
	v_cndmask_b32_e32 v17, 0, v4, vcc
	v_cndmask_b32_e32 v16, 7, v3, vcc
	v_cmp_ne_u64_e32 vcc, 0, v[16:17]
	v_cmp_ne_u32_e64 s[28:29], 0, v1
	s_or_b64 s[28:29], s[28:29], vcc
                                        ; implicit-def: $vgpr3
                                        ; kill: killed $vgpr3
	s_and_saveexec_b64 vcc, s[28:29]
	s_xor_b64 s[28:29], exec, vcc
	s_cbranch_execz .LBB6_15268
; %bb.15267:                            ;   in Loop: Header=BB6_14596 Depth=3
	v_min_i32_e32 v1, 15, v1
	v_lshl_or_b32 v0, v1, 3, v0
	v_and_or_b32 v0, v16, 7, v0
	buffer_store_dword v0, off, s[0:3], s33 offset:116 ; 4-byte Folded Spill
                                        ; implicit-def: $vgpr0
.LBB6_15268:                            ;   in Loop: Header=BB6_14596 Depth=3
	s_andn2_saveexec_b64 s[28:29], s[28:29]
	s_cbranch_execz .LBB6_15270
; %bb.15269:                            ;   in Loop: Header=BB6_14596 Depth=3
	buffer_store_dword v0, off, s[0:3], s33 offset:116 ; 4-byte Folded Spill
.LBB6_15270:                            ;   in Loop: Header=BB6_14596 Depth=3
	s_or_b64 exec, exec, s[28:29]
.LBB6_15271:                            ;   in Loop: Header=BB6_14596 Depth=3
	s_or_b64 exec, exec, s[38:39]
                                        ; implicit-def: $vgpr0
.LBB6_15272:                            ;   in Loop: Header=BB6_14596 Depth=3
	s_andn2_saveexec_b64 s[28:29], s[36:37]
	s_cbranch_execz .LBB6_15274
; %bb.15273:                            ;   in Loop: Header=BB6_14596 Depth=3
	v_or_b32_e32 v0, 0x7e, v0
	buffer_store_dword v0, off, s[0:3], s33 offset:116 ; 4-byte Folded Spill
.LBB6_15274:                            ;   in Loop: Header=BB6_14596 Depth=3
	s_or_b64 exec, exec, s[28:29]
                                        ; implicit-def: $vgpr1
.LBB6_15275:                            ;   in Loop: Header=BB6_14596 Depth=3
	s_andn2_saveexec_b64 s[28:29], s[34:35]
	s_cbranch_execz .LBB6_15277
; %bb.15276:                            ;   in Loop: Header=BB6_14596 Depth=3
	v_or_b32_sdwa v0, v1, s86 dst_sel:DWORD dst_unused:UNUSED_PAD src0_sel:BYTE_3 src1_sel:DWORD
	buffer_store_dword v0, off, s[0:3], s33 offset:116 ; 4-byte Folded Spill
.LBB6_15277:                            ;   in Loop: Header=BB6_14596 Depth=3
	s_or_b64 exec, exec, s[28:29]
	flat_load_ubyte v0, v[12:13] offset:1664 glc slc
	v_mov_b32_e32 v1, 0
	s_waitcnt vmcnt(0) lgkmcnt(0)
	v_cmp_ne_u16_e32 vcc, 0, v0
	s_and_saveexec_b64 s[28:29], vcc
	s_cbranch_execz .LBB6_15283
; %bb.15278:                            ;   in Loop: Header=BB6_14596 Depth=3
	v_cmp_ne_u16_e32 vcc, s96, v0
	v_bfrev_b32_e32 v1, 1
	s_and_saveexec_b64 s[34:35], vcc
	s_cbranch_execz .LBB6_15282
; %bb.15279:                            ;   in Loop: Header=BB6_14596 Depth=3
	v_and_b32_e32 v16, 0xffff, v0
	v_and_b32_e32 v3, 0x7f, v16
	v_cmp_ne_u32_e32 vcc, s86, v3
	v_mov_b32_e32 v1, 0x7f800001
	s_and_saveexec_b64 s[36:37], vcc
	s_cbranch_execz .LBB6_15281
; %bb.15280:                            ;   in Loop: Header=BB6_14596 Depth=3
	v_and_b32_e32 v1, 7, v16
	v_lshrrev_b32_e32 v5, 3, v3
	v_cmp_gt_u32_e32 vcc, 8, v3
	v_ffbh_u32_e32 v3, v1
	v_min_u32_e32 v6, 32, v3
	v_subrev_u32_e32 v3, 28, v6
	v_lshlrev_b64 v[3:4], v3, v[16:17]
	v_sub_u32_e32 v4, 29, v6
	v_and_b32_e32 v3, 7, v3
	v_cndmask_b32_e32 v4, v5, v4, vcc
	v_cndmask_b32_e32 v1, v1, v3, vcc
	v_lshlrev_b32_e32 v0, 24, v0
	v_bfrev_b32_e32 v3, 60
	v_lshlrev_b32_e32 v1, 20, v1
	v_and_b32_e32 v0, 0x80000000, v0
	v_lshl_add_u32 v3, v4, 23, v3
	v_or3_b32 v1, v0, v3, v1
.LBB6_15281:                            ;   in Loop: Header=BB6_14596 Depth=3
	s_or_b64 exec, exec, s[36:37]
.LBB6_15282:                            ;   in Loop: Header=BB6_14596 Depth=3
	s_or_b64 exec, exec, s[34:35]
.LBB6_15283:                            ;   in Loop: Header=BB6_14596 Depth=3
	s_or_b64 exec, exec, s[28:29]
	v_mul_f32_e32 v1, s9, v1
	v_and_b32_e32 v3, 0x7f800000, v1
	v_mov_b32_e32 v4, v51
	v_cmp_ne_u64_e32 vcc, s[76:77], v[3:4]
                                        ; implicit-def: $vgpr0
                                        ; kill: killed $vgpr0
	s_and_saveexec_b64 s[28:29], vcc
	s_xor_b64 s[34:35], exec, s[28:29]
	s_cbranch_execz .LBB6_15301
; %bb.15284:                            ;   in Loop: Header=BB6_14596 Depth=3
	v_and_b32_e32 v3, 0x7fffffff, v1
	v_mov_b32_e32 v4, v51
	v_cmp_gt_u64_e32 vcc, s[78:79], v[3:4]
	v_and_b32_sdwa v0, v1, s96 dst_sel:DWORD dst_unused:UNUSED_PAD src0_sel:BYTE_3 src1_sel:DWORD
                                        ; implicit-def: $vgpr3
                                        ; kill: killed $vgpr3
	s_and_saveexec_b64 s[28:29], vcc
	s_xor_b64 s[36:37], exec, s[28:29]
	s_cbranch_execz .LBB6_15298
; %bb.15285:                            ;   in Loop: Header=BB6_14596 Depth=3
	v_cmp_ne_u32_e32 vcc, 0, v1
	v_mov_b32_e32 v3, 0
	buffer_store_dword v3, off, s[0:3], s33 offset:112 ; 4-byte Folded Spill
	s_and_saveexec_b64 s[38:39], vcc
	s_cbranch_execz .LBB6_15297
; %bb.15286:                            ;   in Loop: Header=BB6_14596 Depth=3
	v_and_b32_e32 v4, 0x7fffff, v1
	v_bfe_u32 v1, v1, 23, 8
	v_cmp_gt_u32_e64 s[28:29], s97, v1
	v_sub_u32_e32 v3, 0x79, v1
	v_cmp_eq_u32_e32 vcc, 0, v1
	v_cndmask_b32_e64 v3, 0, v3, s[28:29]
	v_mov_b32_e32 v6, 0x78
	v_cndmask_b32_e32 v3, v3, v6, vcc
	v_add_u32_e32 v6, 20, v3
	v_or_b32_e32 v5, 0x800000, v4
	v_lshlrev_b64 v[6:7], v6, -1
	v_add_u32_e32 v16, 19, v3
	v_cndmask_b32_e32 v4, v5, v4, vcc
	v_lshlrev_b64 v[16:17], v16, 1
	v_mov_b32_e32 v5, v51
	v_bfi_b32 v7, v7, 0, 0
	v_bfi_b32 v6, v6, 0, v4
	v_cmp_eq_u64_e64 s[28:29], v[6:7], v[16:17]
	v_lshrrev_b64 v[16:17], v3, v[4:5]
	v_mov_b32_e32 v4, v16
	v_mov_b32_e32 v5, v17
	s_and_saveexec_b64 s[48:49], s[28:29]
; %bb.15287:                            ;   in Loop: Header=BB6_14596 Depth=3
	v_bfe_u32 v4, v16, 20, 1
	v_add_co_u32_e64 v4, s[28:29], v16, v4
	v_add_co_u32_e64 v4, s[28:29], -1, v4
; %bb.15288:                            ;   in Loop: Header=BB6_14596 Depth=3
	s_or_b64 exec, exec, s[48:49]
	v_add_u32_e32 v1, 0xffffff81, v1
	v_mov_b32_e32 v5, 0xffffff82
	v_cndmask_b32_e32 v1, v1, v5, vcc
	v_lshrrev_b32_e32 v5, 23, v16
	v_add3_u32 v5, v3, v1, v5
	v_add_u32_e32 v3, 6, v5
	v_and_b32_e32 v1, 0xfffff, v4
	v_add_u32_e32 v16, v1, v16
	v_mov_b32_e32 v17, v51
	v_cmp_ne_u32_e32 vcc, 0, v3
                                        ; implicit-def: $vgpr1
	s_and_saveexec_b64 s[28:29], vcc
	s_xor_b64 s[28:29], exec, s[28:29]
; %bb.15289:                            ;   in Loop: Header=BB6_14596 Depth=3
	v_cmp_lt_u64_e32 vcc, s[88:89], v[16:17]
	v_add_u32_e32 v1, 7, v5
	v_cndmask_b32_e32 v1, v3, v1, vcc
	v_cndmask_b32_e64 v3, 0, 1, vcc
	v_lshrrev_b64 v[16:17], v3, v[16:17]
; %bb.15290:                            ;   in Loop: Header=BB6_14596 Depth=3
	s_andn2_saveexec_b64 s[28:29], s[28:29]
; %bb.15291:                            ;   in Loop: Header=BB6_14596 Depth=3
	v_bfe_u32 v1, v16, 23, 1
; %bb.15292:                            ;   in Loop: Header=BB6_14596 Depth=3
	s_or_b64 exec, exec, s[28:29]
	v_lshrrev_b64 v[3:4], 20, v[16:17]
	v_cmp_gt_i32_e32 vcc, 16, v1
	v_cndmask_b32_e32 v17, 0, v4, vcc
	v_cndmask_b32_e32 v16, 7, v3, vcc
	v_cmp_ne_u64_e32 vcc, 0, v[16:17]
	v_cmp_ne_u32_e64 s[28:29], 0, v1
	s_or_b64 s[28:29], s[28:29], vcc
                                        ; implicit-def: $vgpr3
                                        ; kill: killed $vgpr3
	s_and_saveexec_b64 vcc, s[28:29]
	s_xor_b64 s[28:29], exec, vcc
	s_cbranch_execz .LBB6_15294
; %bb.15293:                            ;   in Loop: Header=BB6_14596 Depth=3
	v_min_i32_e32 v1, 15, v1
	v_lshl_or_b32 v0, v1, 3, v0
	v_and_or_b32 v0, v16, 7, v0
	buffer_store_dword v0, off, s[0:3], s33 offset:112 ; 4-byte Folded Spill
                                        ; implicit-def: $vgpr0
.LBB6_15294:                            ;   in Loop: Header=BB6_14596 Depth=3
	s_andn2_saveexec_b64 s[28:29], s[28:29]
	s_cbranch_execz .LBB6_15296
; %bb.15295:                            ;   in Loop: Header=BB6_14596 Depth=3
	buffer_store_dword v0, off, s[0:3], s33 offset:112 ; 4-byte Folded Spill
.LBB6_15296:                            ;   in Loop: Header=BB6_14596 Depth=3
	s_or_b64 exec, exec, s[28:29]
.LBB6_15297:                            ;   in Loop: Header=BB6_14596 Depth=3
	s_or_b64 exec, exec, s[38:39]
                                        ; implicit-def: $vgpr0
.LBB6_15298:                            ;   in Loop: Header=BB6_14596 Depth=3
	s_andn2_saveexec_b64 s[28:29], s[36:37]
	s_cbranch_execz .LBB6_15300
; %bb.15299:                            ;   in Loop: Header=BB6_14596 Depth=3
	v_or_b32_e32 v0, 0x7e, v0
	buffer_store_dword v0, off, s[0:3], s33 offset:112 ; 4-byte Folded Spill
.LBB6_15300:                            ;   in Loop: Header=BB6_14596 Depth=3
	s_or_b64 exec, exec, s[28:29]
                                        ; implicit-def: $vgpr1
.LBB6_15301:                            ;   in Loop: Header=BB6_14596 Depth=3
	s_andn2_saveexec_b64 s[28:29], s[34:35]
	s_cbranch_execz .LBB6_15303
; %bb.15302:                            ;   in Loop: Header=BB6_14596 Depth=3
	v_or_b32_sdwa v0, v1, s86 dst_sel:DWORD dst_unused:UNUSED_PAD src0_sel:BYTE_3 src1_sel:DWORD
	buffer_store_dword v0, off, s[0:3], s33 offset:112 ; 4-byte Folded Spill
.LBB6_15303:                            ;   in Loop: Header=BB6_14596 Depth=3
	s_or_b64 exec, exec, s[28:29]
	flat_load_ubyte v0, v[12:13] offset:1728 glc slc
	v_mov_b32_e32 v1, 0
	s_waitcnt vmcnt(0) lgkmcnt(0)
	v_cmp_ne_u16_e32 vcc, 0, v0
	s_and_saveexec_b64 s[28:29], vcc
	s_cbranch_execz .LBB6_15309
; %bb.15304:                            ;   in Loop: Header=BB6_14596 Depth=3
	v_cmp_ne_u16_e32 vcc, s96, v0
	v_bfrev_b32_e32 v1, 1
	s_and_saveexec_b64 s[34:35], vcc
	s_cbranch_execz .LBB6_15308
; %bb.15305:                            ;   in Loop: Header=BB6_14596 Depth=3
	v_and_b32_e32 v16, 0xffff, v0
	v_and_b32_e32 v3, 0x7f, v16
	v_cmp_ne_u32_e32 vcc, s86, v3
	v_mov_b32_e32 v1, 0x7f800001
	s_and_saveexec_b64 s[36:37], vcc
	s_cbranch_execz .LBB6_15307
; %bb.15306:                            ;   in Loop: Header=BB6_14596 Depth=3
	v_and_b32_e32 v1, 7, v16
	v_lshrrev_b32_e32 v5, 3, v3
	v_cmp_gt_u32_e32 vcc, 8, v3
	v_ffbh_u32_e32 v3, v1
	v_min_u32_e32 v6, 32, v3
	v_subrev_u32_e32 v3, 28, v6
	v_lshlrev_b64 v[3:4], v3, v[16:17]
	v_sub_u32_e32 v4, 29, v6
	v_and_b32_e32 v3, 7, v3
	v_cndmask_b32_e32 v4, v5, v4, vcc
	v_cndmask_b32_e32 v1, v1, v3, vcc
	v_lshlrev_b32_e32 v0, 24, v0
	v_bfrev_b32_e32 v3, 60
	v_lshlrev_b32_e32 v1, 20, v1
	v_and_b32_e32 v0, 0x80000000, v0
	v_lshl_add_u32 v3, v4, 23, v3
	v_or3_b32 v1, v0, v3, v1
.LBB6_15307:                            ;   in Loop: Header=BB6_14596 Depth=3
	s_or_b64 exec, exec, s[36:37]
.LBB6_15308:                            ;   in Loop: Header=BB6_14596 Depth=3
	s_or_b64 exec, exec, s[34:35]
.LBB6_15309:                            ;   in Loop: Header=BB6_14596 Depth=3
	s_or_b64 exec, exec, s[28:29]
	v_mul_f32_e32 v1, s9, v1
	v_and_b32_e32 v3, 0x7f800000, v1
	v_mov_b32_e32 v4, v51
	v_cmp_ne_u64_e32 vcc, s[76:77], v[3:4]
                                        ; implicit-def: $vgpr0
                                        ; kill: killed $vgpr0
	s_and_saveexec_b64 s[28:29], vcc
	s_xor_b64 s[34:35], exec, s[28:29]
	s_cbranch_execz .LBB6_15327
; %bb.15310:                            ;   in Loop: Header=BB6_14596 Depth=3
	v_and_b32_e32 v3, 0x7fffffff, v1
	v_mov_b32_e32 v4, v51
	v_cmp_gt_u64_e32 vcc, s[78:79], v[3:4]
	v_and_b32_sdwa v0, v1, s96 dst_sel:DWORD dst_unused:UNUSED_PAD src0_sel:BYTE_3 src1_sel:DWORD
                                        ; implicit-def: $vgpr3
                                        ; kill: killed $vgpr3
	s_and_saveexec_b64 s[28:29], vcc
	s_xor_b64 s[36:37], exec, s[28:29]
	s_cbranch_execz .LBB6_15324
; %bb.15311:                            ;   in Loop: Header=BB6_14596 Depth=3
	v_cmp_ne_u32_e32 vcc, 0, v1
	v_mov_b32_e32 v3, 0
	buffer_store_dword v3, off, s[0:3], s33 offset:108 ; 4-byte Folded Spill
	s_and_saveexec_b64 s[38:39], vcc
	s_cbranch_execz .LBB6_15323
; %bb.15312:                            ;   in Loop: Header=BB6_14596 Depth=3
	v_and_b32_e32 v4, 0x7fffff, v1
	v_bfe_u32 v1, v1, 23, 8
	v_cmp_gt_u32_e64 s[28:29], s97, v1
	v_sub_u32_e32 v3, 0x79, v1
	v_cmp_eq_u32_e32 vcc, 0, v1
	v_cndmask_b32_e64 v3, 0, v3, s[28:29]
	v_mov_b32_e32 v6, 0x78
	v_cndmask_b32_e32 v3, v3, v6, vcc
	v_add_u32_e32 v6, 20, v3
	v_or_b32_e32 v5, 0x800000, v4
	v_lshlrev_b64 v[6:7], v6, -1
	v_add_u32_e32 v16, 19, v3
	v_cndmask_b32_e32 v4, v5, v4, vcc
	v_lshlrev_b64 v[16:17], v16, 1
	v_mov_b32_e32 v5, v51
	v_bfi_b32 v7, v7, 0, 0
	v_bfi_b32 v6, v6, 0, v4
	v_cmp_eq_u64_e64 s[28:29], v[6:7], v[16:17]
	v_lshrrev_b64 v[16:17], v3, v[4:5]
	v_mov_b32_e32 v4, v16
	v_mov_b32_e32 v5, v17
	s_and_saveexec_b64 s[48:49], s[28:29]
; %bb.15313:                            ;   in Loop: Header=BB6_14596 Depth=3
	v_bfe_u32 v4, v16, 20, 1
	v_add_co_u32_e64 v4, s[28:29], v16, v4
	v_add_co_u32_e64 v4, s[28:29], -1, v4
; %bb.15314:                            ;   in Loop: Header=BB6_14596 Depth=3
	s_or_b64 exec, exec, s[48:49]
	v_add_u32_e32 v1, 0xffffff81, v1
	v_mov_b32_e32 v5, 0xffffff82
	v_cndmask_b32_e32 v1, v1, v5, vcc
	v_lshrrev_b32_e32 v5, 23, v16
	v_add3_u32 v5, v3, v1, v5
	v_add_u32_e32 v3, 6, v5
	v_and_b32_e32 v1, 0xfffff, v4
	v_add_u32_e32 v16, v1, v16
	v_mov_b32_e32 v17, v51
	v_cmp_ne_u32_e32 vcc, 0, v3
                                        ; implicit-def: $vgpr1
	s_and_saveexec_b64 s[28:29], vcc
	s_xor_b64 s[28:29], exec, s[28:29]
; %bb.15315:                            ;   in Loop: Header=BB6_14596 Depth=3
	v_cmp_lt_u64_e32 vcc, s[88:89], v[16:17]
	v_add_u32_e32 v1, 7, v5
	v_cndmask_b32_e32 v1, v3, v1, vcc
	v_cndmask_b32_e64 v3, 0, 1, vcc
	v_lshrrev_b64 v[16:17], v3, v[16:17]
; %bb.15316:                            ;   in Loop: Header=BB6_14596 Depth=3
	s_andn2_saveexec_b64 s[28:29], s[28:29]
; %bb.15317:                            ;   in Loop: Header=BB6_14596 Depth=3
	v_bfe_u32 v1, v16, 23, 1
; %bb.15318:                            ;   in Loop: Header=BB6_14596 Depth=3
	s_or_b64 exec, exec, s[28:29]
	v_lshrrev_b64 v[3:4], 20, v[16:17]
	v_cmp_gt_i32_e32 vcc, 16, v1
	v_cndmask_b32_e32 v17, 0, v4, vcc
	v_cndmask_b32_e32 v16, 7, v3, vcc
	v_cmp_ne_u64_e32 vcc, 0, v[16:17]
	v_cmp_ne_u32_e64 s[28:29], 0, v1
	s_or_b64 s[28:29], s[28:29], vcc
                                        ; implicit-def: $vgpr3
                                        ; kill: killed $vgpr3
	s_and_saveexec_b64 vcc, s[28:29]
	s_xor_b64 s[28:29], exec, vcc
	s_cbranch_execz .LBB6_15320
; %bb.15319:                            ;   in Loop: Header=BB6_14596 Depth=3
	v_min_i32_e32 v1, 15, v1
	v_lshl_or_b32 v0, v1, 3, v0
	v_and_or_b32 v0, v16, 7, v0
	buffer_store_dword v0, off, s[0:3], s33 offset:108 ; 4-byte Folded Spill
                                        ; implicit-def: $vgpr0
.LBB6_15320:                            ;   in Loop: Header=BB6_14596 Depth=3
	s_andn2_saveexec_b64 s[28:29], s[28:29]
	s_cbranch_execz .LBB6_15322
; %bb.15321:                            ;   in Loop: Header=BB6_14596 Depth=3
	buffer_store_dword v0, off, s[0:3], s33 offset:108 ; 4-byte Folded Spill
.LBB6_15322:                            ;   in Loop: Header=BB6_14596 Depth=3
	s_or_b64 exec, exec, s[28:29]
.LBB6_15323:                            ;   in Loop: Header=BB6_14596 Depth=3
	s_or_b64 exec, exec, s[38:39]
                                        ; implicit-def: $vgpr0
.LBB6_15324:                            ;   in Loop: Header=BB6_14596 Depth=3
	s_andn2_saveexec_b64 s[28:29], s[36:37]
	s_cbranch_execz .LBB6_15326
; %bb.15325:                            ;   in Loop: Header=BB6_14596 Depth=3
	v_or_b32_e32 v0, 0x7e, v0
	buffer_store_dword v0, off, s[0:3], s33 offset:108 ; 4-byte Folded Spill
.LBB6_15326:                            ;   in Loop: Header=BB6_14596 Depth=3
	s_or_b64 exec, exec, s[28:29]
                                        ; implicit-def: $vgpr1
.LBB6_15327:                            ;   in Loop: Header=BB6_14596 Depth=3
	s_andn2_saveexec_b64 s[28:29], s[34:35]
	s_cbranch_execz .LBB6_15329
; %bb.15328:                            ;   in Loop: Header=BB6_14596 Depth=3
	v_or_b32_sdwa v0, v1, s86 dst_sel:DWORD dst_unused:UNUSED_PAD src0_sel:BYTE_3 src1_sel:DWORD
	buffer_store_dword v0, off, s[0:3], s33 offset:108 ; 4-byte Folded Spill
.LBB6_15329:                            ;   in Loop: Header=BB6_14596 Depth=3
	s_or_b64 exec, exec, s[28:29]
	flat_load_ubyte v0, v[12:13] offset:1792 glc slc
	v_mov_b32_e32 v1, 0
	s_waitcnt vmcnt(0) lgkmcnt(0)
	v_cmp_ne_u16_e32 vcc, 0, v0
	s_and_saveexec_b64 s[28:29], vcc
	s_cbranch_execz .LBB6_15335
; %bb.15330:                            ;   in Loop: Header=BB6_14596 Depth=3
	v_cmp_ne_u16_e32 vcc, s96, v0
	v_bfrev_b32_e32 v1, 1
	s_and_saveexec_b64 s[34:35], vcc
	s_cbranch_execz .LBB6_15334
; %bb.15331:                            ;   in Loop: Header=BB6_14596 Depth=3
	v_and_b32_e32 v16, 0xffff, v0
	v_and_b32_e32 v3, 0x7f, v16
	v_cmp_ne_u32_e32 vcc, s86, v3
	v_mov_b32_e32 v1, 0x7f800001
	s_and_saveexec_b64 s[36:37], vcc
	s_cbranch_execz .LBB6_15333
; %bb.15332:                            ;   in Loop: Header=BB6_14596 Depth=3
	v_and_b32_e32 v1, 7, v16
	v_lshrrev_b32_e32 v5, 3, v3
	v_cmp_gt_u32_e32 vcc, 8, v3
	v_ffbh_u32_e32 v3, v1
	v_min_u32_e32 v6, 32, v3
	v_subrev_u32_e32 v3, 28, v6
	v_lshlrev_b64 v[3:4], v3, v[16:17]
	v_sub_u32_e32 v4, 29, v6
	v_and_b32_e32 v3, 7, v3
	v_cndmask_b32_e32 v4, v5, v4, vcc
	v_cndmask_b32_e32 v1, v1, v3, vcc
	v_lshlrev_b32_e32 v0, 24, v0
	v_bfrev_b32_e32 v3, 60
	v_lshlrev_b32_e32 v1, 20, v1
	v_and_b32_e32 v0, 0x80000000, v0
	v_lshl_add_u32 v3, v4, 23, v3
	v_or3_b32 v1, v0, v3, v1
.LBB6_15333:                            ;   in Loop: Header=BB6_14596 Depth=3
	s_or_b64 exec, exec, s[36:37]
.LBB6_15334:                            ;   in Loop: Header=BB6_14596 Depth=3
	s_or_b64 exec, exec, s[34:35]
.LBB6_15335:                            ;   in Loop: Header=BB6_14596 Depth=3
	s_or_b64 exec, exec, s[28:29]
	v_mul_f32_e32 v1, s9, v1
	v_and_b32_e32 v3, 0x7f800000, v1
	v_mov_b32_e32 v4, v51
	v_cmp_ne_u64_e32 vcc, s[76:77], v[3:4]
                                        ; implicit-def: $vgpr0
                                        ; kill: killed $vgpr0
	s_and_saveexec_b64 s[28:29], vcc
	s_xor_b64 s[34:35], exec, s[28:29]
	s_cbranch_execz .LBB6_15353
; %bb.15336:                            ;   in Loop: Header=BB6_14596 Depth=3
	v_and_b32_e32 v3, 0x7fffffff, v1
	v_mov_b32_e32 v4, v51
	v_cmp_gt_u64_e32 vcc, s[78:79], v[3:4]
	v_and_b32_sdwa v0, v1, s96 dst_sel:DWORD dst_unused:UNUSED_PAD src0_sel:BYTE_3 src1_sel:DWORD
                                        ; implicit-def: $vgpr3
                                        ; kill: killed $vgpr3
	s_and_saveexec_b64 s[28:29], vcc
	s_xor_b64 s[36:37], exec, s[28:29]
	s_cbranch_execz .LBB6_15350
; %bb.15337:                            ;   in Loop: Header=BB6_14596 Depth=3
	v_cmp_ne_u32_e32 vcc, 0, v1
	v_mov_b32_e32 v3, 0
	buffer_store_dword v3, off, s[0:3], s33 offset:104 ; 4-byte Folded Spill
	s_and_saveexec_b64 s[38:39], vcc
	s_cbranch_execz .LBB6_15349
; %bb.15338:                            ;   in Loop: Header=BB6_14596 Depth=3
	v_and_b32_e32 v4, 0x7fffff, v1
	v_bfe_u32 v1, v1, 23, 8
	v_cmp_gt_u32_e64 s[28:29], s97, v1
	v_sub_u32_e32 v3, 0x79, v1
	v_cmp_eq_u32_e32 vcc, 0, v1
	v_cndmask_b32_e64 v3, 0, v3, s[28:29]
	v_mov_b32_e32 v6, 0x78
	v_cndmask_b32_e32 v3, v3, v6, vcc
	v_add_u32_e32 v6, 20, v3
	v_or_b32_e32 v5, 0x800000, v4
	v_lshlrev_b64 v[6:7], v6, -1
	v_add_u32_e32 v16, 19, v3
	v_cndmask_b32_e32 v4, v5, v4, vcc
	v_lshlrev_b64 v[16:17], v16, 1
	v_mov_b32_e32 v5, v51
	v_bfi_b32 v7, v7, 0, 0
	v_bfi_b32 v6, v6, 0, v4
	v_cmp_eq_u64_e64 s[28:29], v[6:7], v[16:17]
	v_lshrrev_b64 v[16:17], v3, v[4:5]
	v_mov_b32_e32 v4, v16
	v_mov_b32_e32 v5, v17
	s_and_saveexec_b64 s[48:49], s[28:29]
; %bb.15339:                            ;   in Loop: Header=BB6_14596 Depth=3
	v_bfe_u32 v4, v16, 20, 1
	v_add_co_u32_e64 v4, s[28:29], v16, v4
	v_add_co_u32_e64 v4, s[28:29], -1, v4
; %bb.15340:                            ;   in Loop: Header=BB6_14596 Depth=3
	s_or_b64 exec, exec, s[48:49]
	v_add_u32_e32 v1, 0xffffff81, v1
	v_mov_b32_e32 v5, 0xffffff82
	v_cndmask_b32_e32 v1, v1, v5, vcc
	v_lshrrev_b32_e32 v5, 23, v16
	v_add3_u32 v5, v3, v1, v5
	v_add_u32_e32 v3, 6, v5
	v_and_b32_e32 v1, 0xfffff, v4
	v_add_u32_e32 v16, v1, v16
	v_mov_b32_e32 v17, v51
	v_cmp_ne_u32_e32 vcc, 0, v3
                                        ; implicit-def: $vgpr1
	s_and_saveexec_b64 s[28:29], vcc
	s_xor_b64 s[28:29], exec, s[28:29]
; %bb.15341:                            ;   in Loop: Header=BB6_14596 Depth=3
	v_cmp_lt_u64_e32 vcc, s[88:89], v[16:17]
	v_add_u32_e32 v1, 7, v5
	v_cndmask_b32_e32 v1, v3, v1, vcc
	v_cndmask_b32_e64 v3, 0, 1, vcc
	v_lshrrev_b64 v[16:17], v3, v[16:17]
; %bb.15342:                            ;   in Loop: Header=BB6_14596 Depth=3
	s_andn2_saveexec_b64 s[28:29], s[28:29]
; %bb.15343:                            ;   in Loop: Header=BB6_14596 Depth=3
	v_bfe_u32 v1, v16, 23, 1
; %bb.15344:                            ;   in Loop: Header=BB6_14596 Depth=3
	s_or_b64 exec, exec, s[28:29]
	v_lshrrev_b64 v[3:4], 20, v[16:17]
	v_cmp_gt_i32_e32 vcc, 16, v1
	v_cndmask_b32_e32 v17, 0, v4, vcc
	v_cndmask_b32_e32 v16, 7, v3, vcc
	v_cmp_ne_u64_e32 vcc, 0, v[16:17]
	v_cmp_ne_u32_e64 s[28:29], 0, v1
	s_or_b64 s[28:29], s[28:29], vcc
                                        ; implicit-def: $vgpr3
                                        ; kill: killed $vgpr3
	s_and_saveexec_b64 vcc, s[28:29]
	s_xor_b64 s[28:29], exec, vcc
	s_cbranch_execz .LBB6_15346
; %bb.15345:                            ;   in Loop: Header=BB6_14596 Depth=3
	v_min_i32_e32 v1, 15, v1
	v_lshl_or_b32 v0, v1, 3, v0
	v_and_or_b32 v0, v16, 7, v0
	buffer_store_dword v0, off, s[0:3], s33 offset:104 ; 4-byte Folded Spill
                                        ; implicit-def: $vgpr0
.LBB6_15346:                            ;   in Loop: Header=BB6_14596 Depth=3
	s_andn2_saveexec_b64 s[28:29], s[28:29]
	s_cbranch_execz .LBB6_15348
; %bb.15347:                            ;   in Loop: Header=BB6_14596 Depth=3
	buffer_store_dword v0, off, s[0:3], s33 offset:104 ; 4-byte Folded Spill
.LBB6_15348:                            ;   in Loop: Header=BB6_14596 Depth=3
	s_or_b64 exec, exec, s[28:29]
.LBB6_15349:                            ;   in Loop: Header=BB6_14596 Depth=3
	s_or_b64 exec, exec, s[38:39]
                                        ; implicit-def: $vgpr0
.LBB6_15350:                            ;   in Loop: Header=BB6_14596 Depth=3
	s_andn2_saveexec_b64 s[28:29], s[36:37]
	s_cbranch_execz .LBB6_15352
; %bb.15351:                            ;   in Loop: Header=BB6_14596 Depth=3
	v_or_b32_e32 v0, 0x7e, v0
	buffer_store_dword v0, off, s[0:3], s33 offset:104 ; 4-byte Folded Spill
.LBB6_15352:                            ;   in Loop: Header=BB6_14596 Depth=3
	s_or_b64 exec, exec, s[28:29]
                                        ; implicit-def: $vgpr1
.LBB6_15353:                            ;   in Loop: Header=BB6_14596 Depth=3
	s_andn2_saveexec_b64 s[28:29], s[34:35]
	s_cbranch_execz .LBB6_15355
; %bb.15354:                            ;   in Loop: Header=BB6_14596 Depth=3
	v_or_b32_sdwa v0, v1, s86 dst_sel:DWORD dst_unused:UNUSED_PAD src0_sel:BYTE_3 src1_sel:DWORD
	buffer_store_dword v0, off, s[0:3], s33 offset:104 ; 4-byte Folded Spill
.LBB6_15355:                            ;   in Loop: Header=BB6_14596 Depth=3
	s_or_b64 exec, exec, s[28:29]
	flat_load_ubyte v0, v[12:13] offset:1856 glc slc
	v_mov_b32_e32 v1, 0
	s_waitcnt vmcnt(0) lgkmcnt(0)
	v_cmp_ne_u16_e32 vcc, 0, v0
	s_and_saveexec_b64 s[28:29], vcc
	s_cbranch_execz .LBB6_15361
; %bb.15356:                            ;   in Loop: Header=BB6_14596 Depth=3
	v_cmp_ne_u16_e32 vcc, s96, v0
	v_bfrev_b32_e32 v1, 1
	s_and_saveexec_b64 s[34:35], vcc
	s_cbranch_execz .LBB6_15360
; %bb.15357:                            ;   in Loop: Header=BB6_14596 Depth=3
	v_and_b32_e32 v16, 0xffff, v0
	v_and_b32_e32 v3, 0x7f, v16
	v_cmp_ne_u32_e32 vcc, s86, v3
	v_mov_b32_e32 v1, 0x7f800001
	s_and_saveexec_b64 s[36:37], vcc
	s_cbranch_execz .LBB6_15359
; %bb.15358:                            ;   in Loop: Header=BB6_14596 Depth=3
	v_and_b32_e32 v1, 7, v16
	v_lshrrev_b32_e32 v5, 3, v3
	v_cmp_gt_u32_e32 vcc, 8, v3
	v_ffbh_u32_e32 v3, v1
	v_min_u32_e32 v6, 32, v3
	v_subrev_u32_e32 v3, 28, v6
	v_lshlrev_b64 v[3:4], v3, v[16:17]
	v_sub_u32_e32 v4, 29, v6
	v_and_b32_e32 v3, 7, v3
	v_cndmask_b32_e32 v4, v5, v4, vcc
	v_cndmask_b32_e32 v1, v1, v3, vcc
	v_lshlrev_b32_e32 v0, 24, v0
	v_bfrev_b32_e32 v3, 60
	v_lshlrev_b32_e32 v1, 20, v1
	v_and_b32_e32 v0, 0x80000000, v0
	v_lshl_add_u32 v3, v4, 23, v3
	v_or3_b32 v1, v0, v3, v1
.LBB6_15359:                            ;   in Loop: Header=BB6_14596 Depth=3
	s_or_b64 exec, exec, s[36:37]
.LBB6_15360:                            ;   in Loop: Header=BB6_14596 Depth=3
	s_or_b64 exec, exec, s[34:35]
.LBB6_15361:                            ;   in Loop: Header=BB6_14596 Depth=3
	s_or_b64 exec, exec, s[28:29]
	v_mul_f32_e32 v1, s9, v1
	v_and_b32_e32 v3, 0x7f800000, v1
	v_mov_b32_e32 v4, v51
	v_cmp_ne_u64_e32 vcc, s[76:77], v[3:4]
                                        ; implicit-def: $vgpr0
                                        ; kill: killed $vgpr0
	s_and_saveexec_b64 s[28:29], vcc
	s_xor_b64 s[34:35], exec, s[28:29]
	s_cbranch_execz .LBB6_15379
; %bb.15362:                            ;   in Loop: Header=BB6_14596 Depth=3
	v_and_b32_e32 v3, 0x7fffffff, v1
	v_mov_b32_e32 v4, v51
	v_cmp_gt_u64_e32 vcc, s[78:79], v[3:4]
	v_and_b32_sdwa v0, v1, s96 dst_sel:DWORD dst_unused:UNUSED_PAD src0_sel:BYTE_3 src1_sel:DWORD
                                        ; implicit-def: $vgpr3
                                        ; kill: killed $vgpr3
	s_and_saveexec_b64 s[28:29], vcc
	s_xor_b64 s[36:37], exec, s[28:29]
	s_cbranch_execz .LBB6_15376
; %bb.15363:                            ;   in Loop: Header=BB6_14596 Depth=3
	v_cmp_ne_u32_e32 vcc, 0, v1
	v_mov_b32_e32 v3, 0
	buffer_store_dword v3, off, s[0:3], s33 offset:100 ; 4-byte Folded Spill
	s_and_saveexec_b64 s[38:39], vcc
	s_cbranch_execz .LBB6_15375
; %bb.15364:                            ;   in Loop: Header=BB6_14596 Depth=3
	v_and_b32_e32 v4, 0x7fffff, v1
	v_bfe_u32 v1, v1, 23, 8
	v_cmp_gt_u32_e64 s[28:29], s97, v1
	v_sub_u32_e32 v3, 0x79, v1
	v_cmp_eq_u32_e32 vcc, 0, v1
	v_cndmask_b32_e64 v3, 0, v3, s[28:29]
	v_mov_b32_e32 v6, 0x78
	v_cndmask_b32_e32 v3, v3, v6, vcc
	v_add_u32_e32 v6, 20, v3
	v_or_b32_e32 v5, 0x800000, v4
	v_lshlrev_b64 v[6:7], v6, -1
	v_add_u32_e32 v16, 19, v3
	v_cndmask_b32_e32 v4, v5, v4, vcc
	v_lshlrev_b64 v[16:17], v16, 1
	v_mov_b32_e32 v5, v51
	v_bfi_b32 v7, v7, 0, 0
	v_bfi_b32 v6, v6, 0, v4
	v_cmp_eq_u64_e64 s[28:29], v[6:7], v[16:17]
	v_lshrrev_b64 v[16:17], v3, v[4:5]
	v_mov_b32_e32 v4, v16
	v_mov_b32_e32 v5, v17
	s_and_saveexec_b64 s[48:49], s[28:29]
; %bb.15365:                            ;   in Loop: Header=BB6_14596 Depth=3
	v_bfe_u32 v4, v16, 20, 1
	v_add_co_u32_e64 v4, s[28:29], v16, v4
	v_add_co_u32_e64 v4, s[28:29], -1, v4
; %bb.15366:                            ;   in Loop: Header=BB6_14596 Depth=3
	s_or_b64 exec, exec, s[48:49]
	v_add_u32_e32 v1, 0xffffff81, v1
	v_mov_b32_e32 v5, 0xffffff82
	v_cndmask_b32_e32 v1, v1, v5, vcc
	v_lshrrev_b32_e32 v5, 23, v16
	v_add3_u32 v5, v3, v1, v5
	v_add_u32_e32 v3, 6, v5
	v_and_b32_e32 v1, 0xfffff, v4
	v_add_u32_e32 v16, v1, v16
	v_mov_b32_e32 v17, v51
	v_cmp_ne_u32_e32 vcc, 0, v3
                                        ; implicit-def: $vgpr1
	s_and_saveexec_b64 s[28:29], vcc
	s_xor_b64 s[28:29], exec, s[28:29]
; %bb.15367:                            ;   in Loop: Header=BB6_14596 Depth=3
	v_cmp_lt_u64_e32 vcc, s[88:89], v[16:17]
	v_add_u32_e32 v1, 7, v5
	v_cndmask_b32_e32 v1, v3, v1, vcc
	v_cndmask_b32_e64 v3, 0, 1, vcc
	v_lshrrev_b64 v[16:17], v3, v[16:17]
; %bb.15368:                            ;   in Loop: Header=BB6_14596 Depth=3
	s_andn2_saveexec_b64 s[28:29], s[28:29]
; %bb.15369:                            ;   in Loop: Header=BB6_14596 Depth=3
	v_bfe_u32 v1, v16, 23, 1
; %bb.15370:                            ;   in Loop: Header=BB6_14596 Depth=3
	s_or_b64 exec, exec, s[28:29]
	v_lshrrev_b64 v[3:4], 20, v[16:17]
	v_cmp_gt_i32_e32 vcc, 16, v1
	v_cndmask_b32_e32 v17, 0, v4, vcc
	v_cndmask_b32_e32 v16, 7, v3, vcc
	v_cmp_ne_u64_e32 vcc, 0, v[16:17]
	v_cmp_ne_u32_e64 s[28:29], 0, v1
	s_or_b64 s[28:29], s[28:29], vcc
                                        ; implicit-def: $vgpr3
                                        ; kill: killed $vgpr3
	s_and_saveexec_b64 vcc, s[28:29]
	s_xor_b64 s[28:29], exec, vcc
	s_cbranch_execz .LBB6_15372
; %bb.15371:                            ;   in Loop: Header=BB6_14596 Depth=3
	v_min_i32_e32 v1, 15, v1
	v_lshl_or_b32 v0, v1, 3, v0
	v_and_or_b32 v0, v16, 7, v0
	buffer_store_dword v0, off, s[0:3], s33 offset:100 ; 4-byte Folded Spill
                                        ; implicit-def: $vgpr0
.LBB6_15372:                            ;   in Loop: Header=BB6_14596 Depth=3
	s_andn2_saveexec_b64 s[28:29], s[28:29]
	s_cbranch_execz .LBB6_15374
; %bb.15373:                            ;   in Loop: Header=BB6_14596 Depth=3
	buffer_store_dword v0, off, s[0:3], s33 offset:100 ; 4-byte Folded Spill
.LBB6_15374:                            ;   in Loop: Header=BB6_14596 Depth=3
	s_or_b64 exec, exec, s[28:29]
.LBB6_15375:                            ;   in Loop: Header=BB6_14596 Depth=3
	s_or_b64 exec, exec, s[38:39]
                                        ; implicit-def: $vgpr0
.LBB6_15376:                            ;   in Loop: Header=BB6_14596 Depth=3
	s_andn2_saveexec_b64 s[28:29], s[36:37]
	s_cbranch_execz .LBB6_15378
; %bb.15377:                            ;   in Loop: Header=BB6_14596 Depth=3
	v_or_b32_e32 v0, 0x7e, v0
	buffer_store_dword v0, off, s[0:3], s33 offset:100 ; 4-byte Folded Spill
.LBB6_15378:                            ;   in Loop: Header=BB6_14596 Depth=3
	s_or_b64 exec, exec, s[28:29]
                                        ; implicit-def: $vgpr1
.LBB6_15379:                            ;   in Loop: Header=BB6_14596 Depth=3
	s_andn2_saveexec_b64 s[28:29], s[34:35]
	s_cbranch_execz .LBB6_15381
; %bb.15380:                            ;   in Loop: Header=BB6_14596 Depth=3
	v_or_b32_sdwa v0, v1, s86 dst_sel:DWORD dst_unused:UNUSED_PAD src0_sel:BYTE_3 src1_sel:DWORD
	buffer_store_dword v0, off, s[0:3], s33 offset:100 ; 4-byte Folded Spill
.LBB6_15381:                            ;   in Loop: Header=BB6_14596 Depth=3
	s_or_b64 exec, exec, s[28:29]
	flat_load_ubyte v0, v[12:13] offset:1920 glc slc
	v_mov_b32_e32 v1, 0
	s_waitcnt vmcnt(0) lgkmcnt(0)
	v_cmp_ne_u16_e32 vcc, 0, v0
	s_and_saveexec_b64 s[28:29], vcc
	s_cbranch_execz .LBB6_15387
; %bb.15382:                            ;   in Loop: Header=BB6_14596 Depth=3
	v_cmp_ne_u16_e32 vcc, s96, v0
	v_bfrev_b32_e32 v1, 1
	s_and_saveexec_b64 s[34:35], vcc
	s_cbranch_execz .LBB6_15386
; %bb.15383:                            ;   in Loop: Header=BB6_14596 Depth=3
	v_and_b32_e32 v16, 0xffff, v0
	v_and_b32_e32 v3, 0x7f, v16
	v_cmp_ne_u32_e32 vcc, s86, v3
	v_mov_b32_e32 v1, 0x7f800001
	s_and_saveexec_b64 s[36:37], vcc
	s_cbranch_execz .LBB6_15385
; %bb.15384:                            ;   in Loop: Header=BB6_14596 Depth=3
	v_and_b32_e32 v1, 7, v16
	v_lshrrev_b32_e32 v5, 3, v3
	v_cmp_gt_u32_e32 vcc, 8, v3
	v_ffbh_u32_e32 v3, v1
	v_min_u32_e32 v6, 32, v3
	v_subrev_u32_e32 v3, 28, v6
	v_lshlrev_b64 v[3:4], v3, v[16:17]
	v_sub_u32_e32 v4, 29, v6
	v_and_b32_e32 v3, 7, v3
	v_cndmask_b32_e32 v4, v5, v4, vcc
	v_cndmask_b32_e32 v1, v1, v3, vcc
	v_lshlrev_b32_e32 v0, 24, v0
	v_bfrev_b32_e32 v3, 60
	v_lshlrev_b32_e32 v1, 20, v1
	v_and_b32_e32 v0, 0x80000000, v0
	v_lshl_add_u32 v3, v4, 23, v3
	v_or3_b32 v1, v0, v3, v1
.LBB6_15385:                            ;   in Loop: Header=BB6_14596 Depth=3
	s_or_b64 exec, exec, s[36:37]
.LBB6_15386:                            ;   in Loop: Header=BB6_14596 Depth=3
	s_or_b64 exec, exec, s[34:35]
.LBB6_15387:                            ;   in Loop: Header=BB6_14596 Depth=3
	s_or_b64 exec, exec, s[28:29]
	v_mul_f32_e32 v1, s9, v1
	v_and_b32_e32 v3, 0x7f800000, v1
	v_mov_b32_e32 v4, v51
	v_cmp_ne_u64_e32 vcc, s[76:77], v[3:4]
                                        ; implicit-def: $vgpr0
                                        ; kill: killed $vgpr0
	s_and_saveexec_b64 s[28:29], vcc
	s_xor_b64 s[34:35], exec, s[28:29]
	s_cbranch_execz .LBB6_15405
; %bb.15388:                            ;   in Loop: Header=BB6_14596 Depth=3
	v_and_b32_e32 v3, 0x7fffffff, v1
	v_mov_b32_e32 v4, v51
	v_cmp_gt_u64_e32 vcc, s[78:79], v[3:4]
	v_and_b32_sdwa v0, v1, s96 dst_sel:DWORD dst_unused:UNUSED_PAD src0_sel:BYTE_3 src1_sel:DWORD
                                        ; implicit-def: $vgpr3
                                        ; kill: killed $vgpr3
	s_and_saveexec_b64 s[28:29], vcc
	s_xor_b64 s[36:37], exec, s[28:29]
	s_cbranch_execz .LBB6_15402
; %bb.15389:                            ;   in Loop: Header=BB6_14596 Depth=3
	v_cmp_ne_u32_e32 vcc, 0, v1
	v_mov_b32_e32 v3, 0
	buffer_store_dword v3, off, s[0:3], s33 offset:96 ; 4-byte Folded Spill
	s_and_saveexec_b64 s[38:39], vcc
	s_cbranch_execz .LBB6_15401
; %bb.15390:                            ;   in Loop: Header=BB6_14596 Depth=3
	v_and_b32_e32 v4, 0x7fffff, v1
	v_bfe_u32 v1, v1, 23, 8
	v_cmp_gt_u32_e64 s[28:29], s97, v1
	v_sub_u32_e32 v3, 0x79, v1
	v_cmp_eq_u32_e32 vcc, 0, v1
	v_cndmask_b32_e64 v3, 0, v3, s[28:29]
	v_mov_b32_e32 v6, 0x78
	v_cndmask_b32_e32 v3, v3, v6, vcc
	v_add_u32_e32 v6, 20, v3
	v_or_b32_e32 v5, 0x800000, v4
	v_lshlrev_b64 v[6:7], v6, -1
	v_add_u32_e32 v16, 19, v3
	v_cndmask_b32_e32 v4, v5, v4, vcc
	v_lshlrev_b64 v[16:17], v16, 1
	v_mov_b32_e32 v5, v51
	v_bfi_b32 v7, v7, 0, 0
	v_bfi_b32 v6, v6, 0, v4
	v_cmp_eq_u64_e64 s[28:29], v[6:7], v[16:17]
	v_lshrrev_b64 v[16:17], v3, v[4:5]
	v_mov_b32_e32 v4, v16
	v_mov_b32_e32 v5, v17
	s_and_saveexec_b64 s[48:49], s[28:29]
; %bb.15391:                            ;   in Loop: Header=BB6_14596 Depth=3
	v_bfe_u32 v4, v16, 20, 1
	v_add_co_u32_e64 v4, s[28:29], v16, v4
	v_add_co_u32_e64 v4, s[28:29], -1, v4
; %bb.15392:                            ;   in Loop: Header=BB6_14596 Depth=3
	s_or_b64 exec, exec, s[48:49]
	v_add_u32_e32 v1, 0xffffff81, v1
	v_mov_b32_e32 v5, 0xffffff82
	v_cndmask_b32_e32 v1, v1, v5, vcc
	v_lshrrev_b32_e32 v5, 23, v16
	v_add3_u32 v5, v3, v1, v5
	v_add_u32_e32 v3, 6, v5
	v_and_b32_e32 v1, 0xfffff, v4
	v_add_u32_e32 v16, v1, v16
	v_mov_b32_e32 v17, v51
	v_cmp_ne_u32_e32 vcc, 0, v3
                                        ; implicit-def: $vgpr1
	s_and_saveexec_b64 s[28:29], vcc
	s_xor_b64 s[28:29], exec, s[28:29]
; %bb.15393:                            ;   in Loop: Header=BB6_14596 Depth=3
	v_cmp_lt_u64_e32 vcc, s[88:89], v[16:17]
	v_add_u32_e32 v1, 7, v5
	v_cndmask_b32_e32 v1, v3, v1, vcc
	v_cndmask_b32_e64 v3, 0, 1, vcc
	v_lshrrev_b64 v[16:17], v3, v[16:17]
; %bb.15394:                            ;   in Loop: Header=BB6_14596 Depth=3
	s_andn2_saveexec_b64 s[28:29], s[28:29]
; %bb.15395:                            ;   in Loop: Header=BB6_14596 Depth=3
	v_bfe_u32 v1, v16, 23, 1
; %bb.15396:                            ;   in Loop: Header=BB6_14596 Depth=3
	s_or_b64 exec, exec, s[28:29]
	v_lshrrev_b64 v[3:4], 20, v[16:17]
	v_cmp_gt_i32_e32 vcc, 16, v1
	v_cndmask_b32_e32 v17, 0, v4, vcc
	v_cndmask_b32_e32 v16, 7, v3, vcc
	v_cmp_ne_u64_e32 vcc, 0, v[16:17]
	v_cmp_ne_u32_e64 s[28:29], 0, v1
	s_or_b64 s[28:29], s[28:29], vcc
                                        ; implicit-def: $vgpr3
                                        ; kill: killed $vgpr3
	s_and_saveexec_b64 vcc, s[28:29]
	s_xor_b64 s[28:29], exec, vcc
	s_cbranch_execz .LBB6_15398
; %bb.15397:                            ;   in Loop: Header=BB6_14596 Depth=3
	v_min_i32_e32 v1, 15, v1
	v_lshl_or_b32 v0, v1, 3, v0
	v_and_or_b32 v0, v16, 7, v0
	buffer_store_dword v0, off, s[0:3], s33 offset:96 ; 4-byte Folded Spill
                                        ; implicit-def: $vgpr0
.LBB6_15398:                            ;   in Loop: Header=BB6_14596 Depth=3
	s_andn2_saveexec_b64 s[28:29], s[28:29]
	s_cbranch_execz .LBB6_15400
; %bb.15399:                            ;   in Loop: Header=BB6_14596 Depth=3
	buffer_store_dword v0, off, s[0:3], s33 offset:96 ; 4-byte Folded Spill
.LBB6_15400:                            ;   in Loop: Header=BB6_14596 Depth=3
	s_or_b64 exec, exec, s[28:29]
.LBB6_15401:                            ;   in Loop: Header=BB6_14596 Depth=3
	s_or_b64 exec, exec, s[38:39]
                                        ; implicit-def: $vgpr0
.LBB6_15402:                            ;   in Loop: Header=BB6_14596 Depth=3
	s_andn2_saveexec_b64 s[28:29], s[36:37]
	s_cbranch_execz .LBB6_15404
; %bb.15403:                            ;   in Loop: Header=BB6_14596 Depth=3
	v_or_b32_e32 v0, 0x7e, v0
	buffer_store_dword v0, off, s[0:3], s33 offset:96 ; 4-byte Folded Spill
.LBB6_15404:                            ;   in Loop: Header=BB6_14596 Depth=3
	s_or_b64 exec, exec, s[28:29]
                                        ; implicit-def: $vgpr1
.LBB6_15405:                            ;   in Loop: Header=BB6_14596 Depth=3
	s_andn2_saveexec_b64 s[28:29], s[34:35]
	s_cbranch_execz .LBB6_15407
; %bb.15406:                            ;   in Loop: Header=BB6_14596 Depth=3
	v_or_b32_sdwa v0, v1, s86 dst_sel:DWORD dst_unused:UNUSED_PAD src0_sel:BYTE_3 src1_sel:DWORD
	buffer_store_dword v0, off, s[0:3], s33 offset:96 ; 4-byte Folded Spill
.LBB6_15407:                            ;   in Loop: Header=BB6_14596 Depth=3
	s_or_b64 exec, exec, s[28:29]
	flat_load_ubyte v0, v[12:13] offset:1984 glc slc
	v_mov_b32_e32 v1, 0
	s_waitcnt vmcnt(0) lgkmcnt(0)
	v_cmp_ne_u16_e32 vcc, 0, v0
	s_and_saveexec_b64 s[28:29], vcc
	s_cbranch_execz .LBB6_15413
; %bb.15408:                            ;   in Loop: Header=BB6_14596 Depth=3
	v_cmp_ne_u16_e32 vcc, s96, v0
	v_bfrev_b32_e32 v1, 1
	s_and_saveexec_b64 s[34:35], vcc
	s_cbranch_execz .LBB6_15412
; %bb.15409:                            ;   in Loop: Header=BB6_14596 Depth=3
	v_and_b32_e32 v16, 0xffff, v0
	v_and_b32_e32 v3, 0x7f, v16
	v_cmp_ne_u32_e32 vcc, s86, v3
	v_mov_b32_e32 v1, 0x7f800001
	s_and_saveexec_b64 s[36:37], vcc
	s_cbranch_execz .LBB6_15411
; %bb.15410:                            ;   in Loop: Header=BB6_14596 Depth=3
	v_and_b32_e32 v1, 7, v16
	v_lshrrev_b32_e32 v5, 3, v3
	v_cmp_gt_u32_e32 vcc, 8, v3
	v_ffbh_u32_e32 v3, v1
	v_min_u32_e32 v6, 32, v3
	v_subrev_u32_e32 v3, 28, v6
	v_lshlrev_b64 v[3:4], v3, v[16:17]
	v_sub_u32_e32 v4, 29, v6
	v_and_b32_e32 v3, 7, v3
	v_cndmask_b32_e32 v4, v5, v4, vcc
	v_cndmask_b32_e32 v1, v1, v3, vcc
	v_lshlrev_b32_e32 v0, 24, v0
	v_bfrev_b32_e32 v3, 60
	v_lshlrev_b32_e32 v1, 20, v1
	v_and_b32_e32 v0, 0x80000000, v0
	v_lshl_add_u32 v3, v4, 23, v3
	v_or3_b32 v1, v0, v3, v1
.LBB6_15411:                            ;   in Loop: Header=BB6_14596 Depth=3
	s_or_b64 exec, exec, s[36:37]
.LBB6_15412:                            ;   in Loop: Header=BB6_14596 Depth=3
	s_or_b64 exec, exec, s[34:35]
.LBB6_15413:                            ;   in Loop: Header=BB6_14596 Depth=3
	s_or_b64 exec, exec, s[28:29]
	v_mul_f32_e32 v1, s9, v1
	v_and_b32_e32 v3, 0x7f800000, v1
	v_mov_b32_e32 v4, v51
	v_cmp_ne_u64_e32 vcc, s[76:77], v[3:4]
                                        ; implicit-def: $vgpr45
	s_and_saveexec_b64 s[28:29], vcc
	s_xor_b64 s[34:35], exec, s[28:29]
	s_cbranch_execz .LBB6_15431
; %bb.15414:                            ;   in Loop: Header=BB6_14596 Depth=3
	v_and_b32_e32 v3, 0x7fffffff, v1
	v_mov_b32_e32 v4, v51
	v_cmp_gt_u64_e32 vcc, s[78:79], v[3:4]
	v_and_b32_sdwa v0, v1, s96 dst_sel:DWORD dst_unused:UNUSED_PAD src0_sel:BYTE_3 src1_sel:DWORD
                                        ; implicit-def: $vgpr45
	s_and_saveexec_b64 s[28:29], vcc
	s_xor_b64 s[36:37], exec, s[28:29]
	s_cbranch_execz .LBB6_15428
; %bb.15415:                            ;   in Loop: Header=BB6_14596 Depth=3
	v_cmp_ne_u32_e32 vcc, 0, v1
	v_mov_b32_e32 v45, 0
	s_and_saveexec_b64 s[38:39], vcc
	s_cbranch_execz .LBB6_15427
; %bb.15416:                            ;   in Loop: Header=BB6_14596 Depth=3
	v_and_b32_e32 v4, 0x7fffff, v1
	v_bfe_u32 v1, v1, 23, 8
	v_cmp_gt_u32_e64 s[28:29], s97, v1
	v_sub_u32_e32 v3, 0x79, v1
	v_cmp_eq_u32_e32 vcc, 0, v1
	v_cndmask_b32_e64 v3, 0, v3, s[28:29]
	v_mov_b32_e32 v6, 0x78
	v_cndmask_b32_e32 v3, v3, v6, vcc
	v_add_u32_e32 v6, 20, v3
	v_or_b32_e32 v5, 0x800000, v4
	v_lshlrev_b64 v[6:7], v6, -1
	v_add_u32_e32 v16, 19, v3
	v_cndmask_b32_e32 v4, v5, v4, vcc
	v_lshlrev_b64 v[16:17], v16, 1
	v_mov_b32_e32 v5, v51
	v_bfi_b32 v7, v7, 0, 0
	v_bfi_b32 v6, v6, 0, v4
	v_cmp_eq_u64_e64 s[28:29], v[6:7], v[16:17]
	v_lshrrev_b64 v[16:17], v3, v[4:5]
	v_mov_b32_e32 v4, v16
	v_mov_b32_e32 v5, v17
	s_and_saveexec_b64 s[48:49], s[28:29]
; %bb.15417:                            ;   in Loop: Header=BB6_14596 Depth=3
	v_bfe_u32 v4, v16, 20, 1
	v_add_co_u32_e64 v4, s[28:29], v16, v4
	v_add_co_u32_e64 v4, s[28:29], -1, v4
; %bb.15418:                            ;   in Loop: Header=BB6_14596 Depth=3
	s_or_b64 exec, exec, s[48:49]
	v_add_u32_e32 v1, 0xffffff81, v1
	v_mov_b32_e32 v5, 0xffffff82
	v_cndmask_b32_e32 v1, v1, v5, vcc
	v_lshrrev_b32_e32 v5, 23, v16
	v_add3_u32 v5, v3, v1, v5
	v_add_u32_e32 v3, 6, v5
	v_and_b32_e32 v1, 0xfffff, v4
	v_add_u32_e32 v16, v1, v16
	v_mov_b32_e32 v17, v51
	v_cmp_ne_u32_e32 vcc, 0, v3
                                        ; implicit-def: $vgpr1
	s_and_saveexec_b64 s[28:29], vcc
	s_xor_b64 s[28:29], exec, s[28:29]
; %bb.15419:                            ;   in Loop: Header=BB6_14596 Depth=3
	v_cmp_lt_u64_e32 vcc, s[88:89], v[16:17]
	v_add_u32_e32 v1, 7, v5
	v_cndmask_b32_e32 v1, v3, v1, vcc
	v_cndmask_b32_e64 v3, 0, 1, vcc
	v_lshrrev_b64 v[16:17], v3, v[16:17]
; %bb.15420:                            ;   in Loop: Header=BB6_14596 Depth=3
	s_andn2_saveexec_b64 s[28:29], s[28:29]
; %bb.15421:                            ;   in Loop: Header=BB6_14596 Depth=3
	v_bfe_u32 v1, v16, 23, 1
; %bb.15422:                            ;   in Loop: Header=BB6_14596 Depth=3
	s_or_b64 exec, exec, s[28:29]
	v_lshrrev_b64 v[3:4], 20, v[16:17]
	v_cmp_gt_i32_e32 vcc, 16, v1
	v_cndmask_b32_e32 v17, 0, v4, vcc
	v_cndmask_b32_e32 v16, 7, v3, vcc
	v_cmp_ne_u64_e32 vcc, 0, v[16:17]
	v_cmp_ne_u32_e64 s[28:29], 0, v1
	s_or_b64 s[28:29], s[28:29], vcc
                                        ; implicit-def: $vgpr45
	s_and_saveexec_b64 vcc, s[28:29]
	s_xor_b64 s[28:29], exec, vcc
; %bb.15423:                            ;   in Loop: Header=BB6_14596 Depth=3
	v_min_i32_e32 v1, 15, v1
	v_lshl_or_b32 v0, v1, 3, v0
	v_and_or_b32 v45, v16, 7, v0
                                        ; implicit-def: $vgpr0
; %bb.15424:                            ;   in Loop: Header=BB6_14596 Depth=3
	s_andn2_saveexec_b64 s[28:29], s[28:29]
; %bb.15425:                            ;   in Loop: Header=BB6_14596 Depth=3
	v_mov_b32_e32 v45, v0
; %bb.15426:                            ;   in Loop: Header=BB6_14596 Depth=3
	s_or_b64 exec, exec, s[28:29]
.LBB6_15427:                            ;   in Loop: Header=BB6_14596 Depth=3
	s_or_b64 exec, exec, s[38:39]
                                        ; implicit-def: $vgpr0
.LBB6_15428:                            ;   in Loop: Header=BB6_14596 Depth=3
	s_andn2_saveexec_b64 s[28:29], s[36:37]
; %bb.15429:                            ;   in Loop: Header=BB6_14596 Depth=3
	v_or_b32_e32 v45, 0x7e, v0
; %bb.15430:                            ;   in Loop: Header=BB6_14596 Depth=3
	s_or_b64 exec, exec, s[28:29]
                                        ; implicit-def: $vgpr1
.LBB6_15431:                            ;   in Loop: Header=BB6_14596 Depth=3
	s_andn2_saveexec_b64 s[28:29], s[34:35]
; %bb.15432:                            ;   in Loop: Header=BB6_14596 Depth=3
	v_or_b32_sdwa v45, v1, s86 dst_sel:DWORD dst_unused:UNUSED_PAD src0_sel:BYTE_3 src1_sel:DWORD
; %bb.15433:                            ;   in Loop: Header=BB6_14596 Depth=3
	s_or_b64 exec, exec, s[28:29]
	flat_load_ubyte v4, v[14:15] glc slc
	flat_load_ubyte v32, v[14:15] offset:64 glc slc
	flat_load_ubyte v31, v[14:15] offset:128 glc slc
	;; [unrolled: 1-line block ×27, first 2 shown]
	v_and_b32_e32 v16, 0xff, v2
	v_cmp_ne_u16_e32 vcc, 0, v16
	v_mov_b32_e32 v17, 0
	flat_load_ubyte v39, v[14:15] offset:1984 glc slc
	s_waitcnt vmcnt(0) lgkmcnt(0)
	buffer_store_dword v5, off, s[0:3], s33 offset:168 ; 4-byte Folded Spill
	flat_load_ubyte v5, v[14:15] offset:1792 glc slc
	s_waitcnt vmcnt(0) lgkmcnt(0)
	buffer_store_dword v5, off, s[0:3], s33 offset:164 ; 4-byte Folded Spill
	;; [unrolled: 3-line block ×4, first 2 shown]
	v_mov_b32_e32 v5, 0
	s_and_saveexec_b64 s[28:29], vcc
	s_cbranch_execz .LBB6_15439
; %bb.15434:                            ;   in Loop: Header=BB6_14596 Depth=3
	v_cmp_ne_u16_e32 vcc, s96, v16
	v_bfrev_b32_e32 v17, 1
	s_and_saveexec_b64 s[34:35], vcc
	s_cbranch_execz .LBB6_15438
; %bb.15435:                            ;   in Loop: Header=BB6_14596 Depth=3
	v_and_b32_e32 v33, 0x7f, v2
	v_cmp_ne_u32_e32 vcc, s86, v33
	v_mov_b32_e32 v17, 0x7f800001
	s_and_saveexec_b64 s[36:37], vcc
	s_cbranch_execz .LBB6_15437
; %bb.15436:                            ;   in Loop: Header=BB6_14596 Depth=3
	v_and_b32_e32 v34, 7, v16
	v_ffbh_u32_e32 v17, v34
	v_lshrrev_b32_e32 v37, 3, v33
	v_cmp_gt_u32_e32 vcc, 8, v33
	v_min_u32_e32 v33, 32, v17
	v_subrev_u32_e32 v17, 28, v33
	v_lshlrev_b64 v[16:17], v17, v[16:17]
	v_sub_u32_e32 v17, 29, v33
	v_and_b32_e32 v16, 7, v16
	v_cndmask_b32_e32 v17, v37, v17, vcc
	v_cndmask_b32_e32 v16, v34, v16, vcc
	v_lshlrev_b32_e32 v2, 24, v2
	v_bfrev_b32_e32 v33, 60
	v_lshlrev_b32_e32 v16, 20, v16
	v_and_b32_e32 v2, 0x80000000, v2
	v_lshl_add_u32 v17, v17, 23, v33
	v_or3_b32 v17, v2, v17, v16
.LBB6_15437:                            ;   in Loop: Header=BB6_14596 Depth=3
	s_or_b64 exec, exec, s[36:37]
.LBB6_15438:                            ;   in Loop: Header=BB6_14596 Depth=3
	s_or_b64 exec, exec, s[34:35]
.LBB6_15439:                            ;   in Loop: Header=BB6_14596 Depth=3
	s_or_b64 exec, exec, s[28:29]
	v_and_b32_e32 v16, 0xff, v4
	v_cmp_ne_u16_e32 vcc, 0, v16
	s_and_saveexec_b64 s[28:29], vcc
	s_cbranch_execz .LBB6_15445
; %bb.15440:                            ;   in Loop: Header=BB6_14596 Depth=3
	v_cmp_ne_u16_e32 vcc, s96, v16
	v_bfrev_b32_e32 v5, 1
	s_and_saveexec_b64 s[34:35], vcc
	s_cbranch_execz .LBB6_15444
; %bb.15441:                            ;   in Loop: Header=BB6_14596 Depth=3
	v_and_b32_e32 v2, 0x7f, v4
	v_cmp_ne_u32_e32 vcc, s86, v2
	v_mov_b32_e32 v5, 0x7f800001
	s_and_saveexec_b64 s[36:37], vcc
	s_cbranch_execz .LBB6_15443
; %bb.15442:                            ;   in Loop: Header=BB6_14596 Depth=3
	v_and_b32_e32 v5, 7, v16
	v_lshrrev_b32_e32 v37, 3, v2
	v_cmp_gt_u32_e32 vcc, 8, v2
	v_ffbh_u32_e32 v2, v5
	v_min_u32_e32 v2, 32, v2
	v_subrev_u32_e32 v33, 28, v2
	v_lshlrev_b64 v[33:34], v33, v[16:17]
	v_sub_u32_e32 v2, 29, v2
	v_and_b32_e32 v16, 7, v33
	v_cndmask_b32_e32 v2, v37, v2, vcc
	v_cndmask_b32_e32 v5, v5, v16, vcc
	v_lshlrev_b32_e32 v4, 24, v4
	v_bfrev_b32_e32 v16, 60
	v_lshlrev_b32_e32 v5, 20, v5
	v_and_b32_e32 v4, 0x80000000, v4
	v_lshl_add_u32 v2, v2, 23, v16
	v_or3_b32 v5, v4, v2, v5
.LBB6_15443:                            ;   in Loop: Header=BB6_14596 Depth=3
	s_or_b64 exec, exec, s[36:37]
.LBB6_15444:                            ;   in Loop: Header=BB6_14596 Depth=3
	s_or_b64 exec, exec, s[34:35]
.LBB6_15445:                            ;   in Loop: Header=BB6_14596 Depth=3
	s_or_b64 exec, exec, s[28:29]
	v_add_f32_e32 v4, v17, v5
	v_and_b32_e32 v16, 0x7f800000, v4
	v_mov_b32_e32 v17, v51
	v_cmp_ne_u64_e32 vcc, s[76:77], v[16:17]
                                        ; implicit-def: $vgpr33
	s_and_saveexec_b64 s[28:29], vcc
	s_xor_b64 s[34:35], exec, s[28:29]
	s_cbranch_execz .LBB6_15463
; %bb.15446:                            ;   in Loop: Header=BB6_14596 Depth=3
	v_and_b32_e32 v16, 0x7fffffff, v4
	v_mov_b32_e32 v17, v51
	v_cmp_gt_u64_e32 vcc, s[78:79], v[16:17]
	v_and_b32_sdwa v2, v4, s96 dst_sel:DWORD dst_unused:UNUSED_PAD src0_sel:BYTE_3 src1_sel:DWORD
                                        ; implicit-def: $vgpr33
	s_and_saveexec_b64 s[28:29], vcc
	s_xor_b64 s[36:37], exec, s[28:29]
	s_cbranch_execz .LBB6_15460
; %bb.15447:                            ;   in Loop: Header=BB6_14596 Depth=3
	v_cmp_ne_u32_e32 vcc, 0, v4
	v_mov_b32_e32 v33, 0
	s_and_saveexec_b64 s[38:39], vcc
	s_cbranch_execz .LBB6_15459
; %bb.15448:                            ;   in Loop: Header=BB6_14596 Depth=3
	v_bfe_u32 v33, v4, 23, 8
	v_and_b32_e32 v5, 0x7fffff, v4
	v_cmp_gt_u32_e64 s[28:29], s97, v33
	v_sub_u32_e32 v4, 0x79, v33
	v_cmp_eq_u32_e32 vcc, 0, v33
	v_cndmask_b32_e64 v4, 0, v4, s[28:29]
	v_mov_b32_e32 v17, 0x78
	v_or_b32_e32 v16, 0x800000, v5
	v_cndmask_b32_e32 v34, v4, v17, vcc
	v_cndmask_b32_e32 v4, v16, v5, vcc
	v_add_u32_e32 v16, 20, v34
	v_lshlrev_b64 v[16:17], v16, -1
	v_add_u32_e32 v37, 19, v34
	v_lshlrev_b64 v[37:38], v37, 1
	v_mov_b32_e32 v5, v51
	v_bfi_b32 v17, v17, 0, 0
	v_bfi_b32 v16, v16, 0, v4
	v_cmp_eq_u64_e64 s[28:29], v[16:17], v[37:38]
	v_lshrrev_b64 v[16:17], v34, v[4:5]
	v_mov_b32_e32 v4, v16
	v_mov_b32_e32 v5, v17
	s_and_saveexec_b64 s[48:49], s[28:29]
; %bb.15449:                            ;   in Loop: Header=BB6_14596 Depth=3
	v_bfe_u32 v4, v16, 20, 1
	v_add_co_u32_e64 v4, s[28:29], v16, v4
	v_add_co_u32_e64 v4, s[28:29], -1, v4
; %bb.15450:                            ;   in Loop: Header=BB6_14596 Depth=3
	s_or_b64 exec, exec, s[48:49]
	v_add_u32_e32 v5, 0xffffff81, v33
	v_mov_b32_e32 v17, 0xffffff82
	v_cndmask_b32_e32 v5, v5, v17, vcc
	v_lshrrev_b32_e32 v17, 23, v16
	v_add3_u32 v33, v34, v5, v17
	v_add_u32_e32 v5, 6, v33
	v_and_b32_e32 v4, 0xfffff, v4
	v_add_u32_e32 v16, v4, v16
	v_mov_b32_e32 v17, v51
	v_cmp_ne_u32_e32 vcc, 0, v5
                                        ; implicit-def: $vgpr4
	s_and_saveexec_b64 s[28:29], vcc
	s_xor_b64 s[28:29], exec, s[28:29]
; %bb.15451:                            ;   in Loop: Header=BB6_14596 Depth=3
	v_cmp_lt_u64_e32 vcc, s[88:89], v[16:17]
	v_add_u32_e32 v4, 7, v33
	v_cndmask_b32_e32 v4, v5, v4, vcc
	v_cndmask_b32_e64 v5, 0, 1, vcc
	v_lshrrev_b64 v[16:17], v5, v[16:17]
; %bb.15452:                            ;   in Loop: Header=BB6_14596 Depth=3
	s_andn2_saveexec_b64 s[28:29], s[28:29]
; %bb.15453:                            ;   in Loop: Header=BB6_14596 Depth=3
	v_bfe_u32 v4, v16, 23, 1
; %bb.15454:                            ;   in Loop: Header=BB6_14596 Depth=3
	s_or_b64 exec, exec, s[28:29]
	v_lshrrev_b64 v[16:17], 20, v[16:17]
	v_cmp_gt_i32_e32 vcc, 16, v4
	v_cndmask_b32_e32 v17, 0, v17, vcc
	v_cndmask_b32_e32 v16, 7, v16, vcc
	v_cmp_ne_u64_e32 vcc, 0, v[16:17]
	v_cmp_ne_u32_e64 s[28:29], 0, v4
	s_or_b64 s[28:29], s[28:29], vcc
                                        ; implicit-def: $vgpr33
	s_and_saveexec_b64 vcc, s[28:29]
	s_xor_b64 s[28:29], exec, vcc
; %bb.15455:                            ;   in Loop: Header=BB6_14596 Depth=3
	v_min_i32_e32 v4, 15, v4
	v_lshl_or_b32 v2, v4, 3, v2
	v_and_or_b32 v33, v16, 7, v2
                                        ; implicit-def: $vgpr2
; %bb.15456:                            ;   in Loop: Header=BB6_14596 Depth=3
	s_andn2_saveexec_b64 s[28:29], s[28:29]
; %bb.15457:                            ;   in Loop: Header=BB6_14596 Depth=3
	v_mov_b32_e32 v33, v2
; %bb.15458:                            ;   in Loop: Header=BB6_14596 Depth=3
	s_or_b64 exec, exec, s[28:29]
.LBB6_15459:                            ;   in Loop: Header=BB6_14596 Depth=3
	s_or_b64 exec, exec, s[38:39]
                                        ; implicit-def: $vgpr2
.LBB6_15460:                            ;   in Loop: Header=BB6_14596 Depth=3
	s_andn2_saveexec_b64 s[28:29], s[36:37]
; %bb.15461:                            ;   in Loop: Header=BB6_14596 Depth=3
	v_or_b32_e32 v33, 0x7e, v2
; %bb.15462:                            ;   in Loop: Header=BB6_14596 Depth=3
	s_or_b64 exec, exec, s[28:29]
                                        ; implicit-def: $vgpr4
.LBB6_15463:                            ;   in Loop: Header=BB6_14596 Depth=3
	s_andn2_saveexec_b64 s[28:29], s[34:35]
; %bb.15464:                            ;   in Loop: Header=BB6_14596 Depth=3
	v_or_b32_sdwa v33, v4, s86 dst_sel:DWORD dst_unused:UNUSED_PAD src0_sel:BYTE_3 src1_sel:DWORD
; %bb.15465:                            ;   in Loop: Header=BB6_14596 Depth=3
	s_or_b64 exec, exec, s[28:29]
	v_and_b32_e32 v16, 0xff, v27
	v_cmp_ne_u16_e32 vcc, 0, v16
	v_mov_b32_e32 v2, 0
	v_mov_b32_e32 v4, 0
	s_and_saveexec_b64 s[28:29], vcc
	s_cbranch_execz .LBB6_15471
; %bb.15466:                            ;   in Loop: Header=BB6_14596 Depth=3
	v_cmp_ne_u16_e32 vcc, s96, v16
	v_bfrev_b32_e32 v4, 1
	s_and_saveexec_b64 s[34:35], vcc
	s_cbranch_execz .LBB6_15470
; %bb.15467:                            ;   in Loop: Header=BB6_14596 Depth=3
	v_and_b32_e32 v5, 0x7f, v27
	v_cmp_ne_u32_e32 vcc, s86, v5
	v_mov_b32_e32 v4, 0x7f800001
	s_and_saveexec_b64 s[36:37], vcc
	s_cbranch_execz .LBB6_15469
; %bb.15468:                            ;   in Loop: Header=BB6_14596 Depth=3
	v_and_b32_e32 v17, 7, v16
	v_ffbh_u32_e32 v4, v17
	v_min_u32_e32 v37, 32, v4
	v_subrev_u32_e32 v4, 28, v37
	v_lshrrev_b32_e32 v34, 3, v5
	v_cmp_gt_u32_e32 vcc, 8, v5
	v_lshlrev_b64 v[4:5], v4, v[16:17]
	v_sub_u32_e32 v5, 29, v37
	v_and_b32_e32 v4, 7, v4
	v_cndmask_b32_e32 v5, v34, v5, vcc
	v_cndmask_b32_e32 v4, v17, v4, vcc
	v_lshlrev_b32_e32 v16, 24, v27
	v_bfrev_b32_e32 v17, 60
	v_lshlrev_b32_e32 v4, 20, v4
	v_and_b32_e32 v16, 0x80000000, v16
	v_lshl_add_u32 v5, v5, 23, v17
	v_or3_b32 v4, v16, v5, v4
.LBB6_15469:                            ;   in Loop: Header=BB6_14596 Depth=3
	s_or_b64 exec, exec, s[36:37]
.LBB6_15470:                            ;   in Loop: Header=BB6_14596 Depth=3
	s_or_b64 exec, exec, s[34:35]
.LBB6_15471:                            ;   in Loop: Header=BB6_14596 Depth=3
	s_or_b64 exec, exec, s[28:29]
	v_and_b32_e32 v16, 0xff, v32
	v_cmp_ne_u16_e32 vcc, 0, v16
	s_and_saveexec_b64 s[28:29], vcc
	s_cbranch_execz .LBB6_15477
; %bb.15472:                            ;   in Loop: Header=BB6_14596 Depth=3
	v_cmp_ne_u16_e32 vcc, s96, v16
	v_bfrev_b32_e32 v2, 1
	s_and_saveexec_b64 s[34:35], vcc
	s_cbranch_execz .LBB6_15476
; %bb.15473:                            ;   in Loop: Header=BB6_14596 Depth=3
	v_and_b32_e32 v5, 0x7f, v32
	v_cmp_ne_u32_e32 vcc, s86, v5
	v_mov_b32_e32 v2, 0x7f800001
	s_and_saveexec_b64 s[36:37], vcc
	s_cbranch_execz .LBB6_15475
; %bb.15474:                            ;   in Loop: Header=BB6_14596 Depth=3
	v_and_b32_e32 v2, 7, v16
	v_lshrrev_b32_e32 v27, 3, v5
	v_cmp_gt_u32_e32 vcc, 8, v5
	v_ffbh_u32_e32 v5, v2
	v_min_u32_e32 v5, 32, v5
	v_subrev_u32_e32 v17, 28, v5
	v_lshlrev_b64 v[16:17], v17, v[16:17]
	v_sub_u32_e32 v5, 29, v5
	v_and_b32_e32 v16, 7, v16
	v_cndmask_b32_e32 v5, v27, v5, vcc
	v_cndmask_b32_e32 v2, v2, v16, vcc
	v_lshlrev_b32_e32 v16, 24, v32
	v_bfrev_b32_e32 v17, 60
	v_lshlrev_b32_e32 v2, 20, v2
	v_and_b32_e32 v16, 0x80000000, v16
	v_lshl_add_u32 v5, v5, 23, v17
	v_or3_b32 v2, v16, v5, v2
.LBB6_15475:                            ;   in Loop: Header=BB6_14596 Depth=3
	s_or_b64 exec, exec, s[36:37]
.LBB6_15476:                            ;   in Loop: Header=BB6_14596 Depth=3
	s_or_b64 exec, exec, s[34:35]
.LBB6_15477:                            ;   in Loop: Header=BB6_14596 Depth=3
	s_or_b64 exec, exec, s[28:29]
	v_add_f32_e32 v4, v4, v2
	v_and_b32_e32 v16, 0x7f800000, v4
	v_mov_b32_e32 v17, v51
	v_cmp_ne_u64_e32 vcc, s[76:77], v[16:17]
                                        ; implicit-def: $vgpr27
	s_and_saveexec_b64 s[28:29], vcc
	s_xor_b64 s[34:35], exec, s[28:29]
	s_cbranch_execz .LBB6_15495
; %bb.15478:                            ;   in Loop: Header=BB6_14596 Depth=3
	v_and_b32_e32 v16, 0x7fffffff, v4
	v_mov_b32_e32 v17, v51
	v_cmp_gt_u64_e32 vcc, s[78:79], v[16:17]
	v_and_b32_sdwa v2, v4, s96 dst_sel:DWORD dst_unused:UNUSED_PAD src0_sel:BYTE_3 src1_sel:DWORD
                                        ; implicit-def: $vgpr27
	s_and_saveexec_b64 s[28:29], vcc
	s_xor_b64 s[36:37], exec, s[28:29]
	s_cbranch_execz .LBB6_15492
; %bb.15479:                            ;   in Loop: Header=BB6_14596 Depth=3
	v_cmp_ne_u32_e32 vcc, 0, v4
	v_mov_b32_e32 v27, 0
	s_and_saveexec_b64 s[38:39], vcc
	s_cbranch_execz .LBB6_15491
; %bb.15480:                            ;   in Loop: Header=BB6_14596 Depth=3
	v_bfe_u32 v27, v4, 23, 8
	v_and_b32_e32 v5, 0x7fffff, v4
	v_cmp_gt_u32_e64 s[28:29], s97, v27
	v_sub_u32_e32 v4, 0x79, v27
	v_cmp_eq_u32_e32 vcc, 0, v27
	v_cndmask_b32_e64 v4, 0, v4, s[28:29]
	v_mov_b32_e32 v17, 0x78
	v_or_b32_e32 v16, 0x800000, v5
	v_cndmask_b32_e32 v32, v4, v17, vcc
	v_cndmask_b32_e32 v4, v16, v5, vcc
	v_add_u32_e32 v16, 20, v32
	v_lshlrev_b64 v[16:17], v16, -1
	v_add_u32_e32 v34, 19, v32
	v_lshlrev_b64 v[37:38], v34, 1
	v_mov_b32_e32 v5, v51
	v_bfi_b32 v17, v17, 0, 0
	v_bfi_b32 v16, v16, 0, v4
	v_cmp_eq_u64_e64 s[28:29], v[16:17], v[37:38]
	v_lshrrev_b64 v[16:17], v32, v[4:5]
	v_mov_b32_e32 v4, v16
	v_mov_b32_e32 v5, v17
	s_and_saveexec_b64 s[48:49], s[28:29]
; %bb.15481:                            ;   in Loop: Header=BB6_14596 Depth=3
	v_bfe_u32 v4, v16, 20, 1
	v_add_co_u32_e64 v4, s[28:29], v16, v4
	v_add_co_u32_e64 v4, s[28:29], -1, v4
; %bb.15482:                            ;   in Loop: Header=BB6_14596 Depth=3
	s_or_b64 exec, exec, s[48:49]
	v_add_u32_e32 v5, 0xffffff81, v27
	v_mov_b32_e32 v17, 0xffffff82
	v_cndmask_b32_e32 v5, v5, v17, vcc
	v_lshrrev_b32_e32 v17, 23, v16
	v_add3_u32 v27, v32, v5, v17
	v_add_u32_e32 v5, 6, v27
	v_and_b32_e32 v4, 0xfffff, v4
	v_add_u32_e32 v16, v4, v16
	v_mov_b32_e32 v17, v51
	v_cmp_ne_u32_e32 vcc, 0, v5
                                        ; implicit-def: $vgpr4
	s_and_saveexec_b64 s[28:29], vcc
	s_xor_b64 s[28:29], exec, s[28:29]
; %bb.15483:                            ;   in Loop: Header=BB6_14596 Depth=3
	v_cmp_lt_u64_e32 vcc, s[88:89], v[16:17]
	v_add_u32_e32 v4, 7, v27
	v_cndmask_b32_e32 v4, v5, v4, vcc
	v_cndmask_b32_e64 v5, 0, 1, vcc
	v_lshrrev_b64 v[16:17], v5, v[16:17]
; %bb.15484:                            ;   in Loop: Header=BB6_14596 Depth=3
	s_andn2_saveexec_b64 s[28:29], s[28:29]
; %bb.15485:                            ;   in Loop: Header=BB6_14596 Depth=3
	v_bfe_u32 v4, v16, 23, 1
; %bb.15486:                            ;   in Loop: Header=BB6_14596 Depth=3
	s_or_b64 exec, exec, s[28:29]
	v_lshrrev_b64 v[16:17], 20, v[16:17]
	v_cmp_gt_i32_e32 vcc, 16, v4
	v_cndmask_b32_e32 v17, 0, v17, vcc
	v_cndmask_b32_e32 v16, 7, v16, vcc
	v_cmp_ne_u64_e32 vcc, 0, v[16:17]
	v_cmp_ne_u32_e64 s[28:29], 0, v4
	s_or_b64 s[28:29], s[28:29], vcc
                                        ; implicit-def: $vgpr27
	s_and_saveexec_b64 vcc, s[28:29]
	s_xor_b64 s[28:29], exec, vcc
; %bb.15487:                            ;   in Loop: Header=BB6_14596 Depth=3
	v_min_i32_e32 v4, 15, v4
	v_lshl_or_b32 v2, v4, 3, v2
	v_and_or_b32 v27, v16, 7, v2
                                        ; implicit-def: $vgpr2
; %bb.15488:                            ;   in Loop: Header=BB6_14596 Depth=3
	s_andn2_saveexec_b64 s[28:29], s[28:29]
; %bb.15489:                            ;   in Loop: Header=BB6_14596 Depth=3
	v_mov_b32_e32 v27, v2
; %bb.15490:                            ;   in Loop: Header=BB6_14596 Depth=3
	s_or_b64 exec, exec, s[28:29]
.LBB6_15491:                            ;   in Loop: Header=BB6_14596 Depth=3
	s_or_b64 exec, exec, s[38:39]
                                        ; implicit-def: $vgpr2
.LBB6_15492:                            ;   in Loop: Header=BB6_14596 Depth=3
	s_andn2_saveexec_b64 s[28:29], s[36:37]
; %bb.15493:                            ;   in Loop: Header=BB6_14596 Depth=3
	v_or_b32_e32 v27, 0x7e, v2
; %bb.15494:                            ;   in Loop: Header=BB6_14596 Depth=3
	s_or_b64 exec, exec, s[28:29]
                                        ; implicit-def: $vgpr4
.LBB6_15495:                            ;   in Loop: Header=BB6_14596 Depth=3
	s_andn2_saveexec_b64 s[28:29], s[34:35]
; %bb.15496:                            ;   in Loop: Header=BB6_14596 Depth=3
	v_or_b32_sdwa v27, v4, s86 dst_sel:DWORD dst_unused:UNUSED_PAD src0_sel:BYTE_3 src1_sel:DWORD
; %bb.15497:                            ;   in Loop: Header=BB6_14596 Depth=3
	s_or_b64 exec, exec, s[28:29]
	v_and_b32_e32 v16, 0xff, v35
	v_cmp_ne_u16_e32 vcc, 0, v16
	v_mov_b32_e32 v2, 0
	v_mov_b32_e32 v4, 0
	s_and_saveexec_b64 s[28:29], vcc
	s_cbranch_execz .LBB6_15503
; %bb.15498:                            ;   in Loop: Header=BB6_14596 Depth=3
	v_cmp_ne_u16_e32 vcc, s96, v16
	v_bfrev_b32_e32 v4, 1
	s_and_saveexec_b64 s[34:35], vcc
	s_cbranch_execz .LBB6_15502
; %bb.15499:                            ;   in Loop: Header=BB6_14596 Depth=3
	v_and_b32_e32 v5, 0x7f, v35
	v_cmp_ne_u32_e32 vcc, s86, v5
	v_mov_b32_e32 v4, 0x7f800001
	s_and_saveexec_b64 s[36:37], vcc
	s_cbranch_execz .LBB6_15501
; %bb.15500:                            ;   in Loop: Header=BB6_14596 Depth=3
	v_and_b32_e32 v17, 7, v16
	v_ffbh_u32_e32 v4, v17
	v_min_u32_e32 v34, 32, v4
	v_subrev_u32_e32 v4, 28, v34
	v_lshrrev_b32_e32 v32, 3, v5
	v_cmp_gt_u32_e32 vcc, 8, v5
	v_lshlrev_b64 v[4:5], v4, v[16:17]
	v_sub_u32_e32 v5, 29, v34
	v_and_b32_e32 v4, 7, v4
	v_cndmask_b32_e32 v5, v32, v5, vcc
	v_cndmask_b32_e32 v4, v17, v4, vcc
	v_lshlrev_b32_e32 v16, 24, v35
	v_bfrev_b32_e32 v17, 60
	v_lshlrev_b32_e32 v4, 20, v4
	v_and_b32_e32 v16, 0x80000000, v16
	v_lshl_add_u32 v5, v5, 23, v17
	v_or3_b32 v4, v16, v5, v4
.LBB6_15501:                            ;   in Loop: Header=BB6_14596 Depth=3
	s_or_b64 exec, exec, s[36:37]
.LBB6_15502:                            ;   in Loop: Header=BB6_14596 Depth=3
	s_or_b64 exec, exec, s[34:35]
.LBB6_15503:                            ;   in Loop: Header=BB6_14596 Depth=3
	s_or_b64 exec, exec, s[28:29]
	v_and_b32_e32 v16, 0xff, v31
	v_cmp_ne_u16_e32 vcc, 0, v16
	s_and_saveexec_b64 s[28:29], vcc
	s_cbranch_execz .LBB6_15509
; %bb.15504:                            ;   in Loop: Header=BB6_14596 Depth=3
	v_cmp_ne_u16_e32 vcc, s96, v16
	v_bfrev_b32_e32 v2, 1
	s_and_saveexec_b64 s[34:35], vcc
	s_cbranch_execz .LBB6_15508
; %bb.15505:                            ;   in Loop: Header=BB6_14596 Depth=3
	v_and_b32_e32 v5, 0x7f, v31
	v_cmp_ne_u32_e32 vcc, s86, v5
	v_mov_b32_e32 v2, 0x7f800001
	s_and_saveexec_b64 s[36:37], vcc
	s_cbranch_execz .LBB6_15507
; %bb.15506:                            ;   in Loop: Header=BB6_14596 Depth=3
	v_and_b32_e32 v2, 7, v16
	v_lshrrev_b32_e32 v32, 3, v5
	v_cmp_gt_u32_e32 vcc, 8, v5
	v_ffbh_u32_e32 v5, v2
	v_min_u32_e32 v5, 32, v5
	v_subrev_u32_e32 v17, 28, v5
	v_lshlrev_b64 v[16:17], v17, v[16:17]
	v_sub_u32_e32 v5, 29, v5
	v_and_b32_e32 v16, 7, v16
	v_cndmask_b32_e32 v5, v32, v5, vcc
	v_cndmask_b32_e32 v2, v2, v16, vcc
	v_lshlrev_b32_e32 v16, 24, v31
	v_bfrev_b32_e32 v17, 60
	v_lshlrev_b32_e32 v2, 20, v2
	v_and_b32_e32 v16, 0x80000000, v16
	v_lshl_add_u32 v5, v5, 23, v17
	v_or3_b32 v2, v16, v5, v2
.LBB6_15507:                            ;   in Loop: Header=BB6_14596 Depth=3
	s_or_b64 exec, exec, s[36:37]
.LBB6_15508:                            ;   in Loop: Header=BB6_14596 Depth=3
	s_or_b64 exec, exec, s[34:35]
.LBB6_15509:                            ;   in Loop: Header=BB6_14596 Depth=3
	s_or_b64 exec, exec, s[28:29]
	v_add_f32_e32 v4, v4, v2
	v_and_b32_e32 v16, 0x7f800000, v4
	v_mov_b32_e32 v17, v51
	v_cmp_ne_u64_e32 vcc, s[76:77], v[16:17]
                                        ; implicit-def: $vgpr35
	s_and_saveexec_b64 s[28:29], vcc
	s_xor_b64 s[34:35], exec, s[28:29]
	s_cbranch_execz .LBB6_15527
; %bb.15510:                            ;   in Loop: Header=BB6_14596 Depth=3
	v_and_b32_e32 v16, 0x7fffffff, v4
	v_mov_b32_e32 v17, v51
	v_cmp_gt_u64_e32 vcc, s[78:79], v[16:17]
	v_and_b32_sdwa v2, v4, s96 dst_sel:DWORD dst_unused:UNUSED_PAD src0_sel:BYTE_3 src1_sel:DWORD
                                        ; implicit-def: $vgpr35
	s_and_saveexec_b64 s[28:29], vcc
	s_xor_b64 s[36:37], exec, s[28:29]
	s_cbranch_execz .LBB6_15524
; %bb.15511:                            ;   in Loop: Header=BB6_14596 Depth=3
	v_cmp_ne_u32_e32 vcc, 0, v4
	v_mov_b32_e32 v35, 0
	s_and_saveexec_b64 s[38:39], vcc
	s_cbranch_execz .LBB6_15523
; %bb.15512:                            ;   in Loop: Header=BB6_14596 Depth=3
	v_bfe_u32 v31, v4, 23, 8
	v_and_b32_e32 v5, 0x7fffff, v4
	v_cmp_gt_u32_e64 s[28:29], s97, v31
	v_sub_u32_e32 v4, 0x79, v31
	v_cmp_eq_u32_e32 vcc, 0, v31
	v_cndmask_b32_e64 v4, 0, v4, s[28:29]
	v_mov_b32_e32 v17, 0x78
	v_or_b32_e32 v16, 0x800000, v5
	v_cndmask_b32_e32 v32, v4, v17, vcc
	v_cndmask_b32_e32 v4, v16, v5, vcc
	v_add_u32_e32 v16, 20, v32
	v_lshlrev_b64 v[16:17], v16, -1
	v_add_u32_e32 v34, 19, v32
	v_lshlrev_b64 v[34:35], v34, 1
	v_mov_b32_e32 v5, v51
	v_bfi_b32 v17, v17, 0, 0
	v_bfi_b32 v16, v16, 0, v4
	v_cmp_eq_u64_e64 s[28:29], v[16:17], v[34:35]
	v_lshrrev_b64 v[16:17], v32, v[4:5]
	v_mov_b32_e32 v4, v16
	v_mov_b32_e32 v5, v17
	s_and_saveexec_b64 s[48:49], s[28:29]
; %bb.15513:                            ;   in Loop: Header=BB6_14596 Depth=3
	v_bfe_u32 v4, v16, 20, 1
	v_add_co_u32_e64 v4, s[28:29], v16, v4
	v_add_co_u32_e64 v4, s[28:29], -1, v4
; %bb.15514:                            ;   in Loop: Header=BB6_14596 Depth=3
	s_or_b64 exec, exec, s[48:49]
	v_add_u32_e32 v5, 0xffffff81, v31
	v_mov_b32_e32 v17, 0xffffff82
	v_cndmask_b32_e32 v5, v5, v17, vcc
	v_lshrrev_b32_e32 v17, 23, v16
	v_add3_u32 v31, v32, v5, v17
	v_add_u32_e32 v5, 6, v31
	v_and_b32_e32 v4, 0xfffff, v4
	v_add_u32_e32 v16, v4, v16
	v_mov_b32_e32 v17, v51
	v_cmp_ne_u32_e32 vcc, 0, v5
                                        ; implicit-def: $vgpr4
	s_and_saveexec_b64 s[28:29], vcc
	s_xor_b64 s[28:29], exec, s[28:29]
; %bb.15515:                            ;   in Loop: Header=BB6_14596 Depth=3
	v_cmp_lt_u64_e32 vcc, s[88:89], v[16:17]
	v_add_u32_e32 v4, 7, v31
	v_cndmask_b32_e32 v4, v5, v4, vcc
	v_cndmask_b32_e64 v5, 0, 1, vcc
	v_lshrrev_b64 v[16:17], v5, v[16:17]
; %bb.15516:                            ;   in Loop: Header=BB6_14596 Depth=3
	s_andn2_saveexec_b64 s[28:29], s[28:29]
; %bb.15517:                            ;   in Loop: Header=BB6_14596 Depth=3
	v_bfe_u32 v4, v16, 23, 1
; %bb.15518:                            ;   in Loop: Header=BB6_14596 Depth=3
	s_or_b64 exec, exec, s[28:29]
	v_lshrrev_b64 v[16:17], 20, v[16:17]
	v_cmp_gt_i32_e32 vcc, 16, v4
	v_cndmask_b32_e32 v17, 0, v17, vcc
	v_cndmask_b32_e32 v16, 7, v16, vcc
	v_cmp_ne_u64_e32 vcc, 0, v[16:17]
	v_cmp_ne_u32_e64 s[28:29], 0, v4
	s_or_b64 s[28:29], s[28:29], vcc
                                        ; implicit-def: $vgpr35
	s_and_saveexec_b64 vcc, s[28:29]
	s_xor_b64 s[28:29], exec, vcc
; %bb.15519:                            ;   in Loop: Header=BB6_14596 Depth=3
	v_min_i32_e32 v4, 15, v4
	v_lshl_or_b32 v2, v4, 3, v2
	v_and_or_b32 v35, v16, 7, v2
                                        ; implicit-def: $vgpr2
; %bb.15520:                            ;   in Loop: Header=BB6_14596 Depth=3
	s_andn2_saveexec_b64 s[28:29], s[28:29]
; %bb.15521:                            ;   in Loop: Header=BB6_14596 Depth=3
	v_mov_b32_e32 v35, v2
; %bb.15522:                            ;   in Loop: Header=BB6_14596 Depth=3
	s_or_b64 exec, exec, s[28:29]
.LBB6_15523:                            ;   in Loop: Header=BB6_14596 Depth=3
	s_or_b64 exec, exec, s[38:39]
                                        ; implicit-def: $vgpr2
.LBB6_15524:                            ;   in Loop: Header=BB6_14596 Depth=3
	s_andn2_saveexec_b64 s[28:29], s[36:37]
; %bb.15525:                            ;   in Loop: Header=BB6_14596 Depth=3
	v_or_b32_e32 v35, 0x7e, v2
; %bb.15526:                            ;   in Loop: Header=BB6_14596 Depth=3
	s_or_b64 exec, exec, s[28:29]
                                        ; implicit-def: $vgpr4
.LBB6_15527:                            ;   in Loop: Header=BB6_14596 Depth=3
	s_andn2_saveexec_b64 s[28:29], s[34:35]
; %bb.15528:                            ;   in Loop: Header=BB6_14596 Depth=3
	v_or_b32_sdwa v35, v4, s86 dst_sel:DWORD dst_unused:UNUSED_PAD src0_sel:BYTE_3 src1_sel:DWORD
; %bb.15529:                            ;   in Loop: Header=BB6_14596 Depth=3
	s_or_b64 exec, exec, s[28:29]
	v_and_b32_e32 v16, 0xff, v52
	v_cmp_ne_u16_e32 vcc, 0, v16
	v_mov_b32_e32 v2, 0
	v_mov_b32_e32 v4, 0
	s_and_saveexec_b64 s[28:29], vcc
	s_cbranch_execz .LBB6_15535
; %bb.15530:                            ;   in Loop: Header=BB6_14596 Depth=3
	v_cmp_ne_u16_e32 vcc, s96, v16
	v_bfrev_b32_e32 v4, 1
	s_and_saveexec_b64 s[34:35], vcc
	s_cbranch_execz .LBB6_15534
; %bb.15531:                            ;   in Loop: Header=BB6_14596 Depth=3
	v_and_b32_e32 v5, 0x7f, v52
	v_cmp_ne_u32_e32 vcc, s86, v5
	v_mov_b32_e32 v4, 0x7f800001
	s_and_saveexec_b64 s[36:37], vcc
	s_cbranch_execz .LBB6_15533
; %bb.15532:                            ;   in Loop: Header=BB6_14596 Depth=3
	v_and_b32_e32 v17, 7, v16
	v_ffbh_u32_e32 v4, v17
	v_min_u32_e32 v32, 32, v4
	v_subrev_u32_e32 v4, 28, v32
	v_lshrrev_b32_e32 v31, 3, v5
	v_cmp_gt_u32_e32 vcc, 8, v5
	v_lshlrev_b64 v[4:5], v4, v[16:17]
	v_sub_u32_e32 v5, 29, v32
	v_and_b32_e32 v4, 7, v4
	v_cndmask_b32_e32 v5, v31, v5, vcc
	v_cndmask_b32_e32 v4, v17, v4, vcc
	v_lshlrev_b32_e32 v16, 24, v52
	v_bfrev_b32_e32 v17, 60
	v_lshlrev_b32_e32 v4, 20, v4
	v_and_b32_e32 v16, 0x80000000, v16
	v_lshl_add_u32 v5, v5, 23, v17
	v_or3_b32 v4, v16, v5, v4
.LBB6_15533:                            ;   in Loop: Header=BB6_14596 Depth=3
	s_or_b64 exec, exec, s[36:37]
.LBB6_15534:                            ;   in Loop: Header=BB6_14596 Depth=3
	s_or_b64 exec, exec, s[34:35]
.LBB6_15535:                            ;   in Loop: Header=BB6_14596 Depth=3
	s_or_b64 exec, exec, s[28:29]
	v_and_b32_e32 v16, 0xff, v53
	v_cmp_ne_u16_e32 vcc, 0, v16
	s_and_saveexec_b64 s[28:29], vcc
	s_cbranch_execz .LBB6_15541
; %bb.15536:                            ;   in Loop: Header=BB6_14596 Depth=3
	v_cmp_ne_u16_e32 vcc, s96, v16
	v_bfrev_b32_e32 v2, 1
	s_and_saveexec_b64 s[34:35], vcc
	s_cbranch_execz .LBB6_15540
; %bb.15537:                            ;   in Loop: Header=BB6_14596 Depth=3
	v_and_b32_e32 v5, 0x7f, v53
	v_cmp_ne_u32_e32 vcc, s86, v5
	v_mov_b32_e32 v2, 0x7f800001
	s_and_saveexec_b64 s[36:37], vcc
	s_cbranch_execz .LBB6_15539
; %bb.15538:                            ;   in Loop: Header=BB6_14596 Depth=3
	v_and_b32_e32 v2, 7, v16
	v_lshrrev_b32_e32 v31, 3, v5
	v_cmp_gt_u32_e32 vcc, 8, v5
	v_ffbh_u32_e32 v5, v2
	v_min_u32_e32 v5, 32, v5
	v_subrev_u32_e32 v17, 28, v5
	v_lshlrev_b64 v[16:17], v17, v[16:17]
	v_sub_u32_e32 v5, 29, v5
	v_and_b32_e32 v16, 7, v16
	v_cndmask_b32_e32 v5, v31, v5, vcc
	v_cndmask_b32_e32 v2, v2, v16, vcc
	v_lshlrev_b32_e32 v16, 24, v53
	v_bfrev_b32_e32 v17, 60
	v_lshlrev_b32_e32 v2, 20, v2
	v_and_b32_e32 v16, 0x80000000, v16
	v_lshl_add_u32 v5, v5, 23, v17
	v_or3_b32 v2, v16, v5, v2
.LBB6_15539:                            ;   in Loop: Header=BB6_14596 Depth=3
	s_or_b64 exec, exec, s[36:37]
.LBB6_15540:                            ;   in Loop: Header=BB6_14596 Depth=3
	s_or_b64 exec, exec, s[34:35]
.LBB6_15541:                            ;   in Loop: Header=BB6_14596 Depth=3
	s_or_b64 exec, exec, s[28:29]
	v_add_f32_e32 v4, v4, v2
	v_and_b32_e32 v16, 0x7f800000, v4
	v_mov_b32_e32 v17, v51
	v_cmp_ne_u64_e32 vcc, s[76:77], v[16:17]
                                        ; implicit-def: $vgpr52
	s_and_saveexec_b64 s[28:29], vcc
	s_xor_b64 s[34:35], exec, s[28:29]
	s_cbranch_execz .LBB6_15559
; %bb.15542:                            ;   in Loop: Header=BB6_14596 Depth=3
	v_and_b32_e32 v16, 0x7fffffff, v4
	v_mov_b32_e32 v17, v51
	v_cmp_gt_u64_e32 vcc, s[78:79], v[16:17]
	v_and_b32_sdwa v2, v4, s96 dst_sel:DWORD dst_unused:UNUSED_PAD src0_sel:BYTE_3 src1_sel:DWORD
                                        ; implicit-def: $vgpr52
	s_and_saveexec_b64 s[28:29], vcc
	s_xor_b64 s[36:37], exec, s[28:29]
	s_cbranch_execz .LBB6_15556
; %bb.15543:                            ;   in Loop: Header=BB6_14596 Depth=3
	v_cmp_ne_u32_e32 vcc, 0, v4
	v_mov_b32_e32 v52, 0
	s_and_saveexec_b64 s[38:39], vcc
	s_cbranch_execz .LBB6_15555
; %bb.15544:                            ;   in Loop: Header=BB6_14596 Depth=3
	v_bfe_u32 v31, v4, 23, 8
	v_and_b32_e32 v5, 0x7fffff, v4
	v_cmp_gt_u32_e64 s[28:29], s97, v31
	v_sub_u32_e32 v4, 0x79, v31
	v_cmp_eq_u32_e32 vcc, 0, v31
	v_cndmask_b32_e64 v4, 0, v4, s[28:29]
	v_mov_b32_e32 v17, 0x78
	v_or_b32_e32 v16, 0x800000, v5
	v_cndmask_b32_e32 v32, v4, v17, vcc
	v_cndmask_b32_e32 v4, v16, v5, vcc
	v_add_u32_e32 v16, 20, v32
	v_lshlrev_b64 v[16:17], v16, -1
	v_add_u32_e32 v34, 19, v32
	v_lshlrev_b64 v[37:38], v34, 1
	v_mov_b32_e32 v5, v51
	v_bfi_b32 v17, v17, 0, 0
	v_bfi_b32 v16, v16, 0, v4
	v_cmp_eq_u64_e64 s[28:29], v[16:17], v[37:38]
	v_lshrrev_b64 v[16:17], v32, v[4:5]
	v_mov_b32_e32 v4, v16
	v_mov_b32_e32 v5, v17
	s_and_saveexec_b64 s[48:49], s[28:29]
; %bb.15545:                            ;   in Loop: Header=BB6_14596 Depth=3
	v_bfe_u32 v4, v16, 20, 1
	v_add_co_u32_e64 v4, s[28:29], v16, v4
	v_add_co_u32_e64 v4, s[28:29], -1, v4
; %bb.15546:                            ;   in Loop: Header=BB6_14596 Depth=3
	s_or_b64 exec, exec, s[48:49]
	v_add_u32_e32 v5, 0xffffff81, v31
	v_mov_b32_e32 v17, 0xffffff82
	v_cndmask_b32_e32 v5, v5, v17, vcc
	v_lshrrev_b32_e32 v17, 23, v16
	v_add3_u32 v31, v32, v5, v17
	v_add_u32_e32 v5, 6, v31
	v_and_b32_e32 v4, 0xfffff, v4
	v_add_u32_e32 v16, v4, v16
	v_mov_b32_e32 v17, v51
	v_cmp_ne_u32_e32 vcc, 0, v5
                                        ; implicit-def: $vgpr4
	s_and_saveexec_b64 s[28:29], vcc
	s_xor_b64 s[28:29], exec, s[28:29]
; %bb.15547:                            ;   in Loop: Header=BB6_14596 Depth=3
	v_cmp_lt_u64_e32 vcc, s[88:89], v[16:17]
	v_add_u32_e32 v4, 7, v31
	v_cndmask_b32_e32 v4, v5, v4, vcc
	v_cndmask_b32_e64 v5, 0, 1, vcc
	v_lshrrev_b64 v[16:17], v5, v[16:17]
; %bb.15548:                            ;   in Loop: Header=BB6_14596 Depth=3
	s_andn2_saveexec_b64 s[28:29], s[28:29]
; %bb.15549:                            ;   in Loop: Header=BB6_14596 Depth=3
	v_bfe_u32 v4, v16, 23, 1
; %bb.15550:                            ;   in Loop: Header=BB6_14596 Depth=3
	s_or_b64 exec, exec, s[28:29]
	v_lshrrev_b64 v[16:17], 20, v[16:17]
	v_cmp_gt_i32_e32 vcc, 16, v4
	v_cndmask_b32_e32 v17, 0, v17, vcc
	v_cndmask_b32_e32 v16, 7, v16, vcc
	v_cmp_ne_u64_e32 vcc, 0, v[16:17]
	v_cmp_ne_u32_e64 s[28:29], 0, v4
	s_or_b64 s[28:29], s[28:29], vcc
                                        ; implicit-def: $vgpr52
	s_and_saveexec_b64 vcc, s[28:29]
	s_xor_b64 s[28:29], exec, vcc
; %bb.15551:                            ;   in Loop: Header=BB6_14596 Depth=3
	v_min_i32_e32 v4, 15, v4
	v_lshl_or_b32 v2, v4, 3, v2
	v_and_or_b32 v52, v16, 7, v2
                                        ; implicit-def: $vgpr2
; %bb.15552:                            ;   in Loop: Header=BB6_14596 Depth=3
	s_andn2_saveexec_b64 s[28:29], s[28:29]
; %bb.15553:                            ;   in Loop: Header=BB6_14596 Depth=3
	v_mov_b32_e32 v52, v2
; %bb.15554:                            ;   in Loop: Header=BB6_14596 Depth=3
	s_or_b64 exec, exec, s[28:29]
.LBB6_15555:                            ;   in Loop: Header=BB6_14596 Depth=3
	s_or_b64 exec, exec, s[38:39]
                                        ; implicit-def: $vgpr2
.LBB6_15556:                            ;   in Loop: Header=BB6_14596 Depth=3
	s_andn2_saveexec_b64 s[28:29], s[36:37]
; %bb.15557:                            ;   in Loop: Header=BB6_14596 Depth=3
	v_or_b32_e32 v52, 0x7e, v2
; %bb.15558:                            ;   in Loop: Header=BB6_14596 Depth=3
	s_or_b64 exec, exec, s[28:29]
                                        ; implicit-def: $vgpr4
.LBB6_15559:                            ;   in Loop: Header=BB6_14596 Depth=3
	s_andn2_saveexec_b64 s[28:29], s[34:35]
; %bb.15560:                            ;   in Loop: Header=BB6_14596 Depth=3
	v_or_b32_sdwa v52, v4, s86 dst_sel:DWORD dst_unused:UNUSED_PAD src0_sel:BYTE_3 src1_sel:DWORD
; %bb.15561:                            ;   in Loop: Header=BB6_14596 Depth=3
	s_or_b64 exec, exec, s[28:29]
	v_and_b32_e32 v16, 0xff, v44
	v_cmp_ne_u16_e32 vcc, 0, v16
	v_mov_b32_e32 v2, 0
	v_mov_b32_e32 v4, 0
	s_and_saveexec_b64 s[28:29], vcc
	s_cbranch_execz .LBB6_15567
; %bb.15562:                            ;   in Loop: Header=BB6_14596 Depth=3
	v_cmp_ne_u16_e32 vcc, s96, v16
	v_bfrev_b32_e32 v4, 1
	s_and_saveexec_b64 s[34:35], vcc
	s_cbranch_execz .LBB6_15566
; %bb.15563:                            ;   in Loop: Header=BB6_14596 Depth=3
	v_and_b32_e32 v5, 0x7f, v44
	v_cmp_ne_u32_e32 vcc, s86, v5
	v_mov_b32_e32 v4, 0x7f800001
	s_and_saveexec_b64 s[36:37], vcc
	s_cbranch_execz .LBB6_15565
; %bb.15564:                            ;   in Loop: Header=BB6_14596 Depth=3
	v_and_b32_e32 v17, 7, v16
	v_ffbh_u32_e32 v4, v17
	v_min_u32_e32 v32, 32, v4
	v_subrev_u32_e32 v4, 28, v32
	v_lshrrev_b32_e32 v31, 3, v5
	v_cmp_gt_u32_e32 vcc, 8, v5
	v_lshlrev_b64 v[4:5], v4, v[16:17]
	v_sub_u32_e32 v5, 29, v32
	v_and_b32_e32 v4, 7, v4
	v_cndmask_b32_e32 v5, v31, v5, vcc
	v_cndmask_b32_e32 v4, v17, v4, vcc
	v_lshlrev_b32_e32 v16, 24, v44
	v_bfrev_b32_e32 v17, 60
	v_lshlrev_b32_e32 v4, 20, v4
	v_and_b32_e32 v16, 0x80000000, v16
	v_lshl_add_u32 v5, v5, 23, v17
	v_or3_b32 v4, v16, v5, v4
.LBB6_15565:                            ;   in Loop: Header=BB6_14596 Depth=3
	s_or_b64 exec, exec, s[36:37]
.LBB6_15566:                            ;   in Loop: Header=BB6_14596 Depth=3
	s_or_b64 exec, exec, s[34:35]
.LBB6_15567:                            ;   in Loop: Header=BB6_14596 Depth=3
	s_or_b64 exec, exec, s[28:29]
	v_and_b32_e32 v16, 0xff, v30
	v_cmp_ne_u16_e32 vcc, 0, v16
	s_and_saveexec_b64 s[28:29], vcc
	s_cbranch_execz .LBB6_15573
; %bb.15568:                            ;   in Loop: Header=BB6_14596 Depth=3
	v_cmp_ne_u16_e32 vcc, s96, v16
	v_bfrev_b32_e32 v2, 1
	s_and_saveexec_b64 s[34:35], vcc
	s_cbranch_execz .LBB6_15572
; %bb.15569:                            ;   in Loop: Header=BB6_14596 Depth=3
	v_and_b32_e32 v5, 0x7f, v30
	v_cmp_ne_u32_e32 vcc, s86, v5
	v_mov_b32_e32 v2, 0x7f800001
	s_and_saveexec_b64 s[36:37], vcc
	s_cbranch_execz .LBB6_15571
; %bb.15570:                            ;   in Loop: Header=BB6_14596 Depth=3
	v_and_b32_e32 v2, 7, v16
	v_lshrrev_b32_e32 v31, 3, v5
	v_cmp_gt_u32_e32 vcc, 8, v5
	v_ffbh_u32_e32 v5, v2
	v_min_u32_e32 v5, 32, v5
	v_subrev_u32_e32 v17, 28, v5
	v_lshlrev_b64 v[16:17], v17, v[16:17]
	v_sub_u32_e32 v5, 29, v5
	v_and_b32_e32 v16, 7, v16
	v_cndmask_b32_e32 v5, v31, v5, vcc
	v_cndmask_b32_e32 v2, v2, v16, vcc
	v_lshlrev_b32_e32 v16, 24, v30
	v_bfrev_b32_e32 v17, 60
	v_lshlrev_b32_e32 v2, 20, v2
	v_and_b32_e32 v16, 0x80000000, v16
	v_lshl_add_u32 v5, v5, 23, v17
	v_or3_b32 v2, v16, v5, v2
.LBB6_15571:                            ;   in Loop: Header=BB6_14596 Depth=3
	s_or_b64 exec, exec, s[36:37]
.LBB6_15572:                            ;   in Loop: Header=BB6_14596 Depth=3
	s_or_b64 exec, exec, s[34:35]
.LBB6_15573:                            ;   in Loop: Header=BB6_14596 Depth=3
	s_or_b64 exec, exec, s[28:29]
	v_add_f32_e32 v4, v4, v2
	v_and_b32_e32 v16, 0x7f800000, v4
	v_mov_b32_e32 v17, v51
	v_cmp_ne_u64_e32 vcc, s[76:77], v[16:17]
                                        ; implicit-def: $vgpr44
	s_and_saveexec_b64 s[28:29], vcc
	s_xor_b64 s[34:35], exec, s[28:29]
	s_cbranch_execz .LBB6_15591
; %bb.15574:                            ;   in Loop: Header=BB6_14596 Depth=3
	v_and_b32_e32 v16, 0x7fffffff, v4
	v_mov_b32_e32 v17, v51
	v_cmp_gt_u64_e32 vcc, s[78:79], v[16:17]
	v_and_b32_sdwa v2, v4, s96 dst_sel:DWORD dst_unused:UNUSED_PAD src0_sel:BYTE_3 src1_sel:DWORD
                                        ; implicit-def: $vgpr44
	s_and_saveexec_b64 s[28:29], vcc
	s_xor_b64 s[36:37], exec, s[28:29]
	s_cbranch_execz .LBB6_15588
; %bb.15575:                            ;   in Loop: Header=BB6_14596 Depth=3
	v_cmp_ne_u32_e32 vcc, 0, v4
	v_mov_b32_e32 v44, 0
	s_and_saveexec_b64 s[38:39], vcc
	s_cbranch_execz .LBB6_15587
; %bb.15576:                            ;   in Loop: Header=BB6_14596 Depth=3
	v_bfe_u32 v30, v4, 23, 8
	v_and_b32_e32 v5, 0x7fffff, v4
	v_cmp_gt_u32_e64 s[28:29], s97, v30
	v_sub_u32_e32 v4, 0x79, v30
	v_cmp_eq_u32_e32 vcc, 0, v30
	v_cndmask_b32_e64 v4, 0, v4, s[28:29]
	v_mov_b32_e32 v17, 0x78
	v_or_b32_e32 v16, 0x800000, v5
	v_cndmask_b32_e32 v31, v4, v17, vcc
	v_cndmask_b32_e32 v4, v16, v5, vcc
	v_add_u32_e32 v16, 20, v31
	v_lshlrev_b64 v[16:17], v16, -1
	v_add_u32_e32 v32, 19, v31
	v_lshlrev_b64 v[37:38], v32, 1
	v_mov_b32_e32 v5, v51
	v_bfi_b32 v17, v17, 0, 0
	v_bfi_b32 v16, v16, 0, v4
	v_cmp_eq_u64_e64 s[28:29], v[16:17], v[37:38]
	v_lshrrev_b64 v[16:17], v31, v[4:5]
	v_mov_b32_e32 v4, v16
	v_mov_b32_e32 v5, v17
	s_and_saveexec_b64 s[48:49], s[28:29]
; %bb.15577:                            ;   in Loop: Header=BB6_14596 Depth=3
	v_bfe_u32 v4, v16, 20, 1
	v_add_co_u32_e64 v4, s[28:29], v16, v4
	v_add_co_u32_e64 v4, s[28:29], -1, v4
; %bb.15578:                            ;   in Loop: Header=BB6_14596 Depth=3
	s_or_b64 exec, exec, s[48:49]
	v_add_u32_e32 v5, 0xffffff81, v30
	v_mov_b32_e32 v17, 0xffffff82
	v_cndmask_b32_e32 v5, v5, v17, vcc
	v_lshrrev_b32_e32 v17, 23, v16
	v_add3_u32 v30, v31, v5, v17
	v_add_u32_e32 v5, 6, v30
	v_and_b32_e32 v4, 0xfffff, v4
	v_add_u32_e32 v16, v4, v16
	v_mov_b32_e32 v17, v51
	v_cmp_ne_u32_e32 vcc, 0, v5
                                        ; implicit-def: $vgpr4
	s_and_saveexec_b64 s[28:29], vcc
	s_xor_b64 s[28:29], exec, s[28:29]
; %bb.15579:                            ;   in Loop: Header=BB6_14596 Depth=3
	v_cmp_lt_u64_e32 vcc, s[88:89], v[16:17]
	v_add_u32_e32 v4, 7, v30
	v_cndmask_b32_e32 v4, v5, v4, vcc
	v_cndmask_b32_e64 v5, 0, 1, vcc
	v_lshrrev_b64 v[16:17], v5, v[16:17]
; %bb.15580:                            ;   in Loop: Header=BB6_14596 Depth=3
	s_andn2_saveexec_b64 s[28:29], s[28:29]
; %bb.15581:                            ;   in Loop: Header=BB6_14596 Depth=3
	v_bfe_u32 v4, v16, 23, 1
; %bb.15582:                            ;   in Loop: Header=BB6_14596 Depth=3
	s_or_b64 exec, exec, s[28:29]
	v_lshrrev_b64 v[16:17], 20, v[16:17]
	v_cmp_gt_i32_e32 vcc, 16, v4
	v_cndmask_b32_e32 v17, 0, v17, vcc
	v_cndmask_b32_e32 v16, 7, v16, vcc
	v_cmp_ne_u64_e32 vcc, 0, v[16:17]
	v_cmp_ne_u32_e64 s[28:29], 0, v4
	s_or_b64 s[28:29], s[28:29], vcc
                                        ; implicit-def: $vgpr44
	s_and_saveexec_b64 vcc, s[28:29]
	s_xor_b64 s[28:29], exec, vcc
; %bb.15583:                            ;   in Loop: Header=BB6_14596 Depth=3
	v_min_i32_e32 v4, 15, v4
	v_lshl_or_b32 v2, v4, 3, v2
	v_and_or_b32 v44, v16, 7, v2
                                        ; implicit-def: $vgpr2
; %bb.15584:                            ;   in Loop: Header=BB6_14596 Depth=3
	s_andn2_saveexec_b64 s[28:29], s[28:29]
; %bb.15585:                            ;   in Loop: Header=BB6_14596 Depth=3
	v_mov_b32_e32 v44, v2
; %bb.15586:                            ;   in Loop: Header=BB6_14596 Depth=3
	s_or_b64 exec, exec, s[28:29]
.LBB6_15587:                            ;   in Loop: Header=BB6_14596 Depth=3
	s_or_b64 exec, exec, s[38:39]
                                        ; implicit-def: $vgpr2
.LBB6_15588:                            ;   in Loop: Header=BB6_14596 Depth=3
	s_andn2_saveexec_b64 s[28:29], s[36:37]
; %bb.15589:                            ;   in Loop: Header=BB6_14596 Depth=3
	v_or_b32_e32 v44, 0x7e, v2
; %bb.15590:                            ;   in Loop: Header=BB6_14596 Depth=3
	s_or_b64 exec, exec, s[28:29]
                                        ; implicit-def: $vgpr4
.LBB6_15591:                            ;   in Loop: Header=BB6_14596 Depth=3
	s_andn2_saveexec_b64 s[28:29], s[34:35]
; %bb.15592:                            ;   in Loop: Header=BB6_14596 Depth=3
	v_or_b32_sdwa v44, v4, s86 dst_sel:DWORD dst_unused:UNUSED_PAD src0_sel:BYTE_3 src1_sel:DWORD
; %bb.15593:                            ;   in Loop: Header=BB6_14596 Depth=3
	s_or_b64 exec, exec, s[28:29]
	v_and_b32_e32 v16, 0xff, v47
	v_cmp_ne_u16_e32 vcc, 0, v16
	v_mov_b32_e32 v2, 0
	v_mov_b32_e32 v4, 0
	s_and_saveexec_b64 s[28:29], vcc
	s_cbranch_execz .LBB6_15599
; %bb.15594:                            ;   in Loop: Header=BB6_14596 Depth=3
	v_cmp_ne_u16_e32 vcc, s96, v16
	v_bfrev_b32_e32 v4, 1
	s_and_saveexec_b64 s[34:35], vcc
	s_cbranch_execz .LBB6_15598
; %bb.15595:                            ;   in Loop: Header=BB6_14596 Depth=3
	v_and_b32_e32 v5, 0x7f, v47
	v_cmp_ne_u32_e32 vcc, s86, v5
	v_mov_b32_e32 v4, 0x7f800001
	s_and_saveexec_b64 s[36:37], vcc
	s_cbranch_execz .LBB6_15597
; %bb.15596:                            ;   in Loop: Header=BB6_14596 Depth=3
	v_and_b32_e32 v17, 7, v16
	v_ffbh_u32_e32 v4, v17
	v_min_u32_e32 v31, 32, v4
	v_subrev_u32_e32 v4, 28, v31
	v_lshrrev_b32_e32 v30, 3, v5
	v_cmp_gt_u32_e32 vcc, 8, v5
	v_lshlrev_b64 v[4:5], v4, v[16:17]
	v_sub_u32_e32 v5, 29, v31
	v_and_b32_e32 v4, 7, v4
	v_cndmask_b32_e32 v5, v30, v5, vcc
	v_cndmask_b32_e32 v4, v17, v4, vcc
	v_lshlrev_b32_e32 v16, 24, v47
	v_bfrev_b32_e32 v17, 60
	v_lshlrev_b32_e32 v4, 20, v4
	v_and_b32_e32 v16, 0x80000000, v16
	v_lshl_add_u32 v5, v5, 23, v17
	v_or3_b32 v4, v16, v5, v4
.LBB6_15597:                            ;   in Loop: Header=BB6_14596 Depth=3
	s_or_b64 exec, exec, s[36:37]
.LBB6_15598:                            ;   in Loop: Header=BB6_14596 Depth=3
	s_or_b64 exec, exec, s[34:35]
.LBB6_15599:                            ;   in Loop: Header=BB6_14596 Depth=3
	s_or_b64 exec, exec, s[28:29]
	v_and_b32_e32 v16, 0xff, v29
	v_cmp_ne_u16_e32 vcc, 0, v16
	s_and_saveexec_b64 s[28:29], vcc
	s_cbranch_execz .LBB6_15605
; %bb.15600:                            ;   in Loop: Header=BB6_14596 Depth=3
	v_cmp_ne_u16_e32 vcc, s96, v16
	v_bfrev_b32_e32 v2, 1
	s_and_saveexec_b64 s[34:35], vcc
	s_cbranch_execz .LBB6_15604
; %bb.15601:                            ;   in Loop: Header=BB6_14596 Depth=3
	v_and_b32_e32 v5, 0x7f, v29
	v_cmp_ne_u32_e32 vcc, s86, v5
	v_mov_b32_e32 v2, 0x7f800001
	s_and_saveexec_b64 s[36:37], vcc
	s_cbranch_execz .LBB6_15603
; %bb.15602:                            ;   in Loop: Header=BB6_14596 Depth=3
	v_and_b32_e32 v2, 7, v16
	v_lshrrev_b32_e32 v30, 3, v5
	v_cmp_gt_u32_e32 vcc, 8, v5
	v_ffbh_u32_e32 v5, v2
	v_min_u32_e32 v5, 32, v5
	v_subrev_u32_e32 v17, 28, v5
	v_lshlrev_b64 v[16:17], v17, v[16:17]
	v_sub_u32_e32 v5, 29, v5
	v_and_b32_e32 v16, 7, v16
	v_cndmask_b32_e32 v5, v30, v5, vcc
	v_cndmask_b32_e32 v2, v2, v16, vcc
	v_lshlrev_b32_e32 v16, 24, v29
	v_bfrev_b32_e32 v17, 60
	v_lshlrev_b32_e32 v2, 20, v2
	v_and_b32_e32 v16, 0x80000000, v16
	v_lshl_add_u32 v5, v5, 23, v17
	v_or3_b32 v2, v16, v5, v2
.LBB6_15603:                            ;   in Loop: Header=BB6_14596 Depth=3
	s_or_b64 exec, exec, s[36:37]
.LBB6_15604:                            ;   in Loop: Header=BB6_14596 Depth=3
	s_or_b64 exec, exec, s[34:35]
.LBB6_15605:                            ;   in Loop: Header=BB6_14596 Depth=3
	s_or_b64 exec, exec, s[28:29]
	v_add_f32_e32 v4, v4, v2
	v_and_b32_e32 v16, 0x7f800000, v4
	v_mov_b32_e32 v17, v51
	v_cmp_ne_u64_e32 vcc, s[76:77], v[16:17]
                                        ; implicit-def: $vgpr47
	s_and_saveexec_b64 s[28:29], vcc
	s_xor_b64 s[34:35], exec, s[28:29]
	s_cbranch_execz .LBB6_15623
; %bb.15606:                            ;   in Loop: Header=BB6_14596 Depth=3
	v_and_b32_e32 v16, 0x7fffffff, v4
	v_mov_b32_e32 v17, v51
	v_cmp_gt_u64_e32 vcc, s[78:79], v[16:17]
	v_and_b32_sdwa v2, v4, s96 dst_sel:DWORD dst_unused:UNUSED_PAD src0_sel:BYTE_3 src1_sel:DWORD
                                        ; implicit-def: $vgpr47
	s_and_saveexec_b64 s[28:29], vcc
	s_xor_b64 s[36:37], exec, s[28:29]
	s_cbranch_execz .LBB6_15620
; %bb.15607:                            ;   in Loop: Header=BB6_14596 Depth=3
	v_cmp_ne_u32_e32 vcc, 0, v4
	v_mov_b32_e32 v47, 0
	s_and_saveexec_b64 s[38:39], vcc
	s_cbranch_execz .LBB6_15619
; %bb.15608:                            ;   in Loop: Header=BB6_14596 Depth=3
	v_bfe_u32 v29, v4, 23, 8
	v_and_b32_e32 v5, 0x7fffff, v4
	v_cmp_gt_u32_e64 s[28:29], s97, v29
	v_sub_u32_e32 v4, 0x79, v29
	v_cmp_eq_u32_e32 vcc, 0, v29
	v_cndmask_b32_e64 v4, 0, v4, s[28:29]
	v_mov_b32_e32 v17, 0x78
	v_or_b32_e32 v16, 0x800000, v5
	v_cndmask_b32_e32 v30, v4, v17, vcc
	v_cndmask_b32_e32 v4, v16, v5, vcc
	v_add_u32_e32 v16, 20, v30
	v_lshlrev_b64 v[16:17], v16, -1
	v_add_u32_e32 v31, 19, v30
	v_lshlrev_b64 v[31:32], v31, 1
	v_mov_b32_e32 v5, v51
	v_bfi_b32 v17, v17, 0, 0
	v_bfi_b32 v16, v16, 0, v4
	v_cmp_eq_u64_e64 s[28:29], v[16:17], v[31:32]
	v_lshrrev_b64 v[16:17], v30, v[4:5]
	v_mov_b32_e32 v4, v16
	v_mov_b32_e32 v5, v17
	s_and_saveexec_b64 s[48:49], s[28:29]
; %bb.15609:                            ;   in Loop: Header=BB6_14596 Depth=3
	v_bfe_u32 v4, v16, 20, 1
	v_add_co_u32_e64 v4, s[28:29], v16, v4
	v_add_co_u32_e64 v4, s[28:29], -1, v4
; %bb.15610:                            ;   in Loop: Header=BB6_14596 Depth=3
	s_or_b64 exec, exec, s[48:49]
	v_add_u32_e32 v5, 0xffffff81, v29
	v_mov_b32_e32 v17, 0xffffff82
	v_cndmask_b32_e32 v5, v5, v17, vcc
	v_lshrrev_b32_e32 v17, 23, v16
	v_add3_u32 v29, v30, v5, v17
	v_add_u32_e32 v5, 6, v29
	v_and_b32_e32 v4, 0xfffff, v4
	v_add_u32_e32 v16, v4, v16
	v_mov_b32_e32 v17, v51
	v_cmp_ne_u32_e32 vcc, 0, v5
                                        ; implicit-def: $vgpr4
	s_and_saveexec_b64 s[28:29], vcc
	s_xor_b64 s[28:29], exec, s[28:29]
; %bb.15611:                            ;   in Loop: Header=BB6_14596 Depth=3
	v_cmp_lt_u64_e32 vcc, s[88:89], v[16:17]
	v_add_u32_e32 v4, 7, v29
	v_cndmask_b32_e32 v4, v5, v4, vcc
	v_cndmask_b32_e64 v5, 0, 1, vcc
	v_lshrrev_b64 v[16:17], v5, v[16:17]
; %bb.15612:                            ;   in Loop: Header=BB6_14596 Depth=3
	s_andn2_saveexec_b64 s[28:29], s[28:29]
; %bb.15613:                            ;   in Loop: Header=BB6_14596 Depth=3
	v_bfe_u32 v4, v16, 23, 1
; %bb.15614:                            ;   in Loop: Header=BB6_14596 Depth=3
	s_or_b64 exec, exec, s[28:29]
	v_lshrrev_b64 v[16:17], 20, v[16:17]
	v_cmp_gt_i32_e32 vcc, 16, v4
	v_cndmask_b32_e32 v17, 0, v17, vcc
	v_cndmask_b32_e32 v16, 7, v16, vcc
	v_cmp_ne_u64_e32 vcc, 0, v[16:17]
	v_cmp_ne_u32_e64 s[28:29], 0, v4
	s_or_b64 s[28:29], s[28:29], vcc
                                        ; implicit-def: $vgpr47
	s_and_saveexec_b64 vcc, s[28:29]
	s_xor_b64 s[28:29], exec, vcc
; %bb.15615:                            ;   in Loop: Header=BB6_14596 Depth=3
	v_min_i32_e32 v4, 15, v4
	v_lshl_or_b32 v2, v4, 3, v2
	v_and_or_b32 v47, v16, 7, v2
                                        ; implicit-def: $vgpr2
; %bb.15616:                            ;   in Loop: Header=BB6_14596 Depth=3
	s_andn2_saveexec_b64 s[28:29], s[28:29]
; %bb.15617:                            ;   in Loop: Header=BB6_14596 Depth=3
	v_mov_b32_e32 v47, v2
; %bb.15618:                            ;   in Loop: Header=BB6_14596 Depth=3
	s_or_b64 exec, exec, s[28:29]
.LBB6_15619:                            ;   in Loop: Header=BB6_14596 Depth=3
	s_or_b64 exec, exec, s[38:39]
                                        ; implicit-def: $vgpr2
.LBB6_15620:                            ;   in Loop: Header=BB6_14596 Depth=3
	s_andn2_saveexec_b64 s[28:29], s[36:37]
; %bb.15621:                            ;   in Loop: Header=BB6_14596 Depth=3
	v_or_b32_e32 v47, 0x7e, v2
; %bb.15622:                            ;   in Loop: Header=BB6_14596 Depth=3
	s_or_b64 exec, exec, s[28:29]
                                        ; implicit-def: $vgpr4
.LBB6_15623:                            ;   in Loop: Header=BB6_14596 Depth=3
	s_andn2_saveexec_b64 s[28:29], s[34:35]
; %bb.15624:                            ;   in Loop: Header=BB6_14596 Depth=3
	v_or_b32_sdwa v47, v4, s86 dst_sel:DWORD dst_unused:UNUSED_PAD src0_sel:BYTE_3 src1_sel:DWORD
; %bb.15625:                            ;   in Loop: Header=BB6_14596 Depth=3
	s_or_b64 exec, exec, s[28:29]
	v_and_b32_e32 v16, 0xff, v46
	v_cmp_ne_u16_e32 vcc, 0, v16
	v_mov_b32_e32 v2, 0
	v_mov_b32_e32 v4, 0
	s_and_saveexec_b64 s[28:29], vcc
	s_cbranch_execz .LBB6_15631
; %bb.15626:                            ;   in Loop: Header=BB6_14596 Depth=3
	v_cmp_ne_u16_e32 vcc, s96, v16
	v_bfrev_b32_e32 v4, 1
	s_and_saveexec_b64 s[34:35], vcc
	s_cbranch_execz .LBB6_15630
; %bb.15627:                            ;   in Loop: Header=BB6_14596 Depth=3
	v_and_b32_e32 v5, 0x7f, v46
	v_cmp_ne_u32_e32 vcc, s86, v5
	v_mov_b32_e32 v4, 0x7f800001
	s_and_saveexec_b64 s[36:37], vcc
	s_cbranch_execz .LBB6_15629
; %bb.15628:                            ;   in Loop: Header=BB6_14596 Depth=3
	v_and_b32_e32 v17, 7, v16
	v_ffbh_u32_e32 v4, v17
	v_min_u32_e32 v30, 32, v4
	v_subrev_u32_e32 v4, 28, v30
	v_lshrrev_b32_e32 v29, 3, v5
	v_cmp_gt_u32_e32 vcc, 8, v5
	v_lshlrev_b64 v[4:5], v4, v[16:17]
	v_sub_u32_e32 v5, 29, v30
	v_and_b32_e32 v4, 7, v4
	v_cndmask_b32_e32 v5, v29, v5, vcc
	v_cndmask_b32_e32 v4, v17, v4, vcc
	v_lshlrev_b32_e32 v16, 24, v46
	v_bfrev_b32_e32 v17, 60
	v_lshlrev_b32_e32 v4, 20, v4
	v_and_b32_e32 v16, 0x80000000, v16
	v_lshl_add_u32 v5, v5, 23, v17
	v_or3_b32 v4, v16, v5, v4
.LBB6_15629:                            ;   in Loop: Header=BB6_14596 Depth=3
	s_or_b64 exec, exec, s[36:37]
.LBB6_15630:                            ;   in Loop: Header=BB6_14596 Depth=3
	s_or_b64 exec, exec, s[34:35]
.LBB6_15631:                            ;   in Loop: Header=BB6_14596 Depth=3
	s_or_b64 exec, exec, s[28:29]
	v_and_b32_e32 v16, 0xff, v26
	v_cmp_ne_u16_e32 vcc, 0, v16
	s_and_saveexec_b64 s[28:29], vcc
	s_cbranch_execz .LBB6_15637
; %bb.15632:                            ;   in Loop: Header=BB6_14596 Depth=3
	v_cmp_ne_u16_e32 vcc, s96, v16
	v_bfrev_b32_e32 v2, 1
	s_and_saveexec_b64 s[34:35], vcc
	s_cbranch_execz .LBB6_15636
; %bb.15633:                            ;   in Loop: Header=BB6_14596 Depth=3
	v_and_b32_e32 v5, 0x7f, v26
	v_cmp_ne_u32_e32 vcc, s86, v5
	v_mov_b32_e32 v2, 0x7f800001
	s_and_saveexec_b64 s[36:37], vcc
	s_cbranch_execz .LBB6_15635
; %bb.15634:                            ;   in Loop: Header=BB6_14596 Depth=3
	v_and_b32_e32 v2, 7, v16
	v_lshrrev_b32_e32 v29, 3, v5
	v_cmp_gt_u32_e32 vcc, 8, v5
	v_ffbh_u32_e32 v5, v2
	v_min_u32_e32 v5, 32, v5
	v_subrev_u32_e32 v17, 28, v5
	v_lshlrev_b64 v[16:17], v17, v[16:17]
	v_sub_u32_e32 v5, 29, v5
	v_and_b32_e32 v16, 7, v16
	v_cndmask_b32_e32 v5, v29, v5, vcc
	v_cndmask_b32_e32 v2, v2, v16, vcc
	v_lshlrev_b32_e32 v16, 24, v26
	v_bfrev_b32_e32 v17, 60
	v_lshlrev_b32_e32 v2, 20, v2
	v_and_b32_e32 v16, 0x80000000, v16
	v_lshl_add_u32 v5, v5, 23, v17
	v_or3_b32 v2, v16, v5, v2
.LBB6_15635:                            ;   in Loop: Header=BB6_14596 Depth=3
	s_or_b64 exec, exec, s[36:37]
.LBB6_15636:                            ;   in Loop: Header=BB6_14596 Depth=3
	s_or_b64 exec, exec, s[34:35]
.LBB6_15637:                            ;   in Loop: Header=BB6_14596 Depth=3
	s_or_b64 exec, exec, s[28:29]
	v_add_f32_e32 v4, v4, v2
	v_and_b32_e32 v16, 0x7f800000, v4
	v_mov_b32_e32 v17, v51
	v_cmp_ne_u64_e32 vcc, s[76:77], v[16:17]
                                        ; implicit-def: $vgpr46
	s_and_saveexec_b64 s[28:29], vcc
	s_xor_b64 s[34:35], exec, s[28:29]
	s_cbranch_execz .LBB6_15655
; %bb.15638:                            ;   in Loop: Header=BB6_14596 Depth=3
	v_and_b32_e32 v16, 0x7fffffff, v4
	v_mov_b32_e32 v17, v51
	v_cmp_gt_u64_e32 vcc, s[78:79], v[16:17]
	v_and_b32_sdwa v2, v4, s96 dst_sel:DWORD dst_unused:UNUSED_PAD src0_sel:BYTE_3 src1_sel:DWORD
                                        ; implicit-def: $vgpr46
	s_and_saveexec_b64 s[28:29], vcc
	s_xor_b64 s[36:37], exec, s[28:29]
	s_cbranch_execz .LBB6_15652
; %bb.15639:                            ;   in Loop: Header=BB6_14596 Depth=3
	v_cmp_ne_u32_e32 vcc, 0, v4
	v_mov_b32_e32 v46, 0
	s_and_saveexec_b64 s[38:39], vcc
	s_cbranch_execz .LBB6_15651
; %bb.15640:                            ;   in Loop: Header=BB6_14596 Depth=3
	v_bfe_u32 v26, v4, 23, 8
	v_and_b32_e32 v5, 0x7fffff, v4
	v_cmp_gt_u32_e64 s[28:29], s97, v26
	v_sub_u32_e32 v4, 0x79, v26
	v_cmp_eq_u32_e32 vcc, 0, v26
	v_cndmask_b32_e64 v4, 0, v4, s[28:29]
	v_mov_b32_e32 v17, 0x78
	v_or_b32_e32 v16, 0x800000, v5
	v_cndmask_b32_e32 v29, v4, v17, vcc
	v_cndmask_b32_e32 v4, v16, v5, vcc
	v_add_u32_e32 v16, 20, v29
	v_lshlrev_b64 v[16:17], v16, -1
	v_add_u32_e32 v30, 19, v29
	v_lshlrev_b64 v[30:31], v30, 1
	v_mov_b32_e32 v5, v51
	v_bfi_b32 v17, v17, 0, 0
	v_bfi_b32 v16, v16, 0, v4
	v_cmp_eq_u64_e64 s[28:29], v[16:17], v[30:31]
	v_lshrrev_b64 v[16:17], v29, v[4:5]
	v_mov_b32_e32 v4, v16
	v_mov_b32_e32 v5, v17
	s_and_saveexec_b64 s[48:49], s[28:29]
; %bb.15641:                            ;   in Loop: Header=BB6_14596 Depth=3
	v_bfe_u32 v4, v16, 20, 1
	v_add_co_u32_e64 v4, s[28:29], v16, v4
	v_add_co_u32_e64 v4, s[28:29], -1, v4
; %bb.15642:                            ;   in Loop: Header=BB6_14596 Depth=3
	s_or_b64 exec, exec, s[48:49]
	v_add_u32_e32 v5, 0xffffff81, v26
	v_mov_b32_e32 v17, 0xffffff82
	v_cndmask_b32_e32 v5, v5, v17, vcc
	v_lshrrev_b32_e32 v17, 23, v16
	v_add3_u32 v26, v29, v5, v17
	v_add_u32_e32 v5, 6, v26
	v_and_b32_e32 v4, 0xfffff, v4
	v_add_u32_e32 v16, v4, v16
	v_mov_b32_e32 v17, v51
	v_cmp_ne_u32_e32 vcc, 0, v5
                                        ; implicit-def: $vgpr4
	s_and_saveexec_b64 s[28:29], vcc
	s_xor_b64 s[28:29], exec, s[28:29]
; %bb.15643:                            ;   in Loop: Header=BB6_14596 Depth=3
	v_cmp_lt_u64_e32 vcc, s[88:89], v[16:17]
	v_add_u32_e32 v4, 7, v26
	v_cndmask_b32_e32 v4, v5, v4, vcc
	v_cndmask_b32_e64 v5, 0, 1, vcc
	v_lshrrev_b64 v[16:17], v5, v[16:17]
; %bb.15644:                            ;   in Loop: Header=BB6_14596 Depth=3
	s_andn2_saveexec_b64 s[28:29], s[28:29]
; %bb.15645:                            ;   in Loop: Header=BB6_14596 Depth=3
	v_bfe_u32 v4, v16, 23, 1
; %bb.15646:                            ;   in Loop: Header=BB6_14596 Depth=3
	s_or_b64 exec, exec, s[28:29]
	v_lshrrev_b64 v[16:17], 20, v[16:17]
	v_cmp_gt_i32_e32 vcc, 16, v4
	v_cndmask_b32_e32 v17, 0, v17, vcc
	v_cndmask_b32_e32 v16, 7, v16, vcc
	v_cmp_ne_u64_e32 vcc, 0, v[16:17]
	v_cmp_ne_u32_e64 s[28:29], 0, v4
	s_or_b64 s[28:29], s[28:29], vcc
                                        ; implicit-def: $vgpr46
	s_and_saveexec_b64 vcc, s[28:29]
	s_xor_b64 s[28:29], exec, vcc
; %bb.15647:                            ;   in Loop: Header=BB6_14596 Depth=3
	v_min_i32_e32 v4, 15, v4
	v_lshl_or_b32 v2, v4, 3, v2
	v_and_or_b32 v46, v16, 7, v2
                                        ; implicit-def: $vgpr2
; %bb.15648:                            ;   in Loop: Header=BB6_14596 Depth=3
	s_andn2_saveexec_b64 s[28:29], s[28:29]
; %bb.15649:                            ;   in Loop: Header=BB6_14596 Depth=3
	v_mov_b32_e32 v46, v2
; %bb.15650:                            ;   in Loop: Header=BB6_14596 Depth=3
	s_or_b64 exec, exec, s[28:29]
.LBB6_15651:                            ;   in Loop: Header=BB6_14596 Depth=3
	s_or_b64 exec, exec, s[38:39]
                                        ; implicit-def: $vgpr2
.LBB6_15652:                            ;   in Loop: Header=BB6_14596 Depth=3
	s_andn2_saveexec_b64 s[28:29], s[36:37]
; %bb.15653:                            ;   in Loop: Header=BB6_14596 Depth=3
	v_or_b32_e32 v46, 0x7e, v2
; %bb.15654:                            ;   in Loop: Header=BB6_14596 Depth=3
	s_or_b64 exec, exec, s[28:29]
                                        ; implicit-def: $vgpr4
.LBB6_15655:                            ;   in Loop: Header=BB6_14596 Depth=3
	s_andn2_saveexec_b64 s[28:29], s[34:35]
; %bb.15656:                            ;   in Loop: Header=BB6_14596 Depth=3
	v_or_b32_sdwa v46, v4, s86 dst_sel:DWORD dst_unused:UNUSED_PAD src0_sel:BYTE_3 src1_sel:DWORD
; %bb.15657:                            ;   in Loop: Header=BB6_14596 Depth=3
	s_or_b64 exec, exec, s[28:29]
	v_and_b32_e32 v16, 0xff, v43
	v_cmp_ne_u16_e32 vcc, 0, v16
	v_mov_b32_e32 v2, 0
	v_mov_b32_e32 v4, 0
	s_and_saveexec_b64 s[28:29], vcc
	s_cbranch_execz .LBB6_15663
; %bb.15658:                            ;   in Loop: Header=BB6_14596 Depth=3
	v_cmp_ne_u16_e32 vcc, s96, v16
	v_bfrev_b32_e32 v4, 1
	s_and_saveexec_b64 s[34:35], vcc
	s_cbranch_execz .LBB6_15662
; %bb.15659:                            ;   in Loop: Header=BB6_14596 Depth=3
	v_and_b32_e32 v5, 0x7f, v43
	v_cmp_ne_u32_e32 vcc, s86, v5
	v_mov_b32_e32 v4, 0x7f800001
	s_and_saveexec_b64 s[36:37], vcc
	s_cbranch_execz .LBB6_15661
; %bb.15660:                            ;   in Loop: Header=BB6_14596 Depth=3
	v_and_b32_e32 v17, 7, v16
	v_ffbh_u32_e32 v4, v17
	v_min_u32_e32 v29, 32, v4
	v_subrev_u32_e32 v4, 28, v29
	v_lshrrev_b32_e32 v26, 3, v5
	v_cmp_gt_u32_e32 vcc, 8, v5
	v_lshlrev_b64 v[4:5], v4, v[16:17]
	v_sub_u32_e32 v5, 29, v29
	v_and_b32_e32 v4, 7, v4
	v_cndmask_b32_e32 v5, v26, v5, vcc
	v_cndmask_b32_e32 v4, v17, v4, vcc
	v_lshlrev_b32_e32 v16, 24, v43
	v_bfrev_b32_e32 v17, 60
	v_lshlrev_b32_e32 v4, 20, v4
	v_and_b32_e32 v16, 0x80000000, v16
	v_lshl_add_u32 v5, v5, 23, v17
	v_or3_b32 v4, v16, v5, v4
.LBB6_15661:                            ;   in Loop: Header=BB6_14596 Depth=3
	s_or_b64 exec, exec, s[36:37]
.LBB6_15662:                            ;   in Loop: Header=BB6_14596 Depth=3
	s_or_b64 exec, exec, s[34:35]
.LBB6_15663:                            ;   in Loop: Header=BB6_14596 Depth=3
	s_or_b64 exec, exec, s[28:29]
	v_and_b32_e32 v16, 0xff, v25
	v_cmp_ne_u16_e32 vcc, 0, v16
	s_and_saveexec_b64 s[28:29], vcc
	s_cbranch_execz .LBB6_15669
; %bb.15664:                            ;   in Loop: Header=BB6_14596 Depth=3
	v_cmp_ne_u16_e32 vcc, s96, v16
	v_bfrev_b32_e32 v2, 1
	s_and_saveexec_b64 s[34:35], vcc
	s_cbranch_execz .LBB6_15668
; %bb.15665:                            ;   in Loop: Header=BB6_14596 Depth=3
	v_and_b32_e32 v5, 0x7f, v25
	v_cmp_ne_u32_e32 vcc, s86, v5
	v_mov_b32_e32 v2, 0x7f800001
	s_and_saveexec_b64 s[36:37], vcc
	s_cbranch_execz .LBB6_15667
; %bb.15666:                            ;   in Loop: Header=BB6_14596 Depth=3
	v_and_b32_e32 v2, 7, v16
	v_lshrrev_b32_e32 v26, 3, v5
	v_cmp_gt_u32_e32 vcc, 8, v5
	v_ffbh_u32_e32 v5, v2
	v_min_u32_e32 v5, 32, v5
	v_subrev_u32_e32 v17, 28, v5
	v_lshlrev_b64 v[16:17], v17, v[16:17]
	v_sub_u32_e32 v5, 29, v5
	v_and_b32_e32 v16, 7, v16
	v_cndmask_b32_e32 v5, v26, v5, vcc
	v_cndmask_b32_e32 v2, v2, v16, vcc
	v_lshlrev_b32_e32 v16, 24, v25
	v_bfrev_b32_e32 v17, 60
	v_lshlrev_b32_e32 v2, 20, v2
	v_and_b32_e32 v16, 0x80000000, v16
	v_lshl_add_u32 v5, v5, 23, v17
	v_or3_b32 v2, v16, v5, v2
.LBB6_15667:                            ;   in Loop: Header=BB6_14596 Depth=3
	s_or_b64 exec, exec, s[36:37]
.LBB6_15668:                            ;   in Loop: Header=BB6_14596 Depth=3
	s_or_b64 exec, exec, s[34:35]
.LBB6_15669:                            ;   in Loop: Header=BB6_14596 Depth=3
	s_or_b64 exec, exec, s[28:29]
	v_add_f32_e32 v4, v4, v2
	v_and_b32_e32 v16, 0x7f800000, v4
	v_mov_b32_e32 v17, v51
	v_cmp_ne_u64_e32 vcc, s[76:77], v[16:17]
                                        ; implicit-def: $vgpr43
	s_and_saveexec_b64 s[28:29], vcc
	s_xor_b64 s[34:35], exec, s[28:29]
	s_cbranch_execz .LBB6_15687
; %bb.15670:                            ;   in Loop: Header=BB6_14596 Depth=3
	v_and_b32_e32 v16, 0x7fffffff, v4
	v_mov_b32_e32 v17, v51
	v_cmp_gt_u64_e32 vcc, s[78:79], v[16:17]
	v_and_b32_sdwa v2, v4, s96 dst_sel:DWORD dst_unused:UNUSED_PAD src0_sel:BYTE_3 src1_sel:DWORD
                                        ; implicit-def: $vgpr43
	s_and_saveexec_b64 s[28:29], vcc
	s_xor_b64 s[36:37], exec, s[28:29]
	s_cbranch_execz .LBB6_15684
; %bb.15671:                            ;   in Loop: Header=BB6_14596 Depth=3
	v_cmp_ne_u32_e32 vcc, 0, v4
	v_mov_b32_e32 v43, 0
	s_and_saveexec_b64 s[38:39], vcc
	s_cbranch_execz .LBB6_15683
; %bb.15672:                            ;   in Loop: Header=BB6_14596 Depth=3
	v_bfe_u32 v25, v4, 23, 8
	v_and_b32_e32 v5, 0x7fffff, v4
	v_cmp_gt_u32_e64 s[28:29], s97, v25
	v_sub_u32_e32 v4, 0x79, v25
	v_cmp_eq_u32_e32 vcc, 0, v25
	v_cndmask_b32_e64 v4, 0, v4, s[28:29]
	v_mov_b32_e32 v17, 0x78
	v_or_b32_e32 v16, 0x800000, v5
	v_cndmask_b32_e32 v26, v4, v17, vcc
	v_cndmask_b32_e32 v4, v16, v5, vcc
	v_add_u32_e32 v16, 20, v26
	v_lshlrev_b64 v[16:17], v16, -1
	v_add_u32_e32 v29, 19, v26
	v_lshlrev_b64 v[29:30], v29, 1
	v_mov_b32_e32 v5, v51
	v_bfi_b32 v17, v17, 0, 0
	v_bfi_b32 v16, v16, 0, v4
	v_cmp_eq_u64_e64 s[28:29], v[16:17], v[29:30]
	v_lshrrev_b64 v[16:17], v26, v[4:5]
	v_mov_b32_e32 v4, v16
	v_mov_b32_e32 v5, v17
	s_and_saveexec_b64 s[48:49], s[28:29]
; %bb.15673:                            ;   in Loop: Header=BB6_14596 Depth=3
	v_bfe_u32 v4, v16, 20, 1
	v_add_co_u32_e64 v4, s[28:29], v16, v4
	v_add_co_u32_e64 v4, s[28:29], -1, v4
; %bb.15674:                            ;   in Loop: Header=BB6_14596 Depth=3
	s_or_b64 exec, exec, s[48:49]
	v_add_u32_e32 v5, 0xffffff81, v25
	v_mov_b32_e32 v17, 0xffffff82
	v_cndmask_b32_e32 v5, v5, v17, vcc
	v_lshrrev_b32_e32 v17, 23, v16
	v_add3_u32 v25, v26, v5, v17
	v_add_u32_e32 v5, 6, v25
	v_and_b32_e32 v4, 0xfffff, v4
	v_add_u32_e32 v16, v4, v16
	v_mov_b32_e32 v17, v51
	v_cmp_ne_u32_e32 vcc, 0, v5
                                        ; implicit-def: $vgpr4
	s_and_saveexec_b64 s[28:29], vcc
	s_xor_b64 s[28:29], exec, s[28:29]
; %bb.15675:                            ;   in Loop: Header=BB6_14596 Depth=3
	v_cmp_lt_u64_e32 vcc, s[88:89], v[16:17]
	v_add_u32_e32 v4, 7, v25
	v_cndmask_b32_e32 v4, v5, v4, vcc
	v_cndmask_b32_e64 v5, 0, 1, vcc
	v_lshrrev_b64 v[16:17], v5, v[16:17]
; %bb.15676:                            ;   in Loop: Header=BB6_14596 Depth=3
	s_andn2_saveexec_b64 s[28:29], s[28:29]
; %bb.15677:                            ;   in Loop: Header=BB6_14596 Depth=3
	v_bfe_u32 v4, v16, 23, 1
; %bb.15678:                            ;   in Loop: Header=BB6_14596 Depth=3
	s_or_b64 exec, exec, s[28:29]
	v_lshrrev_b64 v[16:17], 20, v[16:17]
	v_cmp_gt_i32_e32 vcc, 16, v4
	v_cndmask_b32_e32 v17, 0, v17, vcc
	v_cndmask_b32_e32 v16, 7, v16, vcc
	v_cmp_ne_u64_e32 vcc, 0, v[16:17]
	v_cmp_ne_u32_e64 s[28:29], 0, v4
	s_or_b64 s[28:29], s[28:29], vcc
                                        ; implicit-def: $vgpr43
	s_and_saveexec_b64 vcc, s[28:29]
	s_xor_b64 s[28:29], exec, vcc
; %bb.15679:                            ;   in Loop: Header=BB6_14596 Depth=3
	v_min_i32_e32 v4, 15, v4
	v_lshl_or_b32 v2, v4, 3, v2
	v_and_or_b32 v43, v16, 7, v2
                                        ; implicit-def: $vgpr2
; %bb.15680:                            ;   in Loop: Header=BB6_14596 Depth=3
	s_andn2_saveexec_b64 s[28:29], s[28:29]
; %bb.15681:                            ;   in Loop: Header=BB6_14596 Depth=3
	v_mov_b32_e32 v43, v2
; %bb.15682:                            ;   in Loop: Header=BB6_14596 Depth=3
	s_or_b64 exec, exec, s[28:29]
.LBB6_15683:                            ;   in Loop: Header=BB6_14596 Depth=3
	s_or_b64 exec, exec, s[38:39]
                                        ; implicit-def: $vgpr2
.LBB6_15684:                            ;   in Loop: Header=BB6_14596 Depth=3
	s_andn2_saveexec_b64 s[28:29], s[36:37]
; %bb.15685:                            ;   in Loop: Header=BB6_14596 Depth=3
	v_or_b32_e32 v43, 0x7e, v2
; %bb.15686:                            ;   in Loop: Header=BB6_14596 Depth=3
	s_or_b64 exec, exec, s[28:29]
                                        ; implicit-def: $vgpr4
.LBB6_15687:                            ;   in Loop: Header=BB6_14596 Depth=3
	s_andn2_saveexec_b64 s[28:29], s[34:35]
; %bb.15688:                            ;   in Loop: Header=BB6_14596 Depth=3
	v_or_b32_sdwa v43, v4, s86 dst_sel:DWORD dst_unused:UNUSED_PAD src0_sel:BYTE_3 src1_sel:DWORD
; %bb.15689:                            ;   in Loop: Header=BB6_14596 Depth=3
	s_or_b64 exec, exec, s[28:29]
	v_and_b32_e32 v16, 0xff, v42
	v_cmp_ne_u16_e32 vcc, 0, v16
	v_mov_b32_e32 v2, 0
	v_mov_b32_e32 v4, 0
	s_and_saveexec_b64 s[28:29], vcc
	s_cbranch_execz .LBB6_15695
; %bb.15690:                            ;   in Loop: Header=BB6_14596 Depth=3
	v_cmp_ne_u16_e32 vcc, s96, v16
	v_bfrev_b32_e32 v4, 1
	s_and_saveexec_b64 s[34:35], vcc
	s_cbranch_execz .LBB6_15694
; %bb.15691:                            ;   in Loop: Header=BB6_14596 Depth=3
	v_and_b32_e32 v5, 0x7f, v42
	v_cmp_ne_u32_e32 vcc, s86, v5
	v_mov_b32_e32 v4, 0x7f800001
	s_and_saveexec_b64 s[36:37], vcc
	s_cbranch_execz .LBB6_15693
; %bb.15692:                            ;   in Loop: Header=BB6_14596 Depth=3
	v_and_b32_e32 v17, 7, v16
	v_ffbh_u32_e32 v4, v17
	v_min_u32_e32 v26, 32, v4
	v_subrev_u32_e32 v4, 28, v26
	v_lshrrev_b32_e32 v25, 3, v5
	v_cmp_gt_u32_e32 vcc, 8, v5
	v_lshlrev_b64 v[4:5], v4, v[16:17]
	v_sub_u32_e32 v5, 29, v26
	v_and_b32_e32 v4, 7, v4
	v_cndmask_b32_e32 v5, v25, v5, vcc
	v_cndmask_b32_e32 v4, v17, v4, vcc
	v_lshlrev_b32_e32 v16, 24, v42
	v_bfrev_b32_e32 v17, 60
	v_lshlrev_b32_e32 v4, 20, v4
	v_and_b32_e32 v16, 0x80000000, v16
	v_lshl_add_u32 v5, v5, 23, v17
	v_or3_b32 v4, v16, v5, v4
.LBB6_15693:                            ;   in Loop: Header=BB6_14596 Depth=3
	s_or_b64 exec, exec, s[36:37]
.LBB6_15694:                            ;   in Loop: Header=BB6_14596 Depth=3
	s_or_b64 exec, exec, s[34:35]
.LBB6_15695:                            ;   in Loop: Header=BB6_14596 Depth=3
	s_or_b64 exec, exec, s[28:29]
	v_and_b32_e32 v16, 0xff, v24
	v_cmp_ne_u16_e32 vcc, 0, v16
	s_and_saveexec_b64 s[28:29], vcc
	s_cbranch_execz .LBB6_15701
; %bb.15696:                            ;   in Loop: Header=BB6_14596 Depth=3
	v_cmp_ne_u16_e32 vcc, s96, v16
	v_bfrev_b32_e32 v2, 1
	s_and_saveexec_b64 s[34:35], vcc
	s_cbranch_execz .LBB6_15700
; %bb.15697:                            ;   in Loop: Header=BB6_14596 Depth=3
	v_and_b32_e32 v5, 0x7f, v24
	v_cmp_ne_u32_e32 vcc, s86, v5
	v_mov_b32_e32 v2, 0x7f800001
	s_and_saveexec_b64 s[36:37], vcc
	s_cbranch_execz .LBB6_15699
; %bb.15698:                            ;   in Loop: Header=BB6_14596 Depth=3
	v_and_b32_e32 v2, 7, v16
	v_lshrrev_b32_e32 v25, 3, v5
	v_cmp_gt_u32_e32 vcc, 8, v5
	v_ffbh_u32_e32 v5, v2
	v_min_u32_e32 v5, 32, v5
	v_subrev_u32_e32 v17, 28, v5
	v_lshlrev_b64 v[16:17], v17, v[16:17]
	v_sub_u32_e32 v5, 29, v5
	v_and_b32_e32 v16, 7, v16
	v_cndmask_b32_e32 v5, v25, v5, vcc
	v_cndmask_b32_e32 v2, v2, v16, vcc
	v_lshlrev_b32_e32 v16, 24, v24
	v_bfrev_b32_e32 v17, 60
	v_lshlrev_b32_e32 v2, 20, v2
	v_and_b32_e32 v16, 0x80000000, v16
	v_lshl_add_u32 v5, v5, 23, v17
	v_or3_b32 v2, v16, v5, v2
.LBB6_15699:                            ;   in Loop: Header=BB6_14596 Depth=3
	s_or_b64 exec, exec, s[36:37]
.LBB6_15700:                            ;   in Loop: Header=BB6_14596 Depth=3
	s_or_b64 exec, exec, s[34:35]
.LBB6_15701:                            ;   in Loop: Header=BB6_14596 Depth=3
	s_or_b64 exec, exec, s[28:29]
	v_add_f32_e32 v4, v4, v2
	v_and_b32_e32 v16, 0x7f800000, v4
	v_mov_b32_e32 v17, v51
	v_cmp_ne_u64_e32 vcc, s[76:77], v[16:17]
                                        ; implicit-def: $vgpr42
	s_and_saveexec_b64 s[28:29], vcc
	s_xor_b64 s[34:35], exec, s[28:29]
	s_cbranch_execz .LBB6_15719
; %bb.15702:                            ;   in Loop: Header=BB6_14596 Depth=3
	v_and_b32_e32 v16, 0x7fffffff, v4
	v_mov_b32_e32 v17, v51
	v_cmp_gt_u64_e32 vcc, s[78:79], v[16:17]
	v_and_b32_sdwa v2, v4, s96 dst_sel:DWORD dst_unused:UNUSED_PAD src0_sel:BYTE_3 src1_sel:DWORD
                                        ; implicit-def: $vgpr42
	s_and_saveexec_b64 s[28:29], vcc
	s_xor_b64 s[36:37], exec, s[28:29]
	s_cbranch_execz .LBB6_15716
; %bb.15703:                            ;   in Loop: Header=BB6_14596 Depth=3
	v_cmp_ne_u32_e32 vcc, 0, v4
	v_mov_b32_e32 v42, 0
	s_and_saveexec_b64 s[38:39], vcc
	s_cbranch_execz .LBB6_15715
; %bb.15704:                            ;   in Loop: Header=BB6_14596 Depth=3
	v_bfe_u32 v24, v4, 23, 8
	v_and_b32_e32 v5, 0x7fffff, v4
	v_cmp_gt_u32_e64 s[28:29], s97, v24
	v_sub_u32_e32 v4, 0x79, v24
	v_cmp_eq_u32_e32 vcc, 0, v24
	v_cndmask_b32_e64 v4, 0, v4, s[28:29]
	v_mov_b32_e32 v17, 0x78
	v_or_b32_e32 v16, 0x800000, v5
	v_cndmask_b32_e32 v25, v4, v17, vcc
	v_cndmask_b32_e32 v4, v16, v5, vcc
	v_add_u32_e32 v16, 20, v25
	v_lshlrev_b64 v[16:17], v16, -1
	v_add_u32_e32 v26, 19, v25
	v_lshlrev_b64 v[29:30], v26, 1
	v_mov_b32_e32 v5, v51
	v_bfi_b32 v17, v17, 0, 0
	v_bfi_b32 v16, v16, 0, v4
	v_cmp_eq_u64_e64 s[28:29], v[16:17], v[29:30]
	v_lshrrev_b64 v[16:17], v25, v[4:5]
	v_mov_b32_e32 v4, v16
	v_mov_b32_e32 v5, v17
	s_and_saveexec_b64 s[48:49], s[28:29]
; %bb.15705:                            ;   in Loop: Header=BB6_14596 Depth=3
	v_bfe_u32 v4, v16, 20, 1
	v_add_co_u32_e64 v4, s[28:29], v16, v4
	v_add_co_u32_e64 v4, s[28:29], -1, v4
; %bb.15706:                            ;   in Loop: Header=BB6_14596 Depth=3
	s_or_b64 exec, exec, s[48:49]
	v_add_u32_e32 v5, 0xffffff81, v24
	v_mov_b32_e32 v17, 0xffffff82
	v_cndmask_b32_e32 v5, v5, v17, vcc
	v_lshrrev_b32_e32 v17, 23, v16
	v_add3_u32 v24, v25, v5, v17
	v_add_u32_e32 v5, 6, v24
	v_and_b32_e32 v4, 0xfffff, v4
	v_add_u32_e32 v16, v4, v16
	v_mov_b32_e32 v17, v51
	v_cmp_ne_u32_e32 vcc, 0, v5
                                        ; implicit-def: $vgpr4
	s_and_saveexec_b64 s[28:29], vcc
	s_xor_b64 s[28:29], exec, s[28:29]
; %bb.15707:                            ;   in Loop: Header=BB6_14596 Depth=3
	v_cmp_lt_u64_e32 vcc, s[88:89], v[16:17]
	v_add_u32_e32 v4, 7, v24
	v_cndmask_b32_e32 v4, v5, v4, vcc
	v_cndmask_b32_e64 v5, 0, 1, vcc
	v_lshrrev_b64 v[16:17], v5, v[16:17]
; %bb.15708:                            ;   in Loop: Header=BB6_14596 Depth=3
	s_andn2_saveexec_b64 s[28:29], s[28:29]
; %bb.15709:                            ;   in Loop: Header=BB6_14596 Depth=3
	v_bfe_u32 v4, v16, 23, 1
; %bb.15710:                            ;   in Loop: Header=BB6_14596 Depth=3
	s_or_b64 exec, exec, s[28:29]
	v_lshrrev_b64 v[16:17], 20, v[16:17]
	v_cmp_gt_i32_e32 vcc, 16, v4
	v_cndmask_b32_e32 v17, 0, v17, vcc
	v_cndmask_b32_e32 v16, 7, v16, vcc
	v_cmp_ne_u64_e32 vcc, 0, v[16:17]
	v_cmp_ne_u32_e64 s[28:29], 0, v4
	s_or_b64 s[28:29], s[28:29], vcc
                                        ; implicit-def: $vgpr42
	s_and_saveexec_b64 vcc, s[28:29]
	s_xor_b64 s[28:29], exec, vcc
; %bb.15711:                            ;   in Loop: Header=BB6_14596 Depth=3
	v_min_i32_e32 v4, 15, v4
	v_lshl_or_b32 v2, v4, 3, v2
	v_and_or_b32 v42, v16, 7, v2
                                        ; implicit-def: $vgpr2
; %bb.15712:                            ;   in Loop: Header=BB6_14596 Depth=3
	s_andn2_saveexec_b64 s[28:29], s[28:29]
; %bb.15713:                            ;   in Loop: Header=BB6_14596 Depth=3
	v_mov_b32_e32 v42, v2
; %bb.15714:                            ;   in Loop: Header=BB6_14596 Depth=3
	s_or_b64 exec, exec, s[28:29]
.LBB6_15715:                            ;   in Loop: Header=BB6_14596 Depth=3
	s_or_b64 exec, exec, s[38:39]
                                        ; implicit-def: $vgpr2
.LBB6_15716:                            ;   in Loop: Header=BB6_14596 Depth=3
	s_andn2_saveexec_b64 s[28:29], s[36:37]
; %bb.15717:                            ;   in Loop: Header=BB6_14596 Depth=3
	v_or_b32_e32 v42, 0x7e, v2
; %bb.15718:                            ;   in Loop: Header=BB6_14596 Depth=3
	s_or_b64 exec, exec, s[28:29]
                                        ; implicit-def: $vgpr4
.LBB6_15719:                            ;   in Loop: Header=BB6_14596 Depth=3
	s_andn2_saveexec_b64 s[28:29], s[34:35]
; %bb.15720:                            ;   in Loop: Header=BB6_14596 Depth=3
	v_or_b32_sdwa v42, v4, s86 dst_sel:DWORD dst_unused:UNUSED_PAD src0_sel:BYTE_3 src1_sel:DWORD
; %bb.15721:                            ;   in Loop: Header=BB6_14596 Depth=3
	s_or_b64 exec, exec, s[28:29]
	v_and_b32_e32 v16, 0xff, v41
	v_cmp_ne_u16_e32 vcc, 0, v16
	v_mov_b32_e32 v2, 0
	v_mov_b32_e32 v4, 0
	s_and_saveexec_b64 s[28:29], vcc
	s_cbranch_execz .LBB6_15727
; %bb.15722:                            ;   in Loop: Header=BB6_14596 Depth=3
	v_cmp_ne_u16_e32 vcc, s96, v16
	v_bfrev_b32_e32 v4, 1
	s_and_saveexec_b64 s[34:35], vcc
	s_cbranch_execz .LBB6_15726
; %bb.15723:                            ;   in Loop: Header=BB6_14596 Depth=3
	v_and_b32_e32 v5, 0x7f, v41
	v_cmp_ne_u32_e32 vcc, s86, v5
	v_mov_b32_e32 v4, 0x7f800001
	s_and_saveexec_b64 s[36:37], vcc
	s_cbranch_execz .LBB6_15725
; %bb.15724:                            ;   in Loop: Header=BB6_14596 Depth=3
	v_and_b32_e32 v17, 7, v16
	v_ffbh_u32_e32 v4, v17
	v_min_u32_e32 v25, 32, v4
	v_subrev_u32_e32 v4, 28, v25
	v_lshrrev_b32_e32 v24, 3, v5
	v_cmp_gt_u32_e32 vcc, 8, v5
	v_lshlrev_b64 v[4:5], v4, v[16:17]
	v_sub_u32_e32 v5, 29, v25
	v_and_b32_e32 v4, 7, v4
	v_cndmask_b32_e32 v5, v24, v5, vcc
	v_cndmask_b32_e32 v4, v17, v4, vcc
	v_lshlrev_b32_e32 v16, 24, v41
	v_bfrev_b32_e32 v17, 60
	v_lshlrev_b32_e32 v4, 20, v4
	v_and_b32_e32 v16, 0x80000000, v16
	v_lshl_add_u32 v5, v5, 23, v17
	v_or3_b32 v4, v16, v5, v4
.LBB6_15725:                            ;   in Loop: Header=BB6_14596 Depth=3
	s_or_b64 exec, exec, s[36:37]
.LBB6_15726:                            ;   in Loop: Header=BB6_14596 Depth=3
	s_or_b64 exec, exec, s[34:35]
.LBB6_15727:                            ;   in Loop: Header=BB6_14596 Depth=3
	s_or_b64 exec, exec, s[28:29]
	v_and_b32_e32 v16, 0xff, v23
	v_cmp_ne_u16_e32 vcc, 0, v16
	s_and_saveexec_b64 s[28:29], vcc
	s_cbranch_execz .LBB6_15733
; %bb.15728:                            ;   in Loop: Header=BB6_14596 Depth=3
	v_cmp_ne_u16_e32 vcc, s96, v16
	v_bfrev_b32_e32 v2, 1
	s_and_saveexec_b64 s[34:35], vcc
	s_cbranch_execz .LBB6_15732
; %bb.15729:                            ;   in Loop: Header=BB6_14596 Depth=3
	v_and_b32_e32 v5, 0x7f, v23
	v_cmp_ne_u32_e32 vcc, s86, v5
	v_mov_b32_e32 v2, 0x7f800001
	s_and_saveexec_b64 s[36:37], vcc
	s_cbranch_execz .LBB6_15731
; %bb.15730:                            ;   in Loop: Header=BB6_14596 Depth=3
	v_and_b32_e32 v2, 7, v16
	v_lshrrev_b32_e32 v24, 3, v5
	v_cmp_gt_u32_e32 vcc, 8, v5
	v_ffbh_u32_e32 v5, v2
	v_min_u32_e32 v5, 32, v5
	v_subrev_u32_e32 v17, 28, v5
	v_lshlrev_b64 v[16:17], v17, v[16:17]
	v_sub_u32_e32 v5, 29, v5
	v_and_b32_e32 v16, 7, v16
	v_cndmask_b32_e32 v5, v24, v5, vcc
	v_cndmask_b32_e32 v2, v2, v16, vcc
	v_lshlrev_b32_e32 v16, 24, v23
	v_bfrev_b32_e32 v17, 60
	v_lshlrev_b32_e32 v2, 20, v2
	v_and_b32_e32 v16, 0x80000000, v16
	v_lshl_add_u32 v5, v5, 23, v17
	v_or3_b32 v2, v16, v5, v2
.LBB6_15731:                            ;   in Loop: Header=BB6_14596 Depth=3
	s_or_b64 exec, exec, s[36:37]
.LBB6_15732:                            ;   in Loop: Header=BB6_14596 Depth=3
	s_or_b64 exec, exec, s[34:35]
.LBB6_15733:                            ;   in Loop: Header=BB6_14596 Depth=3
	s_or_b64 exec, exec, s[28:29]
	v_add_f32_e32 v4, v4, v2
	v_and_b32_e32 v16, 0x7f800000, v4
	v_mov_b32_e32 v17, v51
	v_cmp_ne_u64_e32 vcc, s[76:77], v[16:17]
                                        ; implicit-def: $vgpr41
	s_and_saveexec_b64 s[28:29], vcc
	s_xor_b64 s[34:35], exec, s[28:29]
	s_cbranch_execz .LBB6_15751
; %bb.15734:                            ;   in Loop: Header=BB6_14596 Depth=3
	v_and_b32_e32 v16, 0x7fffffff, v4
	v_mov_b32_e32 v17, v51
	v_cmp_gt_u64_e32 vcc, s[78:79], v[16:17]
	v_and_b32_sdwa v2, v4, s96 dst_sel:DWORD dst_unused:UNUSED_PAD src0_sel:BYTE_3 src1_sel:DWORD
                                        ; implicit-def: $vgpr41
	s_and_saveexec_b64 s[28:29], vcc
	s_xor_b64 s[36:37], exec, s[28:29]
	s_cbranch_execz .LBB6_15748
; %bb.15735:                            ;   in Loop: Header=BB6_14596 Depth=3
	v_cmp_ne_u32_e32 vcc, 0, v4
	v_mov_b32_e32 v41, 0
	s_and_saveexec_b64 s[38:39], vcc
	s_cbranch_execz .LBB6_15747
; %bb.15736:                            ;   in Loop: Header=BB6_14596 Depth=3
	v_bfe_u32 v23, v4, 23, 8
	v_and_b32_e32 v5, 0x7fffff, v4
	v_cmp_gt_u32_e64 s[28:29], s97, v23
	v_sub_u32_e32 v4, 0x79, v23
	v_cmp_eq_u32_e32 vcc, 0, v23
	v_cndmask_b32_e64 v4, 0, v4, s[28:29]
	v_mov_b32_e32 v17, 0x78
	v_or_b32_e32 v16, 0x800000, v5
	v_cndmask_b32_e32 v24, v4, v17, vcc
	v_cndmask_b32_e32 v4, v16, v5, vcc
	v_add_u32_e32 v16, 20, v24
	v_lshlrev_b64 v[16:17], v16, -1
	v_add_u32_e32 v25, 19, v24
	v_lshlrev_b64 v[25:26], v25, 1
	v_mov_b32_e32 v5, v51
	v_bfi_b32 v17, v17, 0, 0
	v_bfi_b32 v16, v16, 0, v4
	v_cmp_eq_u64_e64 s[28:29], v[16:17], v[25:26]
	v_lshrrev_b64 v[16:17], v24, v[4:5]
	v_mov_b32_e32 v4, v16
	v_mov_b32_e32 v5, v17
	s_and_saveexec_b64 s[48:49], s[28:29]
; %bb.15737:                            ;   in Loop: Header=BB6_14596 Depth=3
	v_bfe_u32 v4, v16, 20, 1
	v_add_co_u32_e64 v4, s[28:29], v16, v4
	v_add_co_u32_e64 v4, s[28:29], -1, v4
; %bb.15738:                            ;   in Loop: Header=BB6_14596 Depth=3
	s_or_b64 exec, exec, s[48:49]
	v_add_u32_e32 v5, 0xffffff81, v23
	v_mov_b32_e32 v17, 0xffffff82
	v_cndmask_b32_e32 v5, v5, v17, vcc
	v_lshrrev_b32_e32 v17, 23, v16
	v_add3_u32 v23, v24, v5, v17
	v_add_u32_e32 v5, 6, v23
	v_and_b32_e32 v4, 0xfffff, v4
	v_add_u32_e32 v16, v4, v16
	v_mov_b32_e32 v17, v51
	v_cmp_ne_u32_e32 vcc, 0, v5
                                        ; implicit-def: $vgpr4
	s_and_saveexec_b64 s[28:29], vcc
	s_xor_b64 s[28:29], exec, s[28:29]
; %bb.15739:                            ;   in Loop: Header=BB6_14596 Depth=3
	v_cmp_lt_u64_e32 vcc, s[88:89], v[16:17]
	v_add_u32_e32 v4, 7, v23
	v_cndmask_b32_e32 v4, v5, v4, vcc
	v_cndmask_b32_e64 v5, 0, 1, vcc
	v_lshrrev_b64 v[16:17], v5, v[16:17]
; %bb.15740:                            ;   in Loop: Header=BB6_14596 Depth=3
	s_andn2_saveexec_b64 s[28:29], s[28:29]
; %bb.15741:                            ;   in Loop: Header=BB6_14596 Depth=3
	v_bfe_u32 v4, v16, 23, 1
; %bb.15742:                            ;   in Loop: Header=BB6_14596 Depth=3
	s_or_b64 exec, exec, s[28:29]
	v_lshrrev_b64 v[16:17], 20, v[16:17]
	v_cmp_gt_i32_e32 vcc, 16, v4
	v_cndmask_b32_e32 v17, 0, v17, vcc
	v_cndmask_b32_e32 v16, 7, v16, vcc
	v_cmp_ne_u64_e32 vcc, 0, v[16:17]
	v_cmp_ne_u32_e64 s[28:29], 0, v4
	s_or_b64 s[28:29], s[28:29], vcc
                                        ; implicit-def: $vgpr41
	s_and_saveexec_b64 vcc, s[28:29]
	s_xor_b64 s[28:29], exec, vcc
; %bb.15743:                            ;   in Loop: Header=BB6_14596 Depth=3
	v_min_i32_e32 v4, 15, v4
	v_lshl_or_b32 v2, v4, 3, v2
	v_and_or_b32 v41, v16, 7, v2
                                        ; implicit-def: $vgpr2
; %bb.15744:                            ;   in Loop: Header=BB6_14596 Depth=3
	s_andn2_saveexec_b64 s[28:29], s[28:29]
; %bb.15745:                            ;   in Loop: Header=BB6_14596 Depth=3
	v_mov_b32_e32 v41, v2
; %bb.15746:                            ;   in Loop: Header=BB6_14596 Depth=3
	s_or_b64 exec, exec, s[28:29]
.LBB6_15747:                            ;   in Loop: Header=BB6_14596 Depth=3
	s_or_b64 exec, exec, s[38:39]
                                        ; implicit-def: $vgpr2
.LBB6_15748:                            ;   in Loop: Header=BB6_14596 Depth=3
	s_andn2_saveexec_b64 s[28:29], s[36:37]
; %bb.15749:                            ;   in Loop: Header=BB6_14596 Depth=3
	v_or_b32_e32 v41, 0x7e, v2
; %bb.15750:                            ;   in Loop: Header=BB6_14596 Depth=3
	s_or_b64 exec, exec, s[28:29]
                                        ; implicit-def: $vgpr4
.LBB6_15751:                            ;   in Loop: Header=BB6_14596 Depth=3
	s_andn2_saveexec_b64 s[28:29], s[34:35]
; %bb.15752:                            ;   in Loop: Header=BB6_14596 Depth=3
	v_or_b32_sdwa v41, v4, s86 dst_sel:DWORD dst_unused:UNUSED_PAD src0_sel:BYTE_3 src1_sel:DWORD
; %bb.15753:                            ;   in Loop: Header=BB6_14596 Depth=3
	s_or_b64 exec, exec, s[28:29]
	v_and_b32_e32 v16, 0xff, v40
	v_cmp_ne_u16_e32 vcc, 0, v16
	v_mov_b32_e32 v2, 0
	v_mov_b32_e32 v4, 0
	s_and_saveexec_b64 s[28:29], vcc
	s_cbranch_execz .LBB6_15759
; %bb.15754:                            ;   in Loop: Header=BB6_14596 Depth=3
	v_cmp_ne_u16_e32 vcc, s96, v16
	v_bfrev_b32_e32 v4, 1
	s_and_saveexec_b64 s[34:35], vcc
	s_cbranch_execz .LBB6_15758
; %bb.15755:                            ;   in Loop: Header=BB6_14596 Depth=3
	v_and_b32_e32 v5, 0x7f, v40
	v_cmp_ne_u32_e32 vcc, s86, v5
	v_mov_b32_e32 v4, 0x7f800001
	s_and_saveexec_b64 s[36:37], vcc
	s_cbranch_execz .LBB6_15757
; %bb.15756:                            ;   in Loop: Header=BB6_14596 Depth=3
	v_and_b32_e32 v17, 7, v16
	v_ffbh_u32_e32 v4, v17
	v_min_u32_e32 v24, 32, v4
	v_subrev_u32_e32 v4, 28, v24
	v_lshrrev_b32_e32 v23, 3, v5
	v_cmp_gt_u32_e32 vcc, 8, v5
	v_lshlrev_b64 v[4:5], v4, v[16:17]
	v_sub_u32_e32 v5, 29, v24
	v_and_b32_e32 v4, 7, v4
	v_cndmask_b32_e32 v5, v23, v5, vcc
	v_cndmask_b32_e32 v4, v17, v4, vcc
	v_lshlrev_b32_e32 v16, 24, v40
	v_bfrev_b32_e32 v17, 60
	v_lshlrev_b32_e32 v4, 20, v4
	v_and_b32_e32 v16, 0x80000000, v16
	v_lshl_add_u32 v5, v5, 23, v17
	v_or3_b32 v4, v16, v5, v4
.LBB6_15757:                            ;   in Loop: Header=BB6_14596 Depth=3
	s_or_b64 exec, exec, s[36:37]
.LBB6_15758:                            ;   in Loop: Header=BB6_14596 Depth=3
	s_or_b64 exec, exec, s[34:35]
.LBB6_15759:                            ;   in Loop: Header=BB6_14596 Depth=3
	s_or_b64 exec, exec, s[28:29]
	v_and_b32_e32 v16, 0xff, v22
	v_cmp_ne_u16_e32 vcc, 0, v16
	s_and_saveexec_b64 s[28:29], vcc
	s_cbranch_execz .LBB6_15765
; %bb.15760:                            ;   in Loop: Header=BB6_14596 Depth=3
	v_cmp_ne_u16_e32 vcc, s96, v16
	v_bfrev_b32_e32 v2, 1
	s_and_saveexec_b64 s[34:35], vcc
	s_cbranch_execz .LBB6_15764
; %bb.15761:                            ;   in Loop: Header=BB6_14596 Depth=3
	v_and_b32_e32 v5, 0x7f, v22
	v_cmp_ne_u32_e32 vcc, s86, v5
	v_mov_b32_e32 v2, 0x7f800001
	s_and_saveexec_b64 s[36:37], vcc
	s_cbranch_execz .LBB6_15763
; %bb.15762:                            ;   in Loop: Header=BB6_14596 Depth=3
	v_and_b32_e32 v2, 7, v16
	v_lshrrev_b32_e32 v23, 3, v5
	v_cmp_gt_u32_e32 vcc, 8, v5
	v_ffbh_u32_e32 v5, v2
	v_min_u32_e32 v5, 32, v5
	v_subrev_u32_e32 v17, 28, v5
	v_lshlrev_b64 v[16:17], v17, v[16:17]
	v_sub_u32_e32 v5, 29, v5
	v_and_b32_e32 v16, 7, v16
	v_cndmask_b32_e32 v5, v23, v5, vcc
	v_cndmask_b32_e32 v2, v2, v16, vcc
	v_lshlrev_b32_e32 v16, 24, v22
	v_bfrev_b32_e32 v17, 60
	v_lshlrev_b32_e32 v2, 20, v2
	v_and_b32_e32 v16, 0x80000000, v16
	v_lshl_add_u32 v5, v5, 23, v17
	v_or3_b32 v2, v16, v5, v2
.LBB6_15763:                            ;   in Loop: Header=BB6_14596 Depth=3
	s_or_b64 exec, exec, s[36:37]
.LBB6_15764:                            ;   in Loop: Header=BB6_14596 Depth=3
	s_or_b64 exec, exec, s[34:35]
.LBB6_15765:                            ;   in Loop: Header=BB6_14596 Depth=3
	s_or_b64 exec, exec, s[28:29]
	v_add_f32_e32 v4, v4, v2
	v_and_b32_e32 v16, 0x7f800000, v4
	v_mov_b32_e32 v17, v51
	v_cmp_ne_u64_e32 vcc, s[76:77], v[16:17]
                                        ; implicit-def: $vgpr40
	s_and_saveexec_b64 s[28:29], vcc
	s_xor_b64 s[34:35], exec, s[28:29]
	s_cbranch_execz .LBB6_15783
; %bb.15766:                            ;   in Loop: Header=BB6_14596 Depth=3
	v_and_b32_e32 v16, 0x7fffffff, v4
	v_mov_b32_e32 v17, v51
	v_cmp_gt_u64_e32 vcc, s[78:79], v[16:17]
	v_and_b32_sdwa v2, v4, s96 dst_sel:DWORD dst_unused:UNUSED_PAD src0_sel:BYTE_3 src1_sel:DWORD
                                        ; implicit-def: $vgpr40
	s_and_saveexec_b64 s[28:29], vcc
	s_xor_b64 s[36:37], exec, s[28:29]
	s_cbranch_execz .LBB6_15780
; %bb.15767:                            ;   in Loop: Header=BB6_14596 Depth=3
	v_cmp_ne_u32_e32 vcc, 0, v4
	v_mov_b32_e32 v40, 0
	s_and_saveexec_b64 s[38:39], vcc
	s_cbranch_execz .LBB6_15779
; %bb.15768:                            ;   in Loop: Header=BB6_14596 Depth=3
	v_bfe_u32 v22, v4, 23, 8
	v_and_b32_e32 v5, 0x7fffff, v4
	v_cmp_gt_u32_e64 s[28:29], s97, v22
	v_sub_u32_e32 v4, 0x79, v22
	v_cmp_eq_u32_e32 vcc, 0, v22
	v_cndmask_b32_e64 v4, 0, v4, s[28:29]
	v_mov_b32_e32 v17, 0x78
	v_or_b32_e32 v16, 0x800000, v5
	v_cndmask_b32_e32 v23, v4, v17, vcc
	v_cndmask_b32_e32 v4, v16, v5, vcc
	v_add_u32_e32 v16, 20, v23
	v_lshlrev_b64 v[16:17], v16, -1
	v_add_u32_e32 v24, 19, v23
	v_lshlrev_b64 v[24:25], v24, 1
	v_mov_b32_e32 v5, v51
	v_bfi_b32 v17, v17, 0, 0
	v_bfi_b32 v16, v16, 0, v4
	v_cmp_eq_u64_e64 s[28:29], v[16:17], v[24:25]
	v_lshrrev_b64 v[16:17], v23, v[4:5]
	v_mov_b32_e32 v4, v16
	v_mov_b32_e32 v5, v17
	s_and_saveexec_b64 s[48:49], s[28:29]
; %bb.15769:                            ;   in Loop: Header=BB6_14596 Depth=3
	v_bfe_u32 v4, v16, 20, 1
	v_add_co_u32_e64 v4, s[28:29], v16, v4
	v_add_co_u32_e64 v4, s[28:29], -1, v4
; %bb.15770:                            ;   in Loop: Header=BB6_14596 Depth=3
	s_or_b64 exec, exec, s[48:49]
	v_add_u32_e32 v5, 0xffffff81, v22
	v_mov_b32_e32 v17, 0xffffff82
	v_cndmask_b32_e32 v5, v5, v17, vcc
	v_lshrrev_b32_e32 v17, 23, v16
	v_add3_u32 v22, v23, v5, v17
	v_add_u32_e32 v5, 6, v22
	v_and_b32_e32 v4, 0xfffff, v4
	v_add_u32_e32 v16, v4, v16
	v_mov_b32_e32 v17, v51
	v_cmp_ne_u32_e32 vcc, 0, v5
                                        ; implicit-def: $vgpr4
	s_and_saveexec_b64 s[28:29], vcc
	s_xor_b64 s[28:29], exec, s[28:29]
; %bb.15771:                            ;   in Loop: Header=BB6_14596 Depth=3
	v_cmp_lt_u64_e32 vcc, s[88:89], v[16:17]
	v_add_u32_e32 v4, 7, v22
	v_cndmask_b32_e32 v4, v5, v4, vcc
	v_cndmask_b32_e64 v5, 0, 1, vcc
	v_lshrrev_b64 v[16:17], v5, v[16:17]
; %bb.15772:                            ;   in Loop: Header=BB6_14596 Depth=3
	s_andn2_saveexec_b64 s[28:29], s[28:29]
; %bb.15773:                            ;   in Loop: Header=BB6_14596 Depth=3
	v_bfe_u32 v4, v16, 23, 1
; %bb.15774:                            ;   in Loop: Header=BB6_14596 Depth=3
	s_or_b64 exec, exec, s[28:29]
	v_lshrrev_b64 v[16:17], 20, v[16:17]
	v_cmp_gt_i32_e32 vcc, 16, v4
	v_cndmask_b32_e32 v17, 0, v17, vcc
	v_cndmask_b32_e32 v16, 7, v16, vcc
	v_cmp_ne_u64_e32 vcc, 0, v[16:17]
	v_cmp_ne_u32_e64 s[28:29], 0, v4
	s_or_b64 s[28:29], s[28:29], vcc
                                        ; implicit-def: $vgpr40
	s_and_saveexec_b64 vcc, s[28:29]
	s_xor_b64 s[28:29], exec, vcc
; %bb.15775:                            ;   in Loop: Header=BB6_14596 Depth=3
	v_min_i32_e32 v4, 15, v4
	v_lshl_or_b32 v2, v4, 3, v2
	v_and_or_b32 v40, v16, 7, v2
                                        ; implicit-def: $vgpr2
; %bb.15776:                            ;   in Loop: Header=BB6_14596 Depth=3
	s_andn2_saveexec_b64 s[28:29], s[28:29]
; %bb.15777:                            ;   in Loop: Header=BB6_14596 Depth=3
	v_mov_b32_e32 v40, v2
; %bb.15778:                            ;   in Loop: Header=BB6_14596 Depth=3
	s_or_b64 exec, exec, s[28:29]
.LBB6_15779:                            ;   in Loop: Header=BB6_14596 Depth=3
	s_or_b64 exec, exec, s[38:39]
                                        ; implicit-def: $vgpr2
.LBB6_15780:                            ;   in Loop: Header=BB6_14596 Depth=3
	s_andn2_saveexec_b64 s[28:29], s[36:37]
; %bb.15781:                            ;   in Loop: Header=BB6_14596 Depth=3
	v_or_b32_e32 v40, 0x7e, v2
; %bb.15782:                            ;   in Loop: Header=BB6_14596 Depth=3
	s_or_b64 exec, exec, s[28:29]
                                        ; implicit-def: $vgpr4
.LBB6_15783:                            ;   in Loop: Header=BB6_14596 Depth=3
	s_andn2_saveexec_b64 s[28:29], s[34:35]
; %bb.15784:                            ;   in Loop: Header=BB6_14596 Depth=3
	v_or_b32_sdwa v40, v4, s86 dst_sel:DWORD dst_unused:UNUSED_PAD src0_sel:BYTE_3 src1_sel:DWORD
; %bb.15785:                            ;   in Loop: Header=BB6_14596 Depth=3
	s_or_b64 exec, exec, s[28:29]
	v_and_b32_e32 v16, 0xff, v55
	v_cmp_ne_u16_e32 vcc, 0, v16
	v_mov_b32_e32 v2, 0
	v_mov_b32_e32 v4, 0
	s_and_saveexec_b64 s[28:29], vcc
	s_cbranch_execz .LBB6_15791
; %bb.15786:                            ;   in Loop: Header=BB6_14596 Depth=3
	v_cmp_ne_u16_e32 vcc, s96, v16
	v_bfrev_b32_e32 v4, 1
	s_and_saveexec_b64 s[34:35], vcc
	s_cbranch_execz .LBB6_15790
; %bb.15787:                            ;   in Loop: Header=BB6_14596 Depth=3
	v_and_b32_e32 v5, 0x7f, v55
	v_cmp_ne_u32_e32 vcc, s86, v5
	v_mov_b32_e32 v4, 0x7f800001
	s_and_saveexec_b64 s[36:37], vcc
	s_cbranch_execz .LBB6_15789
; %bb.15788:                            ;   in Loop: Header=BB6_14596 Depth=3
	v_and_b32_e32 v17, 7, v16
	v_ffbh_u32_e32 v4, v17
	v_min_u32_e32 v23, 32, v4
	v_subrev_u32_e32 v4, 28, v23
	v_lshrrev_b32_e32 v22, 3, v5
	v_cmp_gt_u32_e32 vcc, 8, v5
	v_lshlrev_b64 v[4:5], v4, v[16:17]
	v_sub_u32_e32 v5, 29, v23
	v_and_b32_e32 v4, 7, v4
	v_cndmask_b32_e32 v5, v22, v5, vcc
	v_cndmask_b32_e32 v4, v17, v4, vcc
	v_lshlrev_b32_e32 v16, 24, v55
	v_bfrev_b32_e32 v17, 60
	v_lshlrev_b32_e32 v4, 20, v4
	v_and_b32_e32 v16, 0x80000000, v16
	v_lshl_add_u32 v5, v5, 23, v17
	v_or3_b32 v4, v16, v5, v4
.LBB6_15789:                            ;   in Loop: Header=BB6_14596 Depth=3
	s_or_b64 exec, exec, s[36:37]
.LBB6_15790:                            ;   in Loop: Header=BB6_14596 Depth=3
	s_or_b64 exec, exec, s[34:35]
.LBB6_15791:                            ;   in Loop: Header=BB6_14596 Depth=3
	s_or_b64 exec, exec, s[28:29]
	v_and_b32_e32 v16, 0xff, v36
	v_cmp_ne_u16_e32 vcc, 0, v16
	s_and_saveexec_b64 s[28:29], vcc
	s_cbranch_execz .LBB6_15797
; %bb.15792:                            ;   in Loop: Header=BB6_14596 Depth=3
	v_cmp_ne_u16_e32 vcc, s96, v16
	v_bfrev_b32_e32 v2, 1
	s_and_saveexec_b64 s[34:35], vcc
	s_cbranch_execz .LBB6_15796
; %bb.15793:                            ;   in Loop: Header=BB6_14596 Depth=3
	v_and_b32_e32 v5, 0x7f, v36
	v_cmp_ne_u32_e32 vcc, s86, v5
	v_mov_b32_e32 v2, 0x7f800001
	s_and_saveexec_b64 s[36:37], vcc
	s_cbranch_execz .LBB6_15795
; %bb.15794:                            ;   in Loop: Header=BB6_14596 Depth=3
	v_and_b32_e32 v2, 7, v16
	v_lshrrev_b32_e32 v22, 3, v5
	v_cmp_gt_u32_e32 vcc, 8, v5
	v_ffbh_u32_e32 v5, v2
	v_min_u32_e32 v5, 32, v5
	v_subrev_u32_e32 v17, 28, v5
	v_lshlrev_b64 v[16:17], v17, v[16:17]
	v_sub_u32_e32 v5, 29, v5
	v_and_b32_e32 v16, 7, v16
	v_cndmask_b32_e32 v5, v22, v5, vcc
	v_cndmask_b32_e32 v2, v2, v16, vcc
	v_lshlrev_b32_e32 v16, 24, v36
	v_bfrev_b32_e32 v17, 60
	v_lshlrev_b32_e32 v2, 20, v2
	v_and_b32_e32 v16, 0x80000000, v16
	v_lshl_add_u32 v5, v5, 23, v17
	v_or3_b32 v2, v16, v5, v2
.LBB6_15795:                            ;   in Loop: Header=BB6_14596 Depth=3
	s_or_b64 exec, exec, s[36:37]
.LBB6_15796:                            ;   in Loop: Header=BB6_14596 Depth=3
	s_or_b64 exec, exec, s[34:35]
.LBB6_15797:                            ;   in Loop: Header=BB6_14596 Depth=3
	s_or_b64 exec, exec, s[28:29]
	v_add_f32_e32 v4, v4, v2
	v_and_b32_e32 v16, 0x7f800000, v4
	v_mov_b32_e32 v17, v51
	v_cmp_ne_u64_e32 vcc, s[76:77], v[16:17]
                                        ; implicit-def: $vgpr55
	s_and_saveexec_b64 s[28:29], vcc
	s_xor_b64 s[34:35], exec, s[28:29]
	s_cbranch_execz .LBB6_15815
; %bb.15798:                            ;   in Loop: Header=BB6_14596 Depth=3
	v_and_b32_e32 v16, 0x7fffffff, v4
	v_mov_b32_e32 v17, v51
	v_cmp_gt_u64_e32 vcc, s[78:79], v[16:17]
	v_and_b32_sdwa v2, v4, s96 dst_sel:DWORD dst_unused:UNUSED_PAD src0_sel:BYTE_3 src1_sel:DWORD
                                        ; implicit-def: $vgpr55
	s_and_saveexec_b64 s[28:29], vcc
	s_xor_b64 s[36:37], exec, s[28:29]
	s_cbranch_execz .LBB6_15812
; %bb.15799:                            ;   in Loop: Header=BB6_14596 Depth=3
	v_cmp_ne_u32_e32 vcc, 0, v4
	v_mov_b32_e32 v55, 0
	s_and_saveexec_b64 s[38:39], vcc
	s_cbranch_execz .LBB6_15811
; %bb.15800:                            ;   in Loop: Header=BB6_14596 Depth=3
	v_bfe_u32 v22, v4, 23, 8
	v_and_b32_e32 v5, 0x7fffff, v4
	v_cmp_gt_u32_e64 s[28:29], s97, v22
	v_sub_u32_e32 v4, 0x79, v22
	v_cmp_eq_u32_e32 vcc, 0, v22
	v_cndmask_b32_e64 v4, 0, v4, s[28:29]
	v_mov_b32_e32 v17, 0x78
	v_or_b32_e32 v16, 0x800000, v5
	v_cndmask_b32_e32 v23, v4, v17, vcc
	v_cndmask_b32_e32 v4, v16, v5, vcc
	v_add_u32_e32 v16, 20, v23
	v_lshlrev_b64 v[16:17], v16, -1
	v_add_u32_e32 v24, 19, v23
	v_lshlrev_b64 v[24:25], v24, 1
	v_mov_b32_e32 v5, v51
	v_bfi_b32 v17, v17, 0, 0
	v_bfi_b32 v16, v16, 0, v4
	v_cmp_eq_u64_e64 s[28:29], v[16:17], v[24:25]
	v_lshrrev_b64 v[16:17], v23, v[4:5]
	v_mov_b32_e32 v4, v16
	v_mov_b32_e32 v5, v17
	s_and_saveexec_b64 s[48:49], s[28:29]
; %bb.15801:                            ;   in Loop: Header=BB6_14596 Depth=3
	v_bfe_u32 v4, v16, 20, 1
	v_add_co_u32_e64 v4, s[28:29], v16, v4
	v_add_co_u32_e64 v4, s[28:29], -1, v4
; %bb.15802:                            ;   in Loop: Header=BB6_14596 Depth=3
	s_or_b64 exec, exec, s[48:49]
	v_add_u32_e32 v5, 0xffffff81, v22
	v_mov_b32_e32 v17, 0xffffff82
	v_cndmask_b32_e32 v5, v5, v17, vcc
	v_lshrrev_b32_e32 v17, 23, v16
	v_add3_u32 v22, v23, v5, v17
	v_add_u32_e32 v5, 6, v22
	v_and_b32_e32 v4, 0xfffff, v4
	v_add_u32_e32 v16, v4, v16
	v_mov_b32_e32 v17, v51
	v_cmp_ne_u32_e32 vcc, 0, v5
                                        ; implicit-def: $vgpr4
	s_and_saveexec_b64 s[28:29], vcc
	s_xor_b64 s[28:29], exec, s[28:29]
; %bb.15803:                            ;   in Loop: Header=BB6_14596 Depth=3
	v_cmp_lt_u64_e32 vcc, s[88:89], v[16:17]
	v_add_u32_e32 v4, 7, v22
	v_cndmask_b32_e32 v4, v5, v4, vcc
	v_cndmask_b32_e64 v5, 0, 1, vcc
	v_lshrrev_b64 v[16:17], v5, v[16:17]
; %bb.15804:                            ;   in Loop: Header=BB6_14596 Depth=3
	s_andn2_saveexec_b64 s[28:29], s[28:29]
; %bb.15805:                            ;   in Loop: Header=BB6_14596 Depth=3
	v_bfe_u32 v4, v16, 23, 1
; %bb.15806:                            ;   in Loop: Header=BB6_14596 Depth=3
	s_or_b64 exec, exec, s[28:29]
	v_lshrrev_b64 v[16:17], 20, v[16:17]
	v_cmp_gt_i32_e32 vcc, 16, v4
	v_cndmask_b32_e32 v17, 0, v17, vcc
	v_cndmask_b32_e32 v16, 7, v16, vcc
	v_cmp_ne_u64_e32 vcc, 0, v[16:17]
	v_cmp_ne_u32_e64 s[28:29], 0, v4
	s_or_b64 s[28:29], s[28:29], vcc
                                        ; implicit-def: $vgpr55
	s_and_saveexec_b64 vcc, s[28:29]
	s_xor_b64 s[28:29], exec, vcc
; %bb.15807:                            ;   in Loop: Header=BB6_14596 Depth=3
	v_min_i32_e32 v4, 15, v4
	v_lshl_or_b32 v2, v4, 3, v2
	v_and_or_b32 v55, v16, 7, v2
                                        ; implicit-def: $vgpr2
; %bb.15808:                            ;   in Loop: Header=BB6_14596 Depth=3
	s_andn2_saveexec_b64 s[28:29], s[28:29]
; %bb.15809:                            ;   in Loop: Header=BB6_14596 Depth=3
	v_mov_b32_e32 v55, v2
; %bb.15810:                            ;   in Loop: Header=BB6_14596 Depth=3
	s_or_b64 exec, exec, s[28:29]
.LBB6_15811:                            ;   in Loop: Header=BB6_14596 Depth=3
	s_or_b64 exec, exec, s[38:39]
                                        ; implicit-def: $vgpr2
.LBB6_15812:                            ;   in Loop: Header=BB6_14596 Depth=3
	s_andn2_saveexec_b64 s[28:29], s[36:37]
; %bb.15813:                            ;   in Loop: Header=BB6_14596 Depth=3
	v_or_b32_e32 v55, 0x7e, v2
; %bb.15814:                            ;   in Loop: Header=BB6_14596 Depth=3
	s_or_b64 exec, exec, s[28:29]
                                        ; implicit-def: $vgpr4
.LBB6_15815:                            ;   in Loop: Header=BB6_14596 Depth=3
	s_andn2_saveexec_b64 s[28:29], s[34:35]
; %bb.15816:                            ;   in Loop: Header=BB6_14596 Depth=3
	v_or_b32_sdwa v55, v4, s86 dst_sel:DWORD dst_unused:UNUSED_PAD src0_sel:BYTE_3 src1_sel:DWORD
; %bb.15817:                            ;   in Loop: Header=BB6_14596 Depth=3
	s_or_b64 exec, exec, s[28:29]
	v_and_b32_e32 v16, 0xff, v54
	v_cmp_ne_u16_e32 vcc, 0, v16
	v_mov_b32_e32 v2, 0
	v_mov_b32_e32 v4, 0
	s_and_saveexec_b64 s[28:29], vcc
	s_cbranch_execz .LBB6_15823
; %bb.15818:                            ;   in Loop: Header=BB6_14596 Depth=3
	v_cmp_ne_u16_e32 vcc, s96, v16
	v_bfrev_b32_e32 v4, 1
	s_and_saveexec_b64 s[34:35], vcc
	s_cbranch_execz .LBB6_15822
; %bb.15819:                            ;   in Loop: Header=BB6_14596 Depth=3
	v_and_b32_e32 v5, 0x7f, v54
	v_cmp_ne_u32_e32 vcc, s86, v5
	v_mov_b32_e32 v4, 0x7f800001
	s_and_saveexec_b64 s[36:37], vcc
	s_cbranch_execz .LBB6_15821
; %bb.15820:                            ;   in Loop: Header=BB6_14596 Depth=3
	v_and_b32_e32 v17, 7, v16
	v_ffbh_u32_e32 v4, v17
	v_min_u32_e32 v23, 32, v4
	v_subrev_u32_e32 v4, 28, v23
	v_lshrrev_b32_e32 v22, 3, v5
	v_cmp_gt_u32_e32 vcc, 8, v5
	v_lshlrev_b64 v[4:5], v4, v[16:17]
	v_sub_u32_e32 v5, 29, v23
	v_and_b32_e32 v4, 7, v4
	v_cndmask_b32_e32 v5, v22, v5, vcc
	v_cndmask_b32_e32 v4, v17, v4, vcc
	v_lshlrev_b32_e32 v16, 24, v54
	v_bfrev_b32_e32 v17, 60
	v_lshlrev_b32_e32 v4, 20, v4
	v_and_b32_e32 v16, 0x80000000, v16
	v_lshl_add_u32 v5, v5, 23, v17
	v_or3_b32 v4, v16, v5, v4
.LBB6_15821:                            ;   in Loop: Header=BB6_14596 Depth=3
	s_or_b64 exec, exec, s[36:37]
.LBB6_15822:                            ;   in Loop: Header=BB6_14596 Depth=3
	s_or_b64 exec, exec, s[34:35]
.LBB6_15823:                            ;   in Loop: Header=BB6_14596 Depth=3
	s_or_b64 exec, exec, s[28:29]
	v_and_b32_e32 v16, 0xff, v21
	v_cmp_ne_u16_e32 vcc, 0, v16
	s_and_saveexec_b64 s[28:29], vcc
	s_cbranch_execz .LBB6_15829
; %bb.15824:                            ;   in Loop: Header=BB6_14596 Depth=3
	v_cmp_ne_u16_e32 vcc, s96, v16
	v_bfrev_b32_e32 v2, 1
	s_and_saveexec_b64 s[34:35], vcc
	s_cbranch_execz .LBB6_15828
; %bb.15825:                            ;   in Loop: Header=BB6_14596 Depth=3
	v_and_b32_e32 v5, 0x7f, v21
	v_cmp_ne_u32_e32 vcc, s86, v5
	v_mov_b32_e32 v2, 0x7f800001
	s_and_saveexec_b64 s[36:37], vcc
	s_cbranch_execz .LBB6_15827
; %bb.15826:                            ;   in Loop: Header=BB6_14596 Depth=3
	v_and_b32_e32 v2, 7, v16
	v_lshrrev_b32_e32 v22, 3, v5
	v_cmp_gt_u32_e32 vcc, 8, v5
	v_ffbh_u32_e32 v5, v2
	v_min_u32_e32 v5, 32, v5
	v_subrev_u32_e32 v17, 28, v5
	v_lshlrev_b64 v[16:17], v17, v[16:17]
	v_sub_u32_e32 v5, 29, v5
	v_and_b32_e32 v16, 7, v16
	v_cndmask_b32_e32 v5, v22, v5, vcc
	v_cndmask_b32_e32 v2, v2, v16, vcc
	v_lshlrev_b32_e32 v16, 24, v21
	v_bfrev_b32_e32 v17, 60
	v_lshlrev_b32_e32 v2, 20, v2
	v_and_b32_e32 v16, 0x80000000, v16
	v_lshl_add_u32 v5, v5, 23, v17
	v_or3_b32 v2, v16, v5, v2
.LBB6_15827:                            ;   in Loop: Header=BB6_14596 Depth=3
	s_or_b64 exec, exec, s[36:37]
.LBB6_15828:                            ;   in Loop: Header=BB6_14596 Depth=3
	s_or_b64 exec, exec, s[34:35]
.LBB6_15829:                            ;   in Loop: Header=BB6_14596 Depth=3
	s_or_b64 exec, exec, s[28:29]
	v_add_f32_e32 v4, v4, v2
	v_and_b32_e32 v16, 0x7f800000, v4
	v_mov_b32_e32 v17, v51
	v_cmp_ne_u64_e32 vcc, s[76:77], v[16:17]
                                        ; implicit-def: $vgpr54
	s_and_saveexec_b64 s[28:29], vcc
	s_xor_b64 s[34:35], exec, s[28:29]
	s_cbranch_execz .LBB6_15847
; %bb.15830:                            ;   in Loop: Header=BB6_14596 Depth=3
	v_and_b32_e32 v16, 0x7fffffff, v4
	v_mov_b32_e32 v17, v51
	v_cmp_gt_u64_e32 vcc, s[78:79], v[16:17]
	v_and_b32_sdwa v2, v4, s96 dst_sel:DWORD dst_unused:UNUSED_PAD src0_sel:BYTE_3 src1_sel:DWORD
                                        ; implicit-def: $vgpr54
	s_and_saveexec_b64 s[28:29], vcc
	s_xor_b64 s[36:37], exec, s[28:29]
	s_cbranch_execz .LBB6_15844
; %bb.15831:                            ;   in Loop: Header=BB6_14596 Depth=3
	v_cmp_ne_u32_e32 vcc, 0, v4
	v_mov_b32_e32 v54, 0
	s_and_saveexec_b64 s[38:39], vcc
	s_cbranch_execz .LBB6_15843
; %bb.15832:                            ;   in Loop: Header=BB6_14596 Depth=3
	v_bfe_u32 v21, v4, 23, 8
	v_and_b32_e32 v5, 0x7fffff, v4
	v_cmp_gt_u32_e64 s[28:29], s97, v21
	v_sub_u32_e32 v4, 0x79, v21
	v_cmp_eq_u32_e32 vcc, 0, v21
	v_cndmask_b32_e64 v4, 0, v4, s[28:29]
	v_mov_b32_e32 v17, 0x78
	v_or_b32_e32 v16, 0x800000, v5
	v_cndmask_b32_e32 v22, v4, v17, vcc
	v_cndmask_b32_e32 v4, v16, v5, vcc
	v_add_u32_e32 v16, 20, v22
	v_lshlrev_b64 v[16:17], v16, -1
	v_add_u32_e32 v23, 19, v22
	v_lshlrev_b64 v[23:24], v23, 1
	v_mov_b32_e32 v5, v51
	v_bfi_b32 v17, v17, 0, 0
	v_bfi_b32 v16, v16, 0, v4
	v_cmp_eq_u64_e64 s[28:29], v[16:17], v[23:24]
	v_lshrrev_b64 v[16:17], v22, v[4:5]
	v_mov_b32_e32 v4, v16
	v_mov_b32_e32 v5, v17
	s_and_saveexec_b64 s[48:49], s[28:29]
; %bb.15833:                            ;   in Loop: Header=BB6_14596 Depth=3
	v_bfe_u32 v4, v16, 20, 1
	v_add_co_u32_e64 v4, s[28:29], v16, v4
	v_add_co_u32_e64 v4, s[28:29], -1, v4
; %bb.15834:                            ;   in Loop: Header=BB6_14596 Depth=3
	s_or_b64 exec, exec, s[48:49]
	v_add_u32_e32 v5, 0xffffff81, v21
	v_mov_b32_e32 v17, 0xffffff82
	v_cndmask_b32_e32 v5, v5, v17, vcc
	v_lshrrev_b32_e32 v17, 23, v16
	v_add3_u32 v21, v22, v5, v17
	v_add_u32_e32 v5, 6, v21
	v_and_b32_e32 v4, 0xfffff, v4
	v_add_u32_e32 v16, v4, v16
	v_mov_b32_e32 v17, v51
	v_cmp_ne_u32_e32 vcc, 0, v5
                                        ; implicit-def: $vgpr4
	s_and_saveexec_b64 s[28:29], vcc
	s_xor_b64 s[28:29], exec, s[28:29]
; %bb.15835:                            ;   in Loop: Header=BB6_14596 Depth=3
	v_cmp_lt_u64_e32 vcc, s[88:89], v[16:17]
	v_add_u32_e32 v4, 7, v21
	v_cndmask_b32_e32 v4, v5, v4, vcc
	v_cndmask_b32_e64 v5, 0, 1, vcc
	v_lshrrev_b64 v[16:17], v5, v[16:17]
; %bb.15836:                            ;   in Loop: Header=BB6_14596 Depth=3
	s_andn2_saveexec_b64 s[28:29], s[28:29]
; %bb.15837:                            ;   in Loop: Header=BB6_14596 Depth=3
	v_bfe_u32 v4, v16, 23, 1
; %bb.15838:                            ;   in Loop: Header=BB6_14596 Depth=3
	s_or_b64 exec, exec, s[28:29]
	v_lshrrev_b64 v[16:17], 20, v[16:17]
	v_cmp_gt_i32_e32 vcc, 16, v4
	v_cndmask_b32_e32 v17, 0, v17, vcc
	v_cndmask_b32_e32 v16, 7, v16, vcc
	v_cmp_ne_u64_e32 vcc, 0, v[16:17]
	v_cmp_ne_u32_e64 s[28:29], 0, v4
	s_or_b64 s[28:29], s[28:29], vcc
                                        ; implicit-def: $vgpr54
	s_and_saveexec_b64 vcc, s[28:29]
	s_xor_b64 s[28:29], exec, vcc
; %bb.15839:                            ;   in Loop: Header=BB6_14596 Depth=3
	v_min_i32_e32 v4, 15, v4
	v_lshl_or_b32 v2, v4, 3, v2
	v_and_or_b32 v54, v16, 7, v2
                                        ; implicit-def: $vgpr2
; %bb.15840:                            ;   in Loop: Header=BB6_14596 Depth=3
	s_andn2_saveexec_b64 s[28:29], s[28:29]
; %bb.15841:                            ;   in Loop: Header=BB6_14596 Depth=3
	v_mov_b32_e32 v54, v2
; %bb.15842:                            ;   in Loop: Header=BB6_14596 Depth=3
	s_or_b64 exec, exec, s[28:29]
.LBB6_15843:                            ;   in Loop: Header=BB6_14596 Depth=3
	s_or_b64 exec, exec, s[38:39]
                                        ; implicit-def: $vgpr2
.LBB6_15844:                            ;   in Loop: Header=BB6_14596 Depth=3
	s_andn2_saveexec_b64 s[28:29], s[36:37]
; %bb.15845:                            ;   in Loop: Header=BB6_14596 Depth=3
	v_or_b32_e32 v54, 0x7e, v2
; %bb.15846:                            ;   in Loop: Header=BB6_14596 Depth=3
	s_or_b64 exec, exec, s[28:29]
                                        ; implicit-def: $vgpr4
.LBB6_15847:                            ;   in Loop: Header=BB6_14596 Depth=3
	s_andn2_saveexec_b64 s[28:29], s[34:35]
; %bb.15848:                            ;   in Loop: Header=BB6_14596 Depth=3
	v_or_b32_sdwa v54, v4, s86 dst_sel:DWORD dst_unused:UNUSED_PAD src0_sel:BYTE_3 src1_sel:DWORD
; %bb.15849:                            ;   in Loop: Header=BB6_14596 Depth=3
	s_or_b64 exec, exec, s[28:29]
	v_and_b32_e32 v16, 0xff, v50
	v_cmp_ne_u16_e32 vcc, 0, v16
	v_mov_b32_e32 v2, 0
	v_mov_b32_e32 v4, 0
	s_and_saveexec_b64 s[28:29], vcc
	s_cbranch_execz .LBB6_15855
; %bb.15850:                            ;   in Loop: Header=BB6_14596 Depth=3
	v_cmp_ne_u16_e32 vcc, s96, v16
	v_bfrev_b32_e32 v4, 1
	s_and_saveexec_b64 s[34:35], vcc
	s_cbranch_execz .LBB6_15854
; %bb.15851:                            ;   in Loop: Header=BB6_14596 Depth=3
	v_and_b32_e32 v5, 0x7f, v50
	v_cmp_ne_u32_e32 vcc, s86, v5
	v_mov_b32_e32 v4, 0x7f800001
	s_and_saveexec_b64 s[36:37], vcc
	s_cbranch_execz .LBB6_15853
; %bb.15852:                            ;   in Loop: Header=BB6_14596 Depth=3
	v_and_b32_e32 v17, 7, v16
	v_ffbh_u32_e32 v4, v17
	v_min_u32_e32 v22, 32, v4
	v_subrev_u32_e32 v4, 28, v22
	v_lshrrev_b32_e32 v21, 3, v5
	v_cmp_gt_u32_e32 vcc, 8, v5
	v_lshlrev_b64 v[4:5], v4, v[16:17]
	v_sub_u32_e32 v5, 29, v22
	v_and_b32_e32 v4, 7, v4
	v_cndmask_b32_e32 v5, v21, v5, vcc
	v_cndmask_b32_e32 v4, v17, v4, vcc
	v_lshlrev_b32_e32 v16, 24, v50
	v_bfrev_b32_e32 v17, 60
	v_lshlrev_b32_e32 v4, 20, v4
	v_and_b32_e32 v16, 0x80000000, v16
	v_lshl_add_u32 v5, v5, 23, v17
	v_or3_b32 v4, v16, v5, v4
.LBB6_15853:                            ;   in Loop: Header=BB6_14596 Depth=3
	s_or_b64 exec, exec, s[36:37]
.LBB6_15854:                            ;   in Loop: Header=BB6_14596 Depth=3
	s_or_b64 exec, exec, s[34:35]
.LBB6_15855:                            ;   in Loop: Header=BB6_14596 Depth=3
	s_or_b64 exec, exec, s[28:29]
	v_and_b32_e32 v16, 0xff, v1
	v_cmp_ne_u16_e32 vcc, 0, v16
	s_and_saveexec_b64 s[28:29], vcc
	s_cbranch_execz .LBB6_15861
; %bb.15856:                            ;   in Loop: Header=BB6_14596 Depth=3
	v_cmp_ne_u16_e32 vcc, s96, v16
	v_bfrev_b32_e32 v2, 1
	s_and_saveexec_b64 s[34:35], vcc
	s_cbranch_execz .LBB6_15860
; %bb.15857:                            ;   in Loop: Header=BB6_14596 Depth=3
	v_and_b32_e32 v5, 0x7f, v1
	v_cmp_ne_u32_e32 vcc, s86, v5
	v_mov_b32_e32 v2, 0x7f800001
	s_and_saveexec_b64 s[36:37], vcc
	s_cbranch_execz .LBB6_15859
; %bb.15858:                            ;   in Loop: Header=BB6_14596 Depth=3
	v_and_b32_e32 v2, 7, v16
	v_lshrrev_b32_e32 v21, 3, v5
	v_cmp_gt_u32_e32 vcc, 8, v5
	v_ffbh_u32_e32 v5, v2
	v_min_u32_e32 v5, 32, v5
	v_subrev_u32_e32 v17, 28, v5
	v_lshlrev_b64 v[16:17], v17, v[16:17]
	v_sub_u32_e32 v5, 29, v5
	v_and_b32_e32 v16, 7, v16
	v_cndmask_b32_e32 v5, v21, v5, vcc
	v_cndmask_b32_e32 v2, v2, v16, vcc
	v_lshlrev_b32_e32 v1, 24, v1
	v_bfrev_b32_e32 v16, 60
	v_lshlrev_b32_e32 v2, 20, v2
	v_and_b32_e32 v1, 0x80000000, v1
	v_lshl_add_u32 v5, v5, 23, v16
	v_or3_b32 v2, v1, v5, v2
.LBB6_15859:                            ;   in Loop: Header=BB6_14596 Depth=3
	s_or_b64 exec, exec, s[36:37]
.LBB6_15860:                            ;   in Loop: Header=BB6_14596 Depth=3
	s_or_b64 exec, exec, s[34:35]
.LBB6_15861:                            ;   in Loop: Header=BB6_14596 Depth=3
	s_or_b64 exec, exec, s[28:29]
	v_add_f32_e32 v2, v4, v2
	v_and_b32_e32 v4, 0x7f800000, v2
	v_mov_b32_e32 v5, v51
	v_cmp_ne_u64_e32 vcc, s[76:77], v[4:5]
                                        ; implicit-def: $vgpr50
	s_and_saveexec_b64 s[28:29], vcc
	s_xor_b64 s[34:35], exec, s[28:29]
	s_cbranch_execz .LBB6_15879
; %bb.15862:                            ;   in Loop: Header=BB6_14596 Depth=3
	v_and_b32_e32 v4, 0x7fffffff, v2
	v_mov_b32_e32 v5, v51
	v_cmp_gt_u64_e32 vcc, s[78:79], v[4:5]
	v_and_b32_sdwa v1, v2, s96 dst_sel:DWORD dst_unused:UNUSED_PAD src0_sel:BYTE_3 src1_sel:DWORD
                                        ; implicit-def: $vgpr50
	s_and_saveexec_b64 s[28:29], vcc
	s_xor_b64 s[36:37], exec, s[28:29]
	s_cbranch_execz .LBB6_15876
; %bb.15863:                            ;   in Loop: Header=BB6_14596 Depth=3
	v_cmp_ne_u32_e32 vcc, 0, v2
	v_mov_b32_e32 v50, 0
	s_and_saveexec_b64 s[38:39], vcc
	s_cbranch_execz .LBB6_15875
; %bb.15864:                            ;   in Loop: Header=BB6_14596 Depth=3
	v_and_b32_e32 v4, 0x7fffff, v2
	v_bfe_u32 v2, v2, 23, 8
	v_cmp_gt_u32_e64 s[28:29], s97, v2
	v_sub_u32_e32 v5, 0x79, v2
	v_cmp_eq_u32_e32 vcc, 0, v2
	v_cndmask_b32_e64 v5, 0, v5, s[28:29]
	v_mov_b32_e32 v17, 0x78
	v_or_b32_e32 v16, 0x800000, v4
	v_cndmask_b32_e32 v21, v5, v17, vcc
	v_cndmask_b32_e32 v4, v16, v4, vcc
	v_add_u32_e32 v16, 20, v21
	v_lshlrev_b64 v[16:17], v16, -1
	v_add_u32_e32 v22, 19, v21
	v_lshlrev_b64 v[22:23], v22, 1
	v_mov_b32_e32 v5, v51
	v_bfi_b32 v17, v17, 0, 0
	v_bfi_b32 v16, v16, 0, v4
	v_cmp_eq_u64_e64 s[28:29], v[16:17], v[22:23]
	v_lshrrev_b64 v[16:17], v21, v[4:5]
	v_mov_b32_e32 v4, v16
	v_mov_b32_e32 v5, v17
	s_and_saveexec_b64 s[48:49], s[28:29]
; %bb.15865:                            ;   in Loop: Header=BB6_14596 Depth=3
	v_bfe_u32 v4, v16, 20, 1
	v_add_co_u32_e64 v4, s[28:29], v16, v4
	v_add_co_u32_e64 v4, s[28:29], -1, v4
; %bb.15866:                            ;   in Loop: Header=BB6_14596 Depth=3
	s_or_b64 exec, exec, s[48:49]
	v_add_u32_e32 v2, 0xffffff81, v2
	v_mov_b32_e32 v5, 0xffffff82
	v_cndmask_b32_e32 v2, v2, v5, vcc
	v_lshrrev_b32_e32 v5, 23, v16
	v_add3_u32 v21, v21, v2, v5
	v_add_u32_e32 v5, 6, v21
	v_and_b32_e32 v2, 0xfffff, v4
	v_add_u32_e32 v16, v2, v16
	v_mov_b32_e32 v17, v51
	v_cmp_ne_u32_e32 vcc, 0, v5
                                        ; implicit-def: $vgpr2
	s_and_saveexec_b64 s[28:29], vcc
	s_xor_b64 s[28:29], exec, s[28:29]
; %bb.15867:                            ;   in Loop: Header=BB6_14596 Depth=3
	v_cmp_lt_u64_e32 vcc, s[88:89], v[16:17]
	v_add_u32_e32 v2, 7, v21
	v_cndmask_b32_e64 v4, 0, 1, vcc
	v_lshrrev_b64 v[16:17], v4, v[16:17]
	v_cndmask_b32_e32 v2, v5, v2, vcc
; %bb.15868:                            ;   in Loop: Header=BB6_14596 Depth=3
	s_andn2_saveexec_b64 s[28:29], s[28:29]
; %bb.15869:                            ;   in Loop: Header=BB6_14596 Depth=3
	v_bfe_u32 v2, v16, 23, 1
; %bb.15870:                            ;   in Loop: Header=BB6_14596 Depth=3
	s_or_b64 exec, exec, s[28:29]
	v_lshrrev_b64 v[4:5], 20, v[16:17]
	v_cmp_gt_i32_e32 vcc, 16, v2
	v_cndmask_b32_e32 v17, 0, v5, vcc
	v_cndmask_b32_e32 v16, 7, v4, vcc
	v_cmp_ne_u64_e32 vcc, 0, v[16:17]
	v_cmp_ne_u32_e64 s[28:29], 0, v2
	s_or_b64 s[28:29], s[28:29], vcc
                                        ; implicit-def: $vgpr50
	s_and_saveexec_b64 vcc, s[28:29]
	s_xor_b64 s[28:29], exec, vcc
; %bb.15871:                            ;   in Loop: Header=BB6_14596 Depth=3
	v_min_i32_e32 v2, 15, v2
	v_lshl_or_b32 v1, v2, 3, v1
	v_and_or_b32 v50, v16, 7, v1
                                        ; implicit-def: $vgpr1
; %bb.15872:                            ;   in Loop: Header=BB6_14596 Depth=3
	s_andn2_saveexec_b64 s[28:29], s[28:29]
; %bb.15873:                            ;   in Loop: Header=BB6_14596 Depth=3
	v_mov_b32_e32 v50, v1
; %bb.15874:                            ;   in Loop: Header=BB6_14596 Depth=3
	s_or_b64 exec, exec, s[28:29]
.LBB6_15875:                            ;   in Loop: Header=BB6_14596 Depth=3
	s_or_b64 exec, exec, s[38:39]
                                        ; implicit-def: $vgpr1
.LBB6_15876:                            ;   in Loop: Header=BB6_14596 Depth=3
	s_andn2_saveexec_b64 s[28:29], s[36:37]
; %bb.15877:                            ;   in Loop: Header=BB6_14596 Depth=3
	v_or_b32_e32 v50, 0x7e, v1
; %bb.15878:                            ;   in Loop: Header=BB6_14596 Depth=3
	s_or_b64 exec, exec, s[28:29]
                                        ; implicit-def: $vgpr2
.LBB6_15879:                            ;   in Loop: Header=BB6_14596 Depth=3
	s_andn2_saveexec_b64 s[28:29], s[34:35]
; %bb.15880:                            ;   in Loop: Header=BB6_14596 Depth=3
	v_or_b32_sdwa v50, v2, s86 dst_sel:DWORD dst_unused:UNUSED_PAD src0_sel:BYTE_3 src1_sel:DWORD
; %bb.15881:                            ;   in Loop: Header=BB6_14596 Depth=3
	s_or_b64 exec, exec, s[28:29]
	v_and_b32_e32 v16, 0xff, v49
	v_cmp_ne_u16_e32 vcc, 0, v16
	v_mov_b32_e32 v1, 0
	v_mov_b32_e32 v2, 0
	s_and_saveexec_b64 s[28:29], vcc
	s_cbranch_execz .LBB6_15887
; %bb.15882:                            ;   in Loop: Header=BB6_14596 Depth=3
	v_cmp_ne_u16_e32 vcc, s96, v16
	v_bfrev_b32_e32 v2, 1
	s_and_saveexec_b64 s[34:35], vcc
	s_cbranch_execz .LBB6_15886
; %bb.15883:                            ;   in Loop: Header=BB6_14596 Depth=3
	v_and_b32_e32 v4, 0x7f, v49
	v_cmp_ne_u32_e32 vcc, s86, v4
	v_mov_b32_e32 v2, 0x7f800001
	s_and_saveexec_b64 s[36:37], vcc
	s_cbranch_execz .LBB6_15885
; %bb.15884:                            ;   in Loop: Header=BB6_14596 Depth=3
	v_and_b32_e32 v2, 7, v16
	v_lshrrev_b32_e32 v17, 3, v4
	v_cmp_gt_u32_e32 vcc, 8, v4
	v_ffbh_u32_e32 v4, v2
	v_min_u32_e32 v21, 32, v4
	v_subrev_u32_e32 v4, 28, v21
	v_lshlrev_b64 v[4:5], v4, v[16:17]
	v_sub_u32_e32 v5, 29, v21
	v_and_b32_e32 v4, 7, v4
	v_cndmask_b32_e32 v5, v17, v5, vcc
	v_cndmask_b32_e32 v2, v2, v4, vcc
	v_lshlrev_b32_e32 v4, 24, v49
	v_bfrev_b32_e32 v16, 60
	v_lshlrev_b32_e32 v2, 20, v2
	v_and_b32_e32 v4, 0x80000000, v4
	v_lshl_add_u32 v5, v5, 23, v16
	v_or3_b32 v2, v4, v5, v2
.LBB6_15885:                            ;   in Loop: Header=BB6_14596 Depth=3
	s_or_b64 exec, exec, s[36:37]
.LBB6_15886:                            ;   in Loop: Header=BB6_14596 Depth=3
	s_or_b64 exec, exec, s[34:35]
.LBB6_15887:                            ;   in Loop: Header=BB6_14596 Depth=3
	s_or_b64 exec, exec, s[28:29]
	v_and_b32_e32 v16, 0xff, v28
	v_cmp_ne_u16_e32 vcc, 0, v16
	s_and_saveexec_b64 s[28:29], vcc
	s_cbranch_execz .LBB6_15893
; %bb.15888:                            ;   in Loop: Header=BB6_14596 Depth=3
	v_cmp_ne_u16_e32 vcc, s96, v16
	v_bfrev_b32_e32 v1, 1
	s_and_saveexec_b64 s[34:35], vcc
	s_cbranch_execz .LBB6_15892
; %bb.15889:                            ;   in Loop: Header=BB6_14596 Depth=3
	v_and_b32_e32 v4, 0x7f, v28
	v_cmp_ne_u32_e32 vcc, s86, v4
	v_mov_b32_e32 v1, 0x7f800001
	s_and_saveexec_b64 s[36:37], vcc
	s_cbranch_execz .LBB6_15891
; %bb.15890:                            ;   in Loop: Header=BB6_14596 Depth=3
	v_and_b32_e32 v1, 7, v16
	v_lshrrev_b32_e32 v17, 3, v4
	v_cmp_gt_u32_e32 vcc, 8, v4
	v_ffbh_u32_e32 v4, v1
	v_min_u32_e32 v21, 32, v4
	v_subrev_u32_e32 v4, 28, v21
	v_lshlrev_b64 v[4:5], v4, v[16:17]
	v_sub_u32_e32 v5, 29, v21
	v_and_b32_e32 v4, 7, v4
	v_cndmask_b32_e32 v5, v17, v5, vcc
	v_cndmask_b32_e32 v1, v1, v4, vcc
	v_lshlrev_b32_e32 v4, 24, v28
	v_bfrev_b32_e32 v16, 60
	v_lshlrev_b32_e32 v1, 20, v1
	v_and_b32_e32 v4, 0x80000000, v4
	v_lshl_add_u32 v5, v5, 23, v16
	v_or3_b32 v1, v4, v5, v1
.LBB6_15891:                            ;   in Loop: Header=BB6_14596 Depth=3
	s_or_b64 exec, exec, s[36:37]
.LBB6_15892:                            ;   in Loop: Header=BB6_14596 Depth=3
	s_or_b64 exec, exec, s[34:35]
.LBB6_15893:                            ;   in Loop: Header=BB6_14596 Depth=3
	s_or_b64 exec, exec, s[28:29]
	v_add_f32_e32 v2, v2, v1
	v_and_b32_e32 v4, 0x7f800000, v2
	v_mov_b32_e32 v5, v51
	v_cmp_ne_u64_e32 vcc, s[76:77], v[4:5]
                                        ; implicit-def: $vgpr49
	s_and_saveexec_b64 s[28:29], vcc
	s_xor_b64 s[34:35], exec, s[28:29]
	s_cbranch_execz .LBB6_15911
; %bb.15894:                            ;   in Loop: Header=BB6_14596 Depth=3
	v_and_b32_e32 v4, 0x7fffffff, v2
	v_mov_b32_e32 v5, v51
	v_cmp_gt_u64_e32 vcc, s[78:79], v[4:5]
	v_and_b32_sdwa v1, v2, s96 dst_sel:DWORD dst_unused:UNUSED_PAD src0_sel:BYTE_3 src1_sel:DWORD
                                        ; implicit-def: $vgpr49
	s_and_saveexec_b64 s[28:29], vcc
	s_xor_b64 s[36:37], exec, s[28:29]
	s_cbranch_execz .LBB6_15908
; %bb.15895:                            ;   in Loop: Header=BB6_14596 Depth=3
	v_cmp_ne_u32_e32 vcc, 0, v2
	v_mov_b32_e32 v49, 0
	s_and_saveexec_b64 s[38:39], vcc
	s_cbranch_execz .LBB6_15907
; %bb.15896:                            ;   in Loop: Header=BB6_14596 Depth=3
	v_and_b32_e32 v4, 0x7fffff, v2
	v_bfe_u32 v2, v2, 23, 8
	v_cmp_gt_u32_e64 s[28:29], s97, v2
	v_sub_u32_e32 v5, 0x79, v2
	v_cmp_eq_u32_e32 vcc, 0, v2
	v_cndmask_b32_e64 v5, 0, v5, s[28:29]
	v_mov_b32_e32 v17, 0x78
	v_or_b32_e32 v16, 0x800000, v4
	v_cndmask_b32_e32 v21, v5, v17, vcc
	v_cndmask_b32_e32 v4, v16, v4, vcc
	v_add_u32_e32 v16, 20, v21
	v_lshlrev_b64 v[16:17], v16, -1
	v_add_u32_e32 v22, 19, v21
	v_lshlrev_b64 v[22:23], v22, 1
	v_mov_b32_e32 v5, v51
	v_bfi_b32 v17, v17, 0, 0
	v_bfi_b32 v16, v16, 0, v4
	v_cmp_eq_u64_e64 s[28:29], v[16:17], v[22:23]
	v_lshrrev_b64 v[16:17], v21, v[4:5]
	v_mov_b32_e32 v4, v16
	v_mov_b32_e32 v5, v17
	s_and_saveexec_b64 s[48:49], s[28:29]
; %bb.15897:                            ;   in Loop: Header=BB6_14596 Depth=3
	v_bfe_u32 v4, v16, 20, 1
	v_add_co_u32_e64 v4, s[28:29], v16, v4
	v_add_co_u32_e64 v4, s[28:29], -1, v4
; %bb.15898:                            ;   in Loop: Header=BB6_14596 Depth=3
	s_or_b64 exec, exec, s[48:49]
	v_add_u32_e32 v2, 0xffffff81, v2
	v_mov_b32_e32 v5, 0xffffff82
	v_cndmask_b32_e32 v2, v2, v5, vcc
	v_lshrrev_b32_e32 v5, 23, v16
	v_add3_u32 v21, v21, v2, v5
	v_add_u32_e32 v5, 6, v21
	v_and_b32_e32 v2, 0xfffff, v4
	v_add_u32_e32 v16, v2, v16
	v_mov_b32_e32 v17, v51
	v_cmp_ne_u32_e32 vcc, 0, v5
                                        ; implicit-def: $vgpr2
	s_and_saveexec_b64 s[28:29], vcc
	s_xor_b64 s[28:29], exec, s[28:29]
; %bb.15899:                            ;   in Loop: Header=BB6_14596 Depth=3
	v_cmp_lt_u64_e32 vcc, s[88:89], v[16:17]
	v_add_u32_e32 v2, 7, v21
	v_cndmask_b32_e64 v4, 0, 1, vcc
	v_lshrrev_b64 v[16:17], v4, v[16:17]
	v_cndmask_b32_e32 v2, v5, v2, vcc
; %bb.15900:                            ;   in Loop: Header=BB6_14596 Depth=3
	s_andn2_saveexec_b64 s[28:29], s[28:29]
; %bb.15901:                            ;   in Loop: Header=BB6_14596 Depth=3
	v_bfe_u32 v2, v16, 23, 1
; %bb.15902:                            ;   in Loop: Header=BB6_14596 Depth=3
	s_or_b64 exec, exec, s[28:29]
	v_lshrrev_b64 v[4:5], 20, v[16:17]
	v_cmp_gt_i32_e32 vcc, 16, v2
	v_cndmask_b32_e32 v17, 0, v5, vcc
	v_cndmask_b32_e32 v16, 7, v4, vcc
	v_cmp_ne_u64_e32 vcc, 0, v[16:17]
	v_cmp_ne_u32_e64 s[28:29], 0, v2
	s_or_b64 s[28:29], s[28:29], vcc
                                        ; implicit-def: $vgpr49
	s_and_saveexec_b64 vcc, s[28:29]
	s_xor_b64 s[28:29], exec, vcc
; %bb.15903:                            ;   in Loop: Header=BB6_14596 Depth=3
	v_min_i32_e32 v2, 15, v2
	v_lshl_or_b32 v1, v2, 3, v1
	v_and_or_b32 v49, v16, 7, v1
                                        ; implicit-def: $vgpr1
; %bb.15904:                            ;   in Loop: Header=BB6_14596 Depth=3
	s_andn2_saveexec_b64 s[28:29], s[28:29]
; %bb.15905:                            ;   in Loop: Header=BB6_14596 Depth=3
	v_mov_b32_e32 v49, v1
; %bb.15906:                            ;   in Loop: Header=BB6_14596 Depth=3
	s_or_b64 exec, exec, s[28:29]
.LBB6_15907:                            ;   in Loop: Header=BB6_14596 Depth=3
	s_or_b64 exec, exec, s[38:39]
                                        ; implicit-def: $vgpr1
.LBB6_15908:                            ;   in Loop: Header=BB6_14596 Depth=3
	s_andn2_saveexec_b64 s[28:29], s[36:37]
; %bb.15909:                            ;   in Loop: Header=BB6_14596 Depth=3
	v_or_b32_e32 v49, 0x7e, v1
; %bb.15910:                            ;   in Loop: Header=BB6_14596 Depth=3
	s_or_b64 exec, exec, s[28:29]
                                        ; implicit-def: $vgpr2
.LBB6_15911:                            ;   in Loop: Header=BB6_14596 Depth=3
	s_andn2_saveexec_b64 s[28:29], s[34:35]
; %bb.15912:                            ;   in Loop: Header=BB6_14596 Depth=3
	v_or_b32_sdwa v49, v2, s86 dst_sel:DWORD dst_unused:UNUSED_PAD src0_sel:BYTE_3 src1_sel:DWORD
; %bb.15913:                            ;   in Loop: Header=BB6_14596 Depth=3
	s_or_b64 exec, exec, s[28:29]
	v_and_b32_e32 v16, 0xff, v48
	v_cmp_ne_u16_e32 vcc, 0, v16
	v_mov_b32_e32 v1, 0
	v_mov_b32_e32 v2, 0
	s_and_saveexec_b64 s[28:29], vcc
	s_cbranch_execz .LBB6_15919
; %bb.15914:                            ;   in Loop: Header=BB6_14596 Depth=3
	v_cmp_ne_u16_e32 vcc, s96, v16
	v_bfrev_b32_e32 v2, 1
	s_and_saveexec_b64 s[34:35], vcc
	s_cbranch_execz .LBB6_15918
; %bb.15915:                            ;   in Loop: Header=BB6_14596 Depth=3
	v_and_b32_e32 v4, 0x7f, v48
	v_cmp_ne_u32_e32 vcc, s86, v4
	v_mov_b32_e32 v2, 0x7f800001
	s_and_saveexec_b64 s[36:37], vcc
	s_cbranch_execz .LBB6_15917
; %bb.15916:                            ;   in Loop: Header=BB6_14596 Depth=3
	v_and_b32_e32 v2, 7, v16
	v_lshrrev_b32_e32 v17, 3, v4
	v_cmp_gt_u32_e32 vcc, 8, v4
	v_ffbh_u32_e32 v4, v2
	v_min_u32_e32 v21, 32, v4
	v_subrev_u32_e32 v4, 28, v21
	v_lshlrev_b64 v[4:5], v4, v[16:17]
	v_sub_u32_e32 v5, 29, v21
	v_and_b32_e32 v4, 7, v4
	v_cndmask_b32_e32 v5, v17, v5, vcc
	v_cndmask_b32_e32 v2, v2, v4, vcc
	v_lshlrev_b32_e32 v4, 24, v48
	v_bfrev_b32_e32 v16, 60
	v_lshlrev_b32_e32 v2, 20, v2
	v_and_b32_e32 v4, 0x80000000, v4
	v_lshl_add_u32 v5, v5, 23, v16
	v_or3_b32 v2, v4, v5, v2
.LBB6_15917:                            ;   in Loop: Header=BB6_14596 Depth=3
	s_or_b64 exec, exec, s[36:37]
.LBB6_15918:                            ;   in Loop: Header=BB6_14596 Depth=3
	s_or_b64 exec, exec, s[34:35]
.LBB6_15919:                            ;   in Loop: Header=BB6_14596 Depth=3
	s_or_b64 exec, exec, s[28:29]
	v_and_b32_e32 v16, 0xff, v3
	v_cmp_ne_u16_e32 vcc, 0, v16
	s_and_saveexec_b64 s[28:29], vcc
	s_cbranch_execz .LBB6_15925
; %bb.15920:                            ;   in Loop: Header=BB6_14596 Depth=3
	v_cmp_ne_u16_e32 vcc, s96, v16
	v_bfrev_b32_e32 v1, 1
	s_and_saveexec_b64 s[34:35], vcc
	s_cbranch_execz .LBB6_15924
; %bb.15921:                            ;   in Loop: Header=BB6_14596 Depth=3
	v_and_b32_e32 v4, 0x7f, v3
	v_cmp_ne_u32_e32 vcc, s86, v4
	v_mov_b32_e32 v1, 0x7f800001
	s_and_saveexec_b64 s[36:37], vcc
	s_cbranch_execz .LBB6_15923
; %bb.15922:                            ;   in Loop: Header=BB6_14596 Depth=3
	v_and_b32_e32 v1, 7, v16
	v_lshrrev_b32_e32 v17, 3, v4
	v_cmp_gt_u32_e32 vcc, 8, v4
	v_ffbh_u32_e32 v4, v1
	v_min_u32_e32 v21, 32, v4
	v_subrev_u32_e32 v4, 28, v21
	v_lshlrev_b64 v[4:5], v4, v[16:17]
	v_sub_u32_e32 v5, 29, v21
	v_and_b32_e32 v4, 7, v4
	v_cndmask_b32_e32 v5, v17, v5, vcc
	v_cndmask_b32_e32 v1, v1, v4, vcc
	v_lshlrev_b32_e32 v3, 24, v3
	v_bfrev_b32_e32 v4, 60
	v_lshlrev_b32_e32 v1, 20, v1
	v_and_b32_e32 v3, 0x80000000, v3
	v_lshl_add_u32 v4, v5, 23, v4
	v_or3_b32 v1, v3, v4, v1
.LBB6_15923:                            ;   in Loop: Header=BB6_14596 Depth=3
	s_or_b64 exec, exec, s[36:37]
.LBB6_15924:                            ;   in Loop: Header=BB6_14596 Depth=3
	s_or_b64 exec, exec, s[34:35]
.LBB6_15925:                            ;   in Loop: Header=BB6_14596 Depth=3
	s_or_b64 exec, exec, s[28:29]
	v_add_f32_e32 v2, v2, v1
	v_and_b32_e32 v3, 0x7f800000, v2
	v_mov_b32_e32 v4, v51
	v_cmp_ne_u64_e32 vcc, s[76:77], v[3:4]
                                        ; implicit-def: $vgpr48
	s_and_saveexec_b64 s[28:29], vcc
	s_xor_b64 s[34:35], exec, s[28:29]
	s_cbranch_execz .LBB6_15943
; %bb.15926:                            ;   in Loop: Header=BB6_14596 Depth=3
	v_and_b32_e32 v3, 0x7fffffff, v2
	v_mov_b32_e32 v4, v51
	v_cmp_gt_u64_e32 vcc, s[78:79], v[3:4]
	v_and_b32_sdwa v1, v2, s96 dst_sel:DWORD dst_unused:UNUSED_PAD src0_sel:BYTE_3 src1_sel:DWORD
                                        ; implicit-def: $vgpr48
	s_and_saveexec_b64 s[28:29], vcc
	s_xor_b64 s[36:37], exec, s[28:29]
	s_cbranch_execz .LBB6_15940
; %bb.15927:                            ;   in Loop: Header=BB6_14596 Depth=3
	v_cmp_ne_u32_e32 vcc, 0, v2
	v_mov_b32_e32 v48, 0
	s_and_saveexec_b64 s[38:39], vcc
	s_cbranch_execz .LBB6_15939
; %bb.15928:                            ;   in Loop: Header=BB6_14596 Depth=3
	v_and_b32_e32 v4, 0x7fffff, v2
	v_bfe_u32 v2, v2, 23, 8
	v_cmp_gt_u32_e64 s[28:29], s97, v2
	v_sub_u32_e32 v3, 0x79, v2
	v_cmp_eq_u32_e32 vcc, 0, v2
	v_cndmask_b32_e64 v3, 0, v3, s[28:29]
	v_mov_b32_e32 v16, 0x78
	v_cndmask_b32_e32 v3, v3, v16, vcc
	v_add_u32_e32 v16, 20, v3
	v_or_b32_e32 v5, 0x800000, v4
	v_lshlrev_b64 v[16:17], v16, -1
	v_add_u32_e32 v21, 19, v3
	v_cndmask_b32_e32 v4, v5, v4, vcc
	v_lshlrev_b64 v[21:22], v21, 1
	v_mov_b32_e32 v5, v51
	v_bfi_b32 v17, v17, 0, 0
	v_bfi_b32 v16, v16, 0, v4
	v_cmp_eq_u64_e64 s[28:29], v[16:17], v[21:22]
	v_lshrrev_b64 v[16:17], v3, v[4:5]
	v_mov_b32_e32 v4, v16
	v_mov_b32_e32 v5, v17
	s_and_saveexec_b64 s[48:49], s[28:29]
; %bb.15929:                            ;   in Loop: Header=BB6_14596 Depth=3
	v_bfe_u32 v4, v16, 20, 1
	v_add_co_u32_e64 v4, s[28:29], v16, v4
	v_add_co_u32_e64 v4, s[28:29], -1, v4
; %bb.15930:                            ;   in Loop: Header=BB6_14596 Depth=3
	s_or_b64 exec, exec, s[48:49]
	v_add_u32_e32 v2, 0xffffff81, v2
	v_mov_b32_e32 v5, 0xffffff82
	v_cndmask_b32_e32 v2, v2, v5, vcc
	v_lshrrev_b32_e32 v5, 23, v16
	v_add3_u32 v5, v3, v2, v5
	v_add_u32_e32 v3, 6, v5
	v_and_b32_e32 v2, 0xfffff, v4
	v_add_u32_e32 v16, v2, v16
	v_mov_b32_e32 v17, v51
	v_cmp_ne_u32_e32 vcc, 0, v3
                                        ; implicit-def: $vgpr2
	s_and_saveexec_b64 s[28:29], vcc
	s_xor_b64 s[28:29], exec, s[28:29]
; %bb.15931:                            ;   in Loop: Header=BB6_14596 Depth=3
	v_cmp_lt_u64_e32 vcc, s[88:89], v[16:17]
	v_add_u32_e32 v2, 7, v5
	v_cndmask_b32_e32 v2, v3, v2, vcc
	v_cndmask_b32_e64 v3, 0, 1, vcc
	v_lshrrev_b64 v[16:17], v3, v[16:17]
; %bb.15932:                            ;   in Loop: Header=BB6_14596 Depth=3
	s_andn2_saveexec_b64 s[28:29], s[28:29]
; %bb.15933:                            ;   in Loop: Header=BB6_14596 Depth=3
	v_bfe_u32 v2, v16, 23, 1
; %bb.15934:                            ;   in Loop: Header=BB6_14596 Depth=3
	s_or_b64 exec, exec, s[28:29]
	v_lshrrev_b64 v[3:4], 20, v[16:17]
	v_cmp_gt_i32_e32 vcc, 16, v2
	v_cndmask_b32_e32 v17, 0, v4, vcc
	v_cndmask_b32_e32 v16, 7, v3, vcc
	v_cmp_ne_u64_e32 vcc, 0, v[16:17]
	v_cmp_ne_u32_e64 s[28:29], 0, v2
	s_or_b64 s[28:29], s[28:29], vcc
                                        ; implicit-def: $vgpr48
	s_and_saveexec_b64 vcc, s[28:29]
	s_xor_b64 s[28:29], exec, vcc
; %bb.15935:                            ;   in Loop: Header=BB6_14596 Depth=3
	v_min_i32_e32 v2, 15, v2
	v_lshl_or_b32 v1, v2, 3, v1
	v_and_or_b32 v48, v16, 7, v1
                                        ; implicit-def: $vgpr1
; %bb.15936:                            ;   in Loop: Header=BB6_14596 Depth=3
	s_andn2_saveexec_b64 s[28:29], s[28:29]
; %bb.15937:                            ;   in Loop: Header=BB6_14596 Depth=3
	v_mov_b32_e32 v48, v1
; %bb.15938:                            ;   in Loop: Header=BB6_14596 Depth=3
	s_or_b64 exec, exec, s[28:29]
.LBB6_15939:                            ;   in Loop: Header=BB6_14596 Depth=3
	s_or_b64 exec, exec, s[38:39]
                                        ; implicit-def: $vgpr1
.LBB6_15940:                            ;   in Loop: Header=BB6_14596 Depth=3
	s_andn2_saveexec_b64 s[28:29], s[36:37]
; %bb.15941:                            ;   in Loop: Header=BB6_14596 Depth=3
	v_or_b32_e32 v48, 0x7e, v1
; %bb.15942:                            ;   in Loop: Header=BB6_14596 Depth=3
	s_or_b64 exec, exec, s[28:29]
                                        ; implicit-def: $vgpr2
.LBB6_15943:                            ;   in Loop: Header=BB6_14596 Depth=3
	s_andn2_saveexec_b64 s[28:29], s[34:35]
; %bb.15944:                            ;   in Loop: Header=BB6_14596 Depth=3
	v_or_b32_sdwa v48, v2, s86 dst_sel:DWORD dst_unused:UNUSED_PAD src0_sel:BYTE_3 src1_sel:DWORD
; %bb.15945:                            ;   in Loop: Header=BB6_14596 Depth=3
	s_or_b64 exec, exec, s[28:29]
	buffer_load_dword v1, off, s[0:3], s33 offset:152 ; 4-byte Folded Reload
	v_mov_b32_e32 v2, 0
	s_waitcnt vmcnt(0)
	v_and_b32_e32 v16, 0xff, v1
	v_cmp_ne_u16_e32 vcc, 0, v16
	v_mov_b32_e32 v1, 0
	s_and_saveexec_b64 s[28:29], vcc
	s_cbranch_execz .LBB6_15951
; %bb.15946:                            ;   in Loop: Header=BB6_14596 Depth=3
	v_cmp_ne_u16_e32 vcc, s96, v16
	v_bfrev_b32_e32 v2, 1
	s_and_saveexec_b64 s[34:35], vcc
	s_cbranch_execz .LBB6_15950
; %bb.15947:                            ;   in Loop: Header=BB6_14596 Depth=3
	buffer_load_dword v21, off, s[0:3], s33 offset:152 ; 4-byte Folded Reload
	v_mov_b32_e32 v2, 0x7f800001
	s_waitcnt vmcnt(0)
	v_and_b32_e32 v3, 0x7f, v21
	v_cmp_ne_u32_e32 vcc, s86, v3
	s_and_saveexec_b64 s[36:37], vcc
	s_cbranch_execz .LBB6_15949
; %bb.15948:                            ;   in Loop: Header=BB6_14596 Depth=3
	v_and_b32_e32 v4, 7, v16
	v_ffbh_u32_e32 v2, v4
	v_min_u32_e32 v17, 32, v2
	v_subrev_u32_e32 v2, 28, v17
	v_lshrrev_b32_e32 v5, 3, v3
	v_cmp_gt_u32_e32 vcc, 8, v3
	v_lshlrev_b64 v[2:3], v2, v[16:17]
	v_sub_u32_e32 v3, 29, v17
	v_and_b32_e32 v2, 7, v2
	v_cndmask_b32_e32 v3, v5, v3, vcc
	v_cndmask_b32_e32 v2, v4, v2, vcc
	v_lshlrev_b32_e32 v4, 24, v21
	v_bfrev_b32_e32 v5, 60
	v_lshlrev_b32_e32 v2, 20, v2
	v_and_b32_e32 v4, 0x80000000, v4
	v_lshl_add_u32 v3, v3, 23, v5
	v_or3_b32 v2, v4, v3, v2
.LBB6_15949:                            ;   in Loop: Header=BB6_14596 Depth=3
	s_or_b64 exec, exec, s[36:37]
.LBB6_15950:                            ;   in Loop: Header=BB6_14596 Depth=3
	s_or_b64 exec, exec, s[34:35]
.LBB6_15951:                            ;   in Loop: Header=BB6_14596 Depth=3
	s_or_b64 exec, exec, s[28:29]
	v_and_b32_e32 v16, 0xff, v6
	v_cmp_ne_u16_e32 vcc, 0, v16
	s_and_saveexec_b64 s[28:29], vcc
	s_cbranch_execz .LBB6_15957
; %bb.15952:                            ;   in Loop: Header=BB6_14596 Depth=3
	v_cmp_ne_u16_e32 vcc, s96, v16
	v_bfrev_b32_e32 v1, 1
	s_and_saveexec_b64 s[34:35], vcc
	s_cbranch_execz .LBB6_15956
; %bb.15953:                            ;   in Loop: Header=BB6_14596 Depth=3
	v_and_b32_e32 v3, 0x7f, v6
	v_cmp_ne_u32_e32 vcc, s86, v3
	v_mov_b32_e32 v1, 0x7f800001
	s_and_saveexec_b64 s[36:37], vcc
	s_cbranch_execz .LBB6_15955
; %bb.15954:                            ;   in Loop: Header=BB6_14596 Depth=3
	v_and_b32_e32 v1, 7, v16
	v_lshrrev_b32_e32 v5, 3, v3
	v_cmp_gt_u32_e32 vcc, 8, v3
	v_ffbh_u32_e32 v3, v1
	v_min_u32_e32 v17, 32, v3
	v_subrev_u32_e32 v3, 28, v17
	v_lshlrev_b64 v[3:4], v3, v[16:17]
	v_sub_u32_e32 v4, 29, v17
	v_and_b32_e32 v3, 7, v3
	v_cndmask_b32_e32 v4, v5, v4, vcc
	v_cndmask_b32_e32 v1, v1, v3, vcc
	v_lshlrev_b32_e32 v3, 24, v6
	v_bfrev_b32_e32 v5, 60
	v_lshlrev_b32_e32 v1, 20, v1
	v_and_b32_e32 v3, 0x80000000, v3
	v_lshl_add_u32 v4, v4, 23, v5
	v_or3_b32 v1, v3, v4, v1
.LBB6_15955:                            ;   in Loop: Header=BB6_14596 Depth=3
	s_or_b64 exec, exec, s[36:37]
.LBB6_15956:                            ;   in Loop: Header=BB6_14596 Depth=3
	s_or_b64 exec, exec, s[34:35]
.LBB6_15957:                            ;   in Loop: Header=BB6_14596 Depth=3
	s_or_b64 exec, exec, s[28:29]
	v_add_f32_e32 v2, v2, v1
	v_and_b32_e32 v3, 0x7f800000, v2
	v_mov_b32_e32 v4, v51
	v_cmp_ne_u64_e32 vcc, s[76:77], v[3:4]
                                        ; implicit-def: $vgpr6
	s_and_saveexec_b64 s[28:29], vcc
	s_xor_b64 s[34:35], exec, s[28:29]
	s_cbranch_execz .LBB6_15975
; %bb.15958:                            ;   in Loop: Header=BB6_14596 Depth=3
	v_and_b32_e32 v3, 0x7fffffff, v2
	v_mov_b32_e32 v4, v51
	v_cmp_gt_u64_e32 vcc, s[78:79], v[3:4]
	v_and_b32_sdwa v1, v2, s96 dst_sel:DWORD dst_unused:UNUSED_PAD src0_sel:BYTE_3 src1_sel:DWORD
                                        ; implicit-def: $vgpr6
	s_and_saveexec_b64 s[28:29], vcc
	s_xor_b64 s[36:37], exec, s[28:29]
	s_cbranch_execz .LBB6_15972
; %bb.15959:                            ;   in Loop: Header=BB6_14596 Depth=3
	v_cmp_ne_u32_e32 vcc, 0, v2
	v_mov_b32_e32 v6, 0
	s_and_saveexec_b64 s[38:39], vcc
	s_cbranch_execz .LBB6_15971
; %bb.15960:                            ;   in Loop: Header=BB6_14596 Depth=3
	v_and_b32_e32 v4, 0x7fffff, v2
	v_bfe_u32 v2, v2, 23, 8
	v_cmp_gt_u32_e64 s[28:29], s97, v2
	v_sub_u32_e32 v3, 0x79, v2
	v_cmp_eq_u32_e32 vcc, 0, v2
	v_cndmask_b32_e64 v3, 0, v3, s[28:29]
	v_mov_b32_e32 v6, 0x78
	v_cndmask_b32_e32 v3, v3, v6, vcc
	v_add_u32_e32 v6, 20, v3
	v_or_b32_e32 v5, 0x800000, v4
	v_lshlrev_b64 v[16:17], v6, -1
	v_add_u32_e32 v6, 19, v3
	v_cndmask_b32_e32 v4, v5, v4, vcc
	v_lshlrev_b64 v[21:22], v6, 1
	v_mov_b32_e32 v5, v51
	v_bfi_b32 v17, v17, 0, 0
	v_bfi_b32 v16, v16, 0, v4
	v_cmp_eq_u64_e64 s[28:29], v[16:17], v[21:22]
	v_lshrrev_b64 v[16:17], v3, v[4:5]
	v_mov_b32_e32 v4, v16
	v_mov_b32_e32 v5, v17
	s_and_saveexec_b64 s[48:49], s[28:29]
; %bb.15961:                            ;   in Loop: Header=BB6_14596 Depth=3
	v_bfe_u32 v4, v16, 20, 1
	v_add_co_u32_e64 v4, s[28:29], v16, v4
	v_add_co_u32_e64 v4, s[28:29], -1, v4
; %bb.15962:                            ;   in Loop: Header=BB6_14596 Depth=3
	s_or_b64 exec, exec, s[48:49]
	v_add_u32_e32 v2, 0xffffff81, v2
	v_mov_b32_e32 v5, 0xffffff82
	v_cndmask_b32_e32 v2, v2, v5, vcc
	v_lshrrev_b32_e32 v5, 23, v16
	v_add3_u32 v5, v3, v2, v5
	v_add_u32_e32 v3, 6, v5
	v_and_b32_e32 v2, 0xfffff, v4
	v_add_u32_e32 v16, v2, v16
	v_mov_b32_e32 v17, v51
	v_cmp_ne_u32_e32 vcc, 0, v3
                                        ; implicit-def: $vgpr2
	s_and_saveexec_b64 s[28:29], vcc
	s_xor_b64 s[28:29], exec, s[28:29]
; %bb.15963:                            ;   in Loop: Header=BB6_14596 Depth=3
	v_cmp_lt_u64_e32 vcc, s[88:89], v[16:17]
	v_add_u32_e32 v2, 7, v5
	v_cndmask_b32_e32 v2, v3, v2, vcc
	v_cndmask_b32_e64 v3, 0, 1, vcc
	v_lshrrev_b64 v[16:17], v3, v[16:17]
; %bb.15964:                            ;   in Loop: Header=BB6_14596 Depth=3
	s_andn2_saveexec_b64 s[28:29], s[28:29]
; %bb.15965:                            ;   in Loop: Header=BB6_14596 Depth=3
	v_bfe_u32 v2, v16, 23, 1
; %bb.15966:                            ;   in Loop: Header=BB6_14596 Depth=3
	s_or_b64 exec, exec, s[28:29]
	v_lshrrev_b64 v[3:4], 20, v[16:17]
	v_cmp_gt_i32_e32 vcc, 16, v2
	v_cndmask_b32_e32 v17, 0, v4, vcc
	v_cndmask_b32_e32 v16, 7, v3, vcc
	v_cmp_ne_u64_e32 vcc, 0, v[16:17]
	v_cmp_ne_u32_e64 s[28:29], 0, v2
	s_or_b64 s[28:29], s[28:29], vcc
                                        ; implicit-def: $vgpr6
	s_and_saveexec_b64 vcc, s[28:29]
	s_xor_b64 s[28:29], exec, vcc
; %bb.15967:                            ;   in Loop: Header=BB6_14596 Depth=3
	v_min_i32_e32 v2, 15, v2
	v_lshl_or_b32 v1, v2, 3, v1
	v_and_or_b32 v6, v16, 7, v1
                                        ; implicit-def: $vgpr1
; %bb.15968:                            ;   in Loop: Header=BB6_14596 Depth=3
	s_andn2_saveexec_b64 s[28:29], s[28:29]
; %bb.15969:                            ;   in Loop: Header=BB6_14596 Depth=3
	v_mov_b32_e32 v6, v1
; %bb.15970:                            ;   in Loop: Header=BB6_14596 Depth=3
	s_or_b64 exec, exec, s[28:29]
.LBB6_15971:                            ;   in Loop: Header=BB6_14596 Depth=3
	s_or_b64 exec, exec, s[38:39]
                                        ; implicit-def: $vgpr1
.LBB6_15972:                            ;   in Loop: Header=BB6_14596 Depth=3
	s_andn2_saveexec_b64 s[28:29], s[36:37]
; %bb.15973:                            ;   in Loop: Header=BB6_14596 Depth=3
	v_or_b32_e32 v6, 0x7e, v1
; %bb.15974:                            ;   in Loop: Header=BB6_14596 Depth=3
	s_or_b64 exec, exec, s[28:29]
                                        ; implicit-def: $vgpr2
.LBB6_15975:                            ;   in Loop: Header=BB6_14596 Depth=3
	s_andn2_saveexec_b64 s[28:29], s[34:35]
; %bb.15976:                            ;   in Loop: Header=BB6_14596 Depth=3
	v_or_b32_sdwa v6, v2, s86 dst_sel:DWORD dst_unused:UNUSED_PAD src0_sel:BYTE_3 src1_sel:DWORD
; %bb.15977:                            ;   in Loop: Header=BB6_14596 Depth=3
	s_or_b64 exec, exec, s[28:29]
	buffer_load_dword v1, off, s[0:3], s33 offset:148 ; 4-byte Folded Reload
	v_mov_b32_e32 v2, 0
	s_waitcnt vmcnt(0)
	v_and_b32_e32 v16, 0xff, v1
	v_cmp_ne_u16_e32 vcc, 0, v16
	v_mov_b32_e32 v1, 0
	s_and_saveexec_b64 s[28:29], vcc
	s_cbranch_execz .LBB6_15983
; %bb.15978:                            ;   in Loop: Header=BB6_14596 Depth=3
	v_cmp_ne_u16_e32 vcc, s96, v16
	v_bfrev_b32_e32 v2, 1
	s_and_saveexec_b64 s[34:35], vcc
	s_cbranch_execz .LBB6_15982
; %bb.15979:                            ;   in Loop: Header=BB6_14596 Depth=3
	buffer_load_dword v21, off, s[0:3], s33 offset:148 ; 4-byte Folded Reload
	v_mov_b32_e32 v2, 0x7f800001
	s_waitcnt vmcnt(0)
	v_and_b32_e32 v3, 0x7f, v21
	v_cmp_ne_u32_e32 vcc, s86, v3
	s_and_saveexec_b64 s[36:37], vcc
	s_cbranch_execz .LBB6_15981
; %bb.15980:                            ;   in Loop: Header=BB6_14596 Depth=3
	v_and_b32_e32 v4, 7, v16
	v_ffbh_u32_e32 v2, v4
	v_min_u32_e32 v17, 32, v2
	v_subrev_u32_e32 v2, 28, v17
	v_lshrrev_b32_e32 v5, 3, v3
	v_cmp_gt_u32_e32 vcc, 8, v3
	v_lshlrev_b64 v[2:3], v2, v[16:17]
	v_sub_u32_e32 v3, 29, v17
	v_and_b32_e32 v2, 7, v2
	v_cndmask_b32_e32 v3, v5, v3, vcc
	v_cndmask_b32_e32 v2, v4, v2, vcc
	v_lshlrev_b32_e32 v4, 24, v21
	v_bfrev_b32_e32 v5, 60
	v_lshlrev_b32_e32 v2, 20, v2
	v_and_b32_e32 v4, 0x80000000, v4
	v_lshl_add_u32 v3, v3, 23, v5
	v_or3_b32 v2, v4, v3, v2
.LBB6_15981:                            ;   in Loop: Header=BB6_14596 Depth=3
	s_or_b64 exec, exec, s[36:37]
.LBB6_15982:                            ;   in Loop: Header=BB6_14596 Depth=3
	s_or_b64 exec, exec, s[34:35]
.LBB6_15983:                            ;   in Loop: Header=BB6_14596 Depth=3
	s_or_b64 exec, exec, s[28:29]
	v_and_b32_e32 v16, 0xff, v7
	v_cmp_ne_u16_e32 vcc, 0, v16
	s_and_saveexec_b64 s[28:29], vcc
	s_cbranch_execz .LBB6_15989
; %bb.15984:                            ;   in Loop: Header=BB6_14596 Depth=3
	v_cmp_ne_u16_e32 vcc, s96, v16
	v_bfrev_b32_e32 v1, 1
	s_and_saveexec_b64 s[34:35], vcc
	s_cbranch_execz .LBB6_15988
; %bb.15985:                            ;   in Loop: Header=BB6_14596 Depth=3
	v_and_b32_e32 v3, 0x7f, v7
	v_cmp_ne_u32_e32 vcc, s86, v3
	v_mov_b32_e32 v1, 0x7f800001
	s_and_saveexec_b64 s[36:37], vcc
	s_cbranch_execz .LBB6_15987
; %bb.15986:                            ;   in Loop: Header=BB6_14596 Depth=3
	v_and_b32_e32 v1, 7, v16
	v_lshrrev_b32_e32 v5, 3, v3
	v_cmp_gt_u32_e32 vcc, 8, v3
	v_ffbh_u32_e32 v3, v1
	v_min_u32_e32 v17, 32, v3
	v_subrev_u32_e32 v3, 28, v17
	v_lshlrev_b64 v[3:4], v3, v[16:17]
	v_sub_u32_e32 v4, 29, v17
	v_and_b32_e32 v3, 7, v3
	v_cndmask_b32_e32 v4, v5, v4, vcc
	v_cndmask_b32_e32 v1, v1, v3, vcc
	v_lshlrev_b32_e32 v3, 24, v7
	v_bfrev_b32_e32 v5, 60
	v_lshlrev_b32_e32 v1, 20, v1
	v_and_b32_e32 v3, 0x80000000, v3
	v_lshl_add_u32 v4, v4, 23, v5
	v_or3_b32 v1, v3, v4, v1
.LBB6_15987:                            ;   in Loop: Header=BB6_14596 Depth=3
	s_or_b64 exec, exec, s[36:37]
.LBB6_15988:                            ;   in Loop: Header=BB6_14596 Depth=3
	s_or_b64 exec, exec, s[34:35]
.LBB6_15989:                            ;   in Loop: Header=BB6_14596 Depth=3
	s_or_b64 exec, exec, s[28:29]
	v_add_f32_e32 v2, v2, v1
	v_and_b32_e32 v3, 0x7f800000, v2
	v_mov_b32_e32 v4, v51
	v_cmp_ne_u64_e32 vcc, s[76:77], v[3:4]
                                        ; implicit-def: $vgpr3
	s_and_saveexec_b64 s[28:29], vcc
	s_xor_b64 s[34:35], exec, s[28:29]
	s_cbranch_execz .LBB6_16007
; %bb.15990:                            ;   in Loop: Header=BB6_14596 Depth=3
	v_and_b32_e32 v3, 0x7fffffff, v2
	v_mov_b32_e32 v4, v51
	v_cmp_gt_u64_e32 vcc, s[78:79], v[3:4]
	v_and_b32_sdwa v1, v2, s96 dst_sel:DWORD dst_unused:UNUSED_PAD src0_sel:BYTE_3 src1_sel:DWORD
                                        ; implicit-def: $vgpr3
	s_and_saveexec_b64 s[28:29], vcc
	s_xor_b64 s[36:37], exec, s[28:29]
	s_cbranch_execz .LBB6_16004
; %bb.15991:                            ;   in Loop: Header=BB6_14596 Depth=3
	v_cmp_ne_u32_e32 vcc, 0, v2
	v_mov_b32_e32 v3, 0
	s_and_saveexec_b64 s[38:39], vcc
	s_cbranch_execz .LBB6_16003
; %bb.15992:                            ;   in Loop: Header=BB6_14596 Depth=3
	v_and_b32_e32 v4, 0x7fffff, v2
	v_bfe_u32 v2, v2, 23, 8
	v_cmp_gt_u32_e64 s[28:29], s97, v2
	v_sub_u32_e32 v3, 0x79, v2
	v_cmp_eq_u32_e32 vcc, 0, v2
	v_cndmask_b32_e64 v3, 0, v3, s[28:29]
	v_mov_b32_e32 v7, 0x78
	v_cndmask_b32_e32 v3, v3, v7, vcc
	v_add_u32_e32 v7, 20, v3
	v_or_b32_e32 v5, 0x800000, v4
	v_lshlrev_b64 v[16:17], v7, -1
	v_add_u32_e32 v7, 19, v3
	v_cndmask_b32_e32 v4, v5, v4, vcc
	v_lshlrev_b64 v[21:22], v7, 1
	v_mov_b32_e32 v5, v51
	v_bfi_b32 v17, v17, 0, 0
	v_bfi_b32 v16, v16, 0, v4
	v_cmp_eq_u64_e64 s[28:29], v[16:17], v[21:22]
	v_lshrrev_b64 v[16:17], v3, v[4:5]
	v_mov_b32_e32 v4, v16
	v_mov_b32_e32 v5, v17
	s_and_saveexec_b64 s[48:49], s[28:29]
; %bb.15993:                            ;   in Loop: Header=BB6_14596 Depth=3
	v_bfe_u32 v4, v16, 20, 1
	v_add_co_u32_e64 v4, s[28:29], v16, v4
	v_add_co_u32_e64 v4, s[28:29], -1, v4
; %bb.15994:                            ;   in Loop: Header=BB6_14596 Depth=3
	s_or_b64 exec, exec, s[48:49]
	v_add_u32_e32 v2, 0xffffff81, v2
	v_mov_b32_e32 v5, 0xffffff82
	v_cndmask_b32_e32 v2, v2, v5, vcc
	v_lshrrev_b32_e32 v5, 23, v16
	v_add3_u32 v5, v3, v2, v5
	v_add_u32_e32 v3, 6, v5
	v_and_b32_e32 v2, 0xfffff, v4
	v_add_u32_e32 v16, v2, v16
	v_mov_b32_e32 v17, v51
	v_cmp_ne_u32_e32 vcc, 0, v3
                                        ; implicit-def: $vgpr2
	s_and_saveexec_b64 s[28:29], vcc
	s_xor_b64 s[28:29], exec, s[28:29]
; %bb.15995:                            ;   in Loop: Header=BB6_14596 Depth=3
	v_cmp_lt_u64_e32 vcc, s[88:89], v[16:17]
	v_add_u32_e32 v2, 7, v5
	v_cndmask_b32_e32 v2, v3, v2, vcc
	v_cndmask_b32_e64 v3, 0, 1, vcc
	v_lshrrev_b64 v[16:17], v3, v[16:17]
; %bb.15996:                            ;   in Loop: Header=BB6_14596 Depth=3
	s_andn2_saveexec_b64 s[28:29], s[28:29]
; %bb.15997:                            ;   in Loop: Header=BB6_14596 Depth=3
	v_bfe_u32 v2, v16, 23, 1
; %bb.15998:                            ;   in Loop: Header=BB6_14596 Depth=3
	s_or_b64 exec, exec, s[28:29]
	v_lshrrev_b64 v[3:4], 20, v[16:17]
	v_cmp_gt_i32_e32 vcc, 16, v2
	v_cndmask_b32_e32 v17, 0, v4, vcc
	v_cndmask_b32_e32 v16, 7, v3, vcc
	v_cmp_ne_u64_e32 vcc, 0, v[16:17]
	v_cmp_ne_u32_e64 s[28:29], 0, v2
	s_or_b64 s[28:29], s[28:29], vcc
                                        ; implicit-def: $vgpr3
	s_and_saveexec_b64 vcc, s[28:29]
	s_xor_b64 s[28:29], exec, vcc
; %bb.15999:                            ;   in Loop: Header=BB6_14596 Depth=3
	v_min_i32_e32 v2, 15, v2
	v_lshl_or_b32 v1, v2, 3, v1
	v_and_or_b32 v3, v16, 7, v1
                                        ; implicit-def: $vgpr1
; %bb.16000:                            ;   in Loop: Header=BB6_14596 Depth=3
	s_andn2_saveexec_b64 s[28:29], s[28:29]
; %bb.16001:                            ;   in Loop: Header=BB6_14596 Depth=3
	v_mov_b32_e32 v3, v1
; %bb.16002:                            ;   in Loop: Header=BB6_14596 Depth=3
	s_or_b64 exec, exec, s[28:29]
.LBB6_16003:                            ;   in Loop: Header=BB6_14596 Depth=3
	s_or_b64 exec, exec, s[38:39]
                                        ; implicit-def: $vgpr1
.LBB6_16004:                            ;   in Loop: Header=BB6_14596 Depth=3
	s_andn2_saveexec_b64 s[28:29], s[36:37]
; %bb.16005:                            ;   in Loop: Header=BB6_14596 Depth=3
	v_or_b32_e32 v3, 0x7e, v1
; %bb.16006:                            ;   in Loop: Header=BB6_14596 Depth=3
	s_or_b64 exec, exec, s[28:29]
                                        ; implicit-def: $vgpr2
.LBB6_16007:                            ;   in Loop: Header=BB6_14596 Depth=3
	s_andn2_saveexec_b64 s[28:29], s[34:35]
; %bb.16008:                            ;   in Loop: Header=BB6_14596 Depth=3
	v_or_b32_sdwa v3, v2, s86 dst_sel:DWORD dst_unused:UNUSED_PAD src0_sel:BYTE_3 src1_sel:DWORD
; %bb.16009:                            ;   in Loop: Header=BB6_14596 Depth=3
	s_or_b64 exec, exec, s[28:29]
	buffer_load_dword v1, off, s[0:3], s33 offset:144 ; 4-byte Folded Reload
	v_mov_b32_e32 v2, 0
	s_waitcnt vmcnt(0)
	v_and_b32_e32 v16, 0xff, v1
	v_cmp_ne_u16_e32 vcc, 0, v16
	v_mov_b32_e32 v1, 0
	s_and_saveexec_b64 s[28:29], vcc
	s_cbranch_execz .LBB6_16015
; %bb.16010:                            ;   in Loop: Header=BB6_14596 Depth=3
	v_cmp_ne_u16_e32 vcc, s96, v16
	v_bfrev_b32_e32 v2, 1
	s_and_saveexec_b64 s[34:35], vcc
	s_cbranch_execz .LBB6_16014
; %bb.16011:                            ;   in Loop: Header=BB6_14596 Depth=3
	buffer_load_dword v21, off, s[0:3], s33 offset:144 ; 4-byte Folded Reload
	v_mov_b32_e32 v2, 0x7f800001
	s_waitcnt vmcnt(0)
	v_and_b32_e32 v4, 0x7f, v21
	v_cmp_ne_u32_e32 vcc, s86, v4
	s_and_saveexec_b64 s[36:37], vcc
	s_cbranch_execz .LBB6_16013
; %bb.16012:                            ;   in Loop: Header=BB6_14596 Depth=3
	v_and_b32_e32 v2, 7, v16
	v_lshrrev_b32_e32 v7, 3, v4
	v_cmp_gt_u32_e32 vcc, 8, v4
	v_ffbh_u32_e32 v4, v2
	v_min_u32_e32 v17, 32, v4
	v_subrev_u32_e32 v4, 28, v17
	v_lshlrev_b64 v[4:5], v4, v[16:17]
	v_sub_u32_e32 v5, 29, v17
	v_and_b32_e32 v4, 7, v4
	v_cndmask_b32_e32 v5, v7, v5, vcc
	v_cndmask_b32_e32 v2, v2, v4, vcc
	v_lshlrev_b32_e32 v4, 24, v21
	v_bfrev_b32_e32 v7, 60
	v_lshlrev_b32_e32 v2, 20, v2
	v_and_b32_e32 v4, 0x80000000, v4
	v_lshl_add_u32 v5, v5, 23, v7
	v_or3_b32 v2, v4, v5, v2
.LBB6_16013:                            ;   in Loop: Header=BB6_14596 Depth=3
	s_or_b64 exec, exec, s[36:37]
.LBB6_16014:                            ;   in Loop: Header=BB6_14596 Depth=3
	s_or_b64 exec, exec, s[34:35]
.LBB6_16015:                            ;   in Loop: Header=BB6_14596 Depth=3
	s_or_b64 exec, exec, s[28:29]
	v_and_b32_e32 v16, 0xff, v0
	v_cmp_ne_u16_e32 vcc, 0, v16
	s_and_saveexec_b64 s[28:29], vcc
	s_cbranch_execz .LBB6_16021
; %bb.16016:                            ;   in Loop: Header=BB6_14596 Depth=3
	v_cmp_ne_u16_e32 vcc, s96, v16
	v_bfrev_b32_e32 v1, 1
	s_and_saveexec_b64 s[34:35], vcc
	s_cbranch_execz .LBB6_16020
; %bb.16017:                            ;   in Loop: Header=BB6_14596 Depth=3
	v_and_b32_e32 v4, 0x7f, v0
	v_cmp_ne_u32_e32 vcc, s86, v4
	v_mov_b32_e32 v1, 0x7f800001
	s_and_saveexec_b64 s[36:37], vcc
	s_cbranch_execz .LBB6_16019
; %bb.16018:                            ;   in Loop: Header=BB6_14596 Depth=3
	v_and_b32_e32 v1, 7, v16
	v_lshrrev_b32_e32 v7, 3, v4
	v_cmp_gt_u32_e32 vcc, 8, v4
	v_ffbh_u32_e32 v4, v1
	v_min_u32_e32 v17, 32, v4
	v_subrev_u32_e32 v4, 28, v17
	v_lshlrev_b64 v[4:5], v4, v[16:17]
	v_sub_u32_e32 v5, 29, v17
	v_and_b32_e32 v4, 7, v4
	v_cndmask_b32_e32 v5, v7, v5, vcc
	v_cndmask_b32_e32 v1, v1, v4, vcc
	v_lshlrev_b32_e32 v0, 24, v0
	v_bfrev_b32_e32 v4, 60
	v_lshlrev_b32_e32 v1, 20, v1
	v_and_b32_e32 v0, 0x80000000, v0
	v_lshl_add_u32 v4, v5, 23, v4
	v_or3_b32 v1, v0, v4, v1
.LBB6_16019:                            ;   in Loop: Header=BB6_14596 Depth=3
	s_or_b64 exec, exec, s[36:37]
.LBB6_16020:                            ;   in Loop: Header=BB6_14596 Depth=3
	s_or_b64 exec, exec, s[34:35]
.LBB6_16021:                            ;   in Loop: Header=BB6_14596 Depth=3
	s_or_b64 exec, exec, s[28:29]
	v_add_f32_e32 v2, v2, v1
	v_and_b32_e32 v0, 0x7f800000, v2
	v_mov_b32_e32 v1, v51
	v_cmp_ne_u64_e32 vcc, s[76:77], v[0:1]
                                        ; implicit-def: $vgpr0
	s_and_saveexec_b64 s[28:29], vcc
	s_xor_b64 s[34:35], exec, s[28:29]
	s_cbranch_execz .LBB6_16039
; %bb.16022:                            ;   in Loop: Header=BB6_14596 Depth=3
	v_and_b32_e32 v0, 0x7fffffff, v2
	v_mov_b32_e32 v1, v51
	v_cmp_gt_u64_e32 vcc, s[78:79], v[0:1]
	v_and_b32_sdwa v1, v2, s96 dst_sel:DWORD dst_unused:UNUSED_PAD src0_sel:BYTE_3 src1_sel:DWORD
                                        ; implicit-def: $vgpr0
	s_and_saveexec_b64 s[28:29], vcc
	s_xor_b64 s[36:37], exec, s[28:29]
	s_cbranch_execz .LBB6_16036
; %bb.16023:                            ;   in Loop: Header=BB6_14596 Depth=3
	v_cmp_ne_u32_e32 vcc, 0, v2
	v_mov_b32_e32 v0, 0
	s_and_saveexec_b64 s[38:39], vcc
	s_cbranch_execz .LBB6_16035
; %bb.16024:                            ;   in Loop: Header=BB6_14596 Depth=3
	v_bfe_u32 v0, v2, 23, 8
	v_and_b32_e32 v4, 0x7fffff, v2
	v_cmp_gt_u32_e64 s[28:29], s97, v0
	v_sub_u32_e32 v2, 0x79, v0
	v_cmp_eq_u32_e32 vcc, 0, v0
	v_cndmask_b32_e64 v2, 0, v2, s[28:29]
	v_mov_b32_e32 v7, 0x78
	v_cndmask_b32_e32 v2, v2, v7, vcc
	v_add_u32_e32 v7, 20, v2
	v_or_b32_e32 v5, 0x800000, v4
	v_lshlrev_b64 v[16:17], v7, -1
	v_add_u32_e32 v7, 19, v2
	v_cndmask_b32_e32 v4, v5, v4, vcc
	v_lshlrev_b64 v[21:22], v7, 1
	v_mov_b32_e32 v5, v51
	v_bfi_b32 v17, v17, 0, 0
	v_bfi_b32 v16, v16, 0, v4
	v_cmp_eq_u64_e64 s[28:29], v[16:17], v[21:22]
	v_lshrrev_b64 v[16:17], v2, v[4:5]
	v_mov_b32_e32 v4, v16
	v_mov_b32_e32 v5, v17
	s_and_saveexec_b64 s[48:49], s[28:29]
; %bb.16025:                            ;   in Loop: Header=BB6_14596 Depth=3
	v_bfe_u32 v4, v16, 20, 1
	v_add_co_u32_e64 v4, s[28:29], v16, v4
	v_add_co_u32_e64 v4, s[28:29], -1, v4
; %bb.16026:                            ;   in Loop: Header=BB6_14596 Depth=3
	s_or_b64 exec, exec, s[48:49]
	v_add_u32_e32 v0, 0xffffff81, v0
	v_mov_b32_e32 v5, 0xffffff82
	v_cndmask_b32_e32 v0, v0, v5, vcc
	v_lshrrev_b32_e32 v5, 23, v16
	v_add3_u32 v5, v2, v0, v5
	v_add_u32_e32 v0, 6, v5
	v_and_b32_e32 v2, 0xfffff, v4
	v_add_u32_e32 v16, v2, v16
	v_mov_b32_e32 v17, v51
	v_cmp_ne_u32_e32 vcc, 0, v0
                                        ; implicit-def: $vgpr2
	s_and_saveexec_b64 s[28:29], vcc
	s_xor_b64 s[28:29], exec, s[28:29]
; %bb.16027:                            ;   in Loop: Header=BB6_14596 Depth=3
	v_cmp_lt_u64_e32 vcc, s[88:89], v[16:17]
	v_add_u32_e32 v2, 7, v5
	v_cndmask_b32_e32 v2, v0, v2, vcc
	v_cndmask_b32_e64 v0, 0, 1, vcc
	v_lshrrev_b64 v[16:17], v0, v[16:17]
; %bb.16028:                            ;   in Loop: Header=BB6_14596 Depth=3
	s_andn2_saveexec_b64 s[28:29], s[28:29]
; %bb.16029:                            ;   in Loop: Header=BB6_14596 Depth=3
	v_bfe_u32 v2, v16, 23, 1
; %bb.16030:                            ;   in Loop: Header=BB6_14596 Depth=3
	s_or_b64 exec, exec, s[28:29]
	v_lshrrev_b64 v[4:5], 20, v[16:17]
	v_cmp_gt_i32_e32 vcc, 16, v2
	v_cndmask_b32_e32 v17, 0, v5, vcc
	v_cndmask_b32_e32 v16, 7, v4, vcc
	v_cmp_ne_u64_e32 vcc, 0, v[16:17]
	v_cmp_ne_u32_e64 s[28:29], 0, v2
	s_or_b64 s[28:29], s[28:29], vcc
                                        ; implicit-def: $vgpr0
	s_and_saveexec_b64 vcc, s[28:29]
	s_xor_b64 s[28:29], exec, vcc
; %bb.16031:                            ;   in Loop: Header=BB6_14596 Depth=3
	v_min_i32_e32 v0, 15, v2
	v_lshl_or_b32 v0, v0, 3, v1
	v_and_or_b32 v0, v16, 7, v0
                                        ; implicit-def: $vgpr1
; %bb.16032:                            ;   in Loop: Header=BB6_14596 Depth=3
	s_andn2_saveexec_b64 s[28:29], s[28:29]
; %bb.16033:                            ;   in Loop: Header=BB6_14596 Depth=3
	v_mov_b32_e32 v0, v1
; %bb.16034:                            ;   in Loop: Header=BB6_14596 Depth=3
	s_or_b64 exec, exec, s[28:29]
.LBB6_16035:                            ;   in Loop: Header=BB6_14596 Depth=3
	s_or_b64 exec, exec, s[38:39]
                                        ; implicit-def: $vgpr1
.LBB6_16036:                            ;   in Loop: Header=BB6_14596 Depth=3
	s_andn2_saveexec_b64 s[28:29], s[36:37]
; %bb.16037:                            ;   in Loop: Header=BB6_14596 Depth=3
	v_or_b32_e32 v0, 0x7e, v1
; %bb.16038:                            ;   in Loop: Header=BB6_14596 Depth=3
	s_or_b64 exec, exec, s[28:29]
                                        ; implicit-def: $vgpr2
.LBB6_16039:                            ;   in Loop: Header=BB6_14596 Depth=3
	s_andn2_saveexec_b64 s[28:29], s[34:35]
; %bb.16040:                            ;   in Loop: Header=BB6_14596 Depth=3
	v_or_b32_sdwa v0, v2, s86 dst_sel:DWORD dst_unused:UNUSED_PAD src0_sel:BYTE_3 src1_sel:DWORD
; %bb.16041:                            ;   in Loop: Header=BB6_14596 Depth=3
	s_or_b64 exec, exec, s[28:29]
	buffer_load_dword v1, off, s[0:3], s33 offset:140 ; 4-byte Folded Reload
	v_mov_b32_e32 v2, 0
	s_waitcnt vmcnt(0)
	v_and_b32_e32 v16, 0xff, v1
	v_cmp_ne_u16_e32 vcc, 0, v16
	v_mov_b32_e32 v1, 0
	s_and_saveexec_b64 s[28:29], vcc
	s_cbranch_execz .LBB6_16047
; %bb.16042:                            ;   in Loop: Header=BB6_14596 Depth=3
	v_cmp_ne_u16_e32 vcc, s96, v16
	v_bfrev_b32_e32 v2, 1
	s_and_saveexec_b64 s[34:35], vcc
	s_cbranch_execz .LBB6_16046
; %bb.16043:                            ;   in Loop: Header=BB6_14596 Depth=3
	buffer_load_dword v21, off, s[0:3], s33 offset:140 ; 4-byte Folded Reload
	v_mov_b32_e32 v2, 0x7f800001
	s_waitcnt vmcnt(0)
	v_and_b32_e32 v4, 0x7f, v21
	v_cmp_ne_u32_e32 vcc, s86, v4
	s_and_saveexec_b64 s[36:37], vcc
	s_cbranch_execz .LBB6_16045
; %bb.16044:                            ;   in Loop: Header=BB6_14596 Depth=3
	v_and_b32_e32 v2, 7, v16
	v_lshrrev_b32_e32 v7, 3, v4
	v_cmp_gt_u32_e32 vcc, 8, v4
	v_ffbh_u32_e32 v4, v2
	v_min_u32_e32 v17, 32, v4
	v_subrev_u32_e32 v4, 28, v17
	v_lshlrev_b64 v[4:5], v4, v[16:17]
	v_sub_u32_e32 v5, 29, v17
	v_and_b32_e32 v4, 7, v4
	v_cndmask_b32_e32 v5, v7, v5, vcc
	v_cndmask_b32_e32 v2, v2, v4, vcc
	v_lshlrev_b32_e32 v4, 24, v21
	v_bfrev_b32_e32 v7, 60
	v_lshlrev_b32_e32 v2, 20, v2
	v_and_b32_e32 v4, 0x80000000, v4
	v_lshl_add_u32 v5, v5, 23, v7
	v_or3_b32 v2, v4, v5, v2
.LBB6_16045:                            ;   in Loop: Header=BB6_14596 Depth=3
	s_or_b64 exec, exec, s[36:37]
.LBB6_16046:                            ;   in Loop: Header=BB6_14596 Depth=3
	s_or_b64 exec, exec, s[34:35]
.LBB6_16047:                            ;   in Loop: Header=BB6_14596 Depth=3
	s_or_b64 exec, exec, s[28:29]
	v_and_b32_e32 v16, 0xff, v20
	v_cmp_ne_u16_e32 vcc, 0, v16
	s_and_saveexec_b64 s[28:29], vcc
	s_cbranch_execz .LBB6_16053
; %bb.16048:                            ;   in Loop: Header=BB6_14596 Depth=3
	v_cmp_ne_u16_e32 vcc, s96, v16
	v_bfrev_b32_e32 v1, 1
	s_and_saveexec_b64 s[34:35], vcc
	s_cbranch_execz .LBB6_16052
; %bb.16049:                            ;   in Loop: Header=BB6_14596 Depth=3
	v_and_b32_e32 v4, 0x7f, v20
	v_cmp_ne_u32_e32 vcc, s86, v4
	v_mov_b32_e32 v1, 0x7f800001
	s_and_saveexec_b64 s[36:37], vcc
	s_cbranch_execz .LBB6_16051
; %bb.16050:                            ;   in Loop: Header=BB6_14596 Depth=3
	v_and_b32_e32 v1, 7, v16
	v_lshrrev_b32_e32 v7, 3, v4
	v_cmp_gt_u32_e32 vcc, 8, v4
	v_ffbh_u32_e32 v4, v1
	v_min_u32_e32 v17, 32, v4
	v_subrev_u32_e32 v4, 28, v17
	v_lshlrev_b64 v[4:5], v4, v[16:17]
	v_sub_u32_e32 v5, 29, v17
	v_and_b32_e32 v4, 7, v4
	v_cndmask_b32_e32 v5, v7, v5, vcc
	v_cndmask_b32_e32 v1, v1, v4, vcc
	v_lshlrev_b32_e32 v4, 24, v20
	v_bfrev_b32_e32 v7, 60
	v_lshlrev_b32_e32 v1, 20, v1
	v_and_b32_e32 v4, 0x80000000, v4
	v_lshl_add_u32 v5, v5, 23, v7
	v_or3_b32 v1, v4, v5, v1
.LBB6_16051:                            ;   in Loop: Header=BB6_14596 Depth=3
	s_or_b64 exec, exec, s[36:37]
.LBB6_16052:                            ;   in Loop: Header=BB6_14596 Depth=3
	s_or_b64 exec, exec, s[34:35]
.LBB6_16053:                            ;   in Loop: Header=BB6_14596 Depth=3
	s_or_b64 exec, exec, s[28:29]
	v_add_f32_e32 v4, v2, v1
	v_and_b32_e32 v1, 0x7f800000, v4
	v_mov_b32_e32 v2, v51
	v_cmp_ne_u64_e32 vcc, s[76:77], v[1:2]
                                        ; implicit-def: $vgpr1
	s_and_saveexec_b64 s[28:29], vcc
	s_xor_b64 s[34:35], exec, s[28:29]
	s_cbranch_execz .LBB6_16071
; %bb.16054:                            ;   in Loop: Header=BB6_14596 Depth=3
	v_and_b32_e32 v1, 0x7fffffff, v4
	v_mov_b32_e32 v2, v51
	v_cmp_gt_u64_e32 vcc, s[78:79], v[1:2]
	v_and_b32_sdwa v2, v4, s96 dst_sel:DWORD dst_unused:UNUSED_PAD src0_sel:BYTE_3 src1_sel:DWORD
                                        ; implicit-def: $vgpr1
	s_and_saveexec_b64 s[28:29], vcc
	s_xor_b64 s[36:37], exec, s[28:29]
	s_cbranch_execz .LBB6_16068
; %bb.16055:                            ;   in Loop: Header=BB6_14596 Depth=3
	v_cmp_ne_u32_e32 vcc, 0, v4
	v_mov_b32_e32 v1, 0
	s_and_saveexec_b64 s[38:39], vcc
	s_cbranch_execz .LBB6_16067
; %bb.16056:                            ;   in Loop: Header=BB6_14596 Depth=3
	v_bfe_u32 v1, v4, 23, 8
	v_and_b32_e32 v5, 0x7fffff, v4
	v_cmp_gt_u32_e64 s[28:29], s97, v1
	v_sub_u32_e32 v4, 0x79, v1
	v_cmp_eq_u32_e32 vcc, 0, v1
	v_cndmask_b32_e64 v4, 0, v4, s[28:29]
	v_mov_b32_e32 v7, 0x78
	v_or_b32_e32 v16, 0x800000, v5
	v_cndmask_b32_e32 v7, v4, v7, vcc
	v_cndmask_b32_e32 v4, v16, v5, vcc
	v_add_u32_e32 v16, 20, v7
	v_lshlrev_b64 v[16:17], v16, -1
	v_add_u32_e32 v20, 19, v7
	v_lshlrev_b64 v[20:21], v20, 1
	v_mov_b32_e32 v5, v51
	v_bfi_b32 v17, v17, 0, 0
	v_bfi_b32 v16, v16, 0, v4
	v_cmp_eq_u64_e64 s[28:29], v[16:17], v[20:21]
	v_lshrrev_b64 v[16:17], v7, v[4:5]
	v_mov_b32_e32 v4, v16
	v_mov_b32_e32 v5, v17
	s_and_saveexec_b64 s[48:49], s[28:29]
; %bb.16057:                            ;   in Loop: Header=BB6_14596 Depth=3
	v_bfe_u32 v4, v16, 20, 1
	v_add_co_u32_e64 v4, s[28:29], v16, v4
	v_add_co_u32_e64 v4, s[28:29], -1, v4
; %bb.16058:                            ;   in Loop: Header=BB6_14596 Depth=3
	s_or_b64 exec, exec, s[48:49]
	v_add_u32_e32 v1, 0xffffff81, v1
	v_mov_b32_e32 v5, 0xffffff82
	v_cndmask_b32_e32 v1, v1, v5, vcc
	v_lshrrev_b32_e32 v5, 23, v16
	v_add3_u32 v5, v7, v1, v5
	v_add_u32_e32 v1, 6, v5
	v_and_b32_e32 v4, 0xfffff, v4
	v_add_u32_e32 v16, v4, v16
	v_mov_b32_e32 v17, v51
	v_cmp_ne_u32_e32 vcc, 0, v1
                                        ; implicit-def: $vgpr4
	s_and_saveexec_b64 s[28:29], vcc
	s_xor_b64 s[28:29], exec, s[28:29]
; %bb.16059:                            ;   in Loop: Header=BB6_14596 Depth=3
	v_cmp_lt_u64_e32 vcc, s[88:89], v[16:17]
	v_add_u32_e32 v4, 7, v5
	v_cndmask_b32_e32 v4, v1, v4, vcc
	v_cndmask_b32_e64 v1, 0, 1, vcc
	v_lshrrev_b64 v[16:17], v1, v[16:17]
; %bb.16060:                            ;   in Loop: Header=BB6_14596 Depth=3
	s_andn2_saveexec_b64 s[28:29], s[28:29]
; %bb.16061:                            ;   in Loop: Header=BB6_14596 Depth=3
	v_bfe_u32 v4, v16, 23, 1
; %bb.16062:                            ;   in Loop: Header=BB6_14596 Depth=3
	s_or_b64 exec, exec, s[28:29]
	v_lshrrev_b64 v[16:17], 20, v[16:17]
	v_cmp_gt_i32_e32 vcc, 16, v4
	v_cndmask_b32_e32 v17, 0, v17, vcc
	v_cndmask_b32_e32 v16, 7, v16, vcc
	v_cmp_ne_u64_e32 vcc, 0, v[16:17]
	v_cmp_ne_u32_e64 s[28:29], 0, v4
	s_or_b64 s[28:29], s[28:29], vcc
                                        ; implicit-def: $vgpr1
	s_and_saveexec_b64 vcc, s[28:29]
	s_xor_b64 s[28:29], exec, vcc
; %bb.16063:                            ;   in Loop: Header=BB6_14596 Depth=3
	v_min_i32_e32 v1, 15, v4
	v_lshl_or_b32 v1, v1, 3, v2
	v_and_or_b32 v1, v16, 7, v1
                                        ; implicit-def: $vgpr2
; %bb.16064:                            ;   in Loop: Header=BB6_14596 Depth=3
	s_andn2_saveexec_b64 s[28:29], s[28:29]
; %bb.16065:                            ;   in Loop: Header=BB6_14596 Depth=3
	v_mov_b32_e32 v1, v2
; %bb.16066:                            ;   in Loop: Header=BB6_14596 Depth=3
	s_or_b64 exec, exec, s[28:29]
.LBB6_16067:                            ;   in Loop: Header=BB6_14596 Depth=3
	s_or_b64 exec, exec, s[38:39]
                                        ; implicit-def: $vgpr2
.LBB6_16068:                            ;   in Loop: Header=BB6_14596 Depth=3
	s_andn2_saveexec_b64 s[28:29], s[36:37]
; %bb.16069:                            ;   in Loop: Header=BB6_14596 Depth=3
	v_or_b32_e32 v1, 0x7e, v2
; %bb.16070:                            ;   in Loop: Header=BB6_14596 Depth=3
	s_or_b64 exec, exec, s[28:29]
                                        ; implicit-def: $vgpr4
.LBB6_16071:                            ;   in Loop: Header=BB6_14596 Depth=3
	s_andn2_saveexec_b64 s[28:29], s[34:35]
; %bb.16072:                            ;   in Loop: Header=BB6_14596 Depth=3
	v_or_b32_sdwa v1, v4, s86 dst_sel:DWORD dst_unused:UNUSED_PAD src0_sel:BYTE_3 src1_sel:DWORD
; %bb.16073:                            ;   in Loop: Header=BB6_14596 Depth=3
	s_or_b64 exec, exec, s[28:29]
	buffer_load_dword v2, off, s[0:3], s33 offset:136 ; 4-byte Folded Reload
	v_mov_b32_e32 v4, 0
	s_waitcnt vmcnt(0)
	v_and_b32_e32 v16, 0xff, v2
	v_cmp_ne_u16_e32 vcc, 0, v16
	v_mov_b32_e32 v2, 0
	s_and_saveexec_b64 s[28:29], vcc
	s_cbranch_execz .LBB6_16079
; %bb.16074:                            ;   in Loop: Header=BB6_14596 Depth=3
	v_cmp_ne_u16_e32 vcc, s96, v16
	v_bfrev_b32_e32 v4, 1
	s_and_saveexec_b64 s[34:35], vcc
	s_cbranch_execz .LBB6_16078
; %bb.16075:                            ;   in Loop: Header=BB6_14596 Depth=3
	buffer_load_dword v21, off, s[0:3], s33 offset:136 ; 4-byte Folded Reload
	v_mov_b32_e32 v4, 0x7f800001
	s_waitcnt vmcnt(0)
	v_and_b32_e32 v5, 0x7f, v21
	v_cmp_ne_u32_e32 vcc, s86, v5
	s_and_saveexec_b64 s[36:37], vcc
	s_cbranch_execz .LBB6_16077
; %bb.16076:                            ;   in Loop: Header=BB6_14596 Depth=3
	v_and_b32_e32 v7, 7, v16
	v_ffbh_u32_e32 v4, v7
	v_min_u32_e32 v20, 32, v4
	v_lshrrev_b32_e32 v17, 3, v5
	v_subrev_u32_e32 v4, 28, v20
	v_cmp_gt_u32_e32 vcc, 8, v5
	v_lshlrev_b64 v[4:5], v4, v[16:17]
	v_sub_u32_e32 v5, 29, v20
	v_and_b32_e32 v4, 7, v4
	v_cndmask_b32_e32 v5, v17, v5, vcc
	v_cndmask_b32_e32 v4, v7, v4, vcc
	v_lshlrev_b32_e32 v7, 24, v21
	v_bfrev_b32_e32 v16, 60
	v_lshlrev_b32_e32 v4, 20, v4
	v_and_b32_e32 v7, 0x80000000, v7
	v_lshl_add_u32 v5, v5, 23, v16
	v_or3_b32 v4, v7, v5, v4
.LBB6_16077:                            ;   in Loop: Header=BB6_14596 Depth=3
	s_or_b64 exec, exec, s[36:37]
.LBB6_16078:                            ;   in Loop: Header=BB6_14596 Depth=3
	s_or_b64 exec, exec, s[34:35]
.LBB6_16079:                            ;   in Loop: Header=BB6_14596 Depth=3
	s_or_b64 exec, exec, s[28:29]
	v_and_b32_e32 v16, 0xff, v18
	v_cmp_ne_u16_e32 vcc, 0, v16
	s_and_saveexec_b64 s[28:29], vcc
	s_cbranch_execz .LBB6_16085
; %bb.16080:                            ;   in Loop: Header=BB6_14596 Depth=3
	v_cmp_ne_u16_e32 vcc, s96, v16
	v_bfrev_b32_e32 v2, 1
	s_and_saveexec_b64 s[34:35], vcc
	s_cbranch_execz .LBB6_16084
; %bb.16081:                            ;   in Loop: Header=BB6_14596 Depth=3
	v_and_b32_e32 v5, 0x7f, v18
	v_cmp_ne_u32_e32 vcc, s86, v5
	v_mov_b32_e32 v2, 0x7f800001
	s_and_saveexec_b64 s[36:37], vcc
	s_cbranch_execz .LBB6_16083
; %bb.16082:                            ;   in Loop: Header=BB6_14596 Depth=3
	v_and_b32_e32 v2, 7, v16
	v_lshrrev_b32_e32 v7, 3, v5
	v_cmp_gt_u32_e32 vcc, 8, v5
	v_ffbh_u32_e32 v5, v2
	v_min_u32_e32 v5, 32, v5
	v_subrev_u32_e32 v17, 28, v5
	v_lshlrev_b64 v[16:17], v17, v[16:17]
	v_sub_u32_e32 v5, 29, v5
	v_and_b32_e32 v16, 7, v16
	v_cndmask_b32_e32 v5, v7, v5, vcc
	v_cndmask_b32_e32 v2, v2, v16, vcc
	v_lshlrev_b32_e32 v7, 24, v18
	v_bfrev_b32_e32 v16, 60
	v_lshlrev_b32_e32 v2, 20, v2
	v_and_b32_e32 v7, 0x80000000, v7
	v_lshl_add_u32 v5, v5, 23, v16
	v_or3_b32 v2, v7, v5, v2
.LBB6_16083:                            ;   in Loop: Header=BB6_14596 Depth=3
	s_or_b64 exec, exec, s[36:37]
.LBB6_16084:                            ;   in Loop: Header=BB6_14596 Depth=3
	s_or_b64 exec, exec, s[34:35]
.LBB6_16085:                            ;   in Loop: Header=BB6_14596 Depth=3
	s_or_b64 exec, exec, s[28:29]
	v_add_f32_e32 v4, v4, v2
	v_and_b32_e32 v16, 0x7f800000, v4
	v_mov_b32_e32 v17, v51
	v_cmp_ne_u64_e32 vcc, s[76:77], v[16:17]
                                        ; implicit-def: $vgpr7
	s_and_saveexec_b64 s[28:29], vcc
	s_xor_b64 s[34:35], exec, s[28:29]
	s_cbranch_execz .LBB6_16103
; %bb.16086:                            ;   in Loop: Header=BB6_14596 Depth=3
	v_and_b32_e32 v16, 0x7fffffff, v4
	v_mov_b32_e32 v17, v51
	v_cmp_gt_u64_e32 vcc, s[78:79], v[16:17]
	v_and_b32_sdwa v2, v4, s96 dst_sel:DWORD dst_unused:UNUSED_PAD src0_sel:BYTE_3 src1_sel:DWORD
                                        ; implicit-def: $vgpr7
	s_and_saveexec_b64 s[28:29], vcc
	s_xor_b64 s[36:37], exec, s[28:29]
	s_cbranch_execz .LBB6_16100
; %bb.16087:                            ;   in Loop: Header=BB6_14596 Depth=3
	v_cmp_ne_u32_e32 vcc, 0, v4
	v_mov_b32_e32 v7, 0
	s_and_saveexec_b64 s[38:39], vcc
	s_cbranch_execz .LBB6_16099
; %bb.16088:                            ;   in Loop: Header=BB6_14596 Depth=3
	v_bfe_u32 v7, v4, 23, 8
	v_and_b32_e32 v5, 0x7fffff, v4
	v_cmp_gt_u32_e64 s[28:29], s97, v7
	v_sub_u32_e32 v4, 0x79, v7
	v_cmp_eq_u32_e32 vcc, 0, v7
	v_cndmask_b32_e64 v4, 0, v4, s[28:29]
	v_mov_b32_e32 v17, 0x78
	v_or_b32_e32 v16, 0x800000, v5
	v_cndmask_b32_e32 v18, v4, v17, vcc
	v_cndmask_b32_e32 v4, v16, v5, vcc
	v_add_u32_e32 v16, 20, v18
	v_lshlrev_b64 v[16:17], v16, -1
	v_add_u32_e32 v20, 19, v18
	v_lshlrev_b64 v[20:21], v20, 1
	v_mov_b32_e32 v5, v51
	v_bfi_b32 v17, v17, 0, 0
	v_bfi_b32 v16, v16, 0, v4
	v_cmp_eq_u64_e64 s[28:29], v[16:17], v[20:21]
	v_lshrrev_b64 v[16:17], v18, v[4:5]
	v_mov_b32_e32 v4, v16
	v_mov_b32_e32 v5, v17
	s_and_saveexec_b64 s[48:49], s[28:29]
; %bb.16089:                            ;   in Loop: Header=BB6_14596 Depth=3
	v_bfe_u32 v4, v16, 20, 1
	v_add_co_u32_e64 v4, s[28:29], v16, v4
	v_add_co_u32_e64 v4, s[28:29], -1, v4
; %bb.16090:                            ;   in Loop: Header=BB6_14596 Depth=3
	s_or_b64 exec, exec, s[48:49]
	v_add_u32_e32 v5, 0xffffff81, v7
	v_mov_b32_e32 v7, 0xffffff82
	v_cndmask_b32_e32 v5, v5, v7, vcc
	v_lshrrev_b32_e32 v7, 23, v16
	v_add3_u32 v7, v18, v5, v7
	v_add_u32_e32 v5, 6, v7
	v_and_b32_e32 v4, 0xfffff, v4
	v_add_u32_e32 v16, v4, v16
	v_mov_b32_e32 v17, v51
	v_cmp_ne_u32_e32 vcc, 0, v5
                                        ; implicit-def: $vgpr4
	s_and_saveexec_b64 s[28:29], vcc
	s_xor_b64 s[28:29], exec, s[28:29]
; %bb.16091:                            ;   in Loop: Header=BB6_14596 Depth=3
	v_cmp_lt_u64_e32 vcc, s[88:89], v[16:17]
	v_add_u32_e32 v4, 7, v7
	v_cndmask_b32_e32 v4, v5, v4, vcc
	v_cndmask_b32_e64 v5, 0, 1, vcc
	v_lshrrev_b64 v[16:17], v5, v[16:17]
; %bb.16092:                            ;   in Loop: Header=BB6_14596 Depth=3
	s_andn2_saveexec_b64 s[28:29], s[28:29]
; %bb.16093:                            ;   in Loop: Header=BB6_14596 Depth=3
	v_bfe_u32 v4, v16, 23, 1
; %bb.16094:                            ;   in Loop: Header=BB6_14596 Depth=3
	s_or_b64 exec, exec, s[28:29]
	v_lshrrev_b64 v[16:17], 20, v[16:17]
	v_cmp_gt_i32_e32 vcc, 16, v4
	v_cndmask_b32_e32 v17, 0, v17, vcc
	v_cndmask_b32_e32 v16, 7, v16, vcc
	v_cmp_ne_u64_e32 vcc, 0, v[16:17]
	v_cmp_ne_u32_e64 s[28:29], 0, v4
	s_or_b64 s[28:29], s[28:29], vcc
                                        ; implicit-def: $vgpr7
	s_and_saveexec_b64 vcc, s[28:29]
	s_xor_b64 s[28:29], exec, vcc
; %bb.16095:                            ;   in Loop: Header=BB6_14596 Depth=3
	v_min_i32_e32 v4, 15, v4
	v_lshl_or_b32 v2, v4, 3, v2
	v_and_or_b32 v7, v16, 7, v2
                                        ; implicit-def: $vgpr2
; %bb.16096:                            ;   in Loop: Header=BB6_14596 Depth=3
	s_andn2_saveexec_b64 s[28:29], s[28:29]
; %bb.16097:                            ;   in Loop: Header=BB6_14596 Depth=3
	v_mov_b32_e32 v7, v2
; %bb.16098:                            ;   in Loop: Header=BB6_14596 Depth=3
	s_or_b64 exec, exec, s[28:29]
.LBB6_16099:                            ;   in Loop: Header=BB6_14596 Depth=3
	s_or_b64 exec, exec, s[38:39]
                                        ; implicit-def: $vgpr2
.LBB6_16100:                            ;   in Loop: Header=BB6_14596 Depth=3
	s_andn2_saveexec_b64 s[28:29], s[36:37]
; %bb.16101:                            ;   in Loop: Header=BB6_14596 Depth=3
	v_or_b32_e32 v7, 0x7e, v2
; %bb.16102:                            ;   in Loop: Header=BB6_14596 Depth=3
	s_or_b64 exec, exec, s[28:29]
                                        ; implicit-def: $vgpr4
.LBB6_16103:                            ;   in Loop: Header=BB6_14596 Depth=3
	s_andn2_saveexec_b64 s[28:29], s[34:35]
; %bb.16104:                            ;   in Loop: Header=BB6_14596 Depth=3
	v_or_b32_sdwa v7, v4, s86 dst_sel:DWORD dst_unused:UNUSED_PAD src0_sel:BYTE_3 src1_sel:DWORD
; %bb.16105:                            ;   in Loop: Header=BB6_14596 Depth=3
	s_or_b64 exec, exec, s[28:29]
	buffer_load_dword v2, off, s[0:3], s33 offset:132 ; 4-byte Folded Reload
	v_mov_b32_e32 v4, 0
	s_waitcnt vmcnt(0)
	v_and_b32_e32 v16, 0xff, v2
	v_cmp_ne_u16_e32 vcc, 0, v16
	v_mov_b32_e32 v2, 0
	s_and_saveexec_b64 s[28:29], vcc
	s_cbranch_execz .LBB6_16111
; %bb.16106:                            ;   in Loop: Header=BB6_14596 Depth=3
	v_cmp_ne_u16_e32 vcc, s96, v16
	v_bfrev_b32_e32 v4, 1
	s_and_saveexec_b64 s[34:35], vcc
	s_cbranch_execz .LBB6_16110
; %bb.16107:                            ;   in Loop: Header=BB6_14596 Depth=3
	buffer_load_dword v21, off, s[0:3], s33 offset:132 ; 4-byte Folded Reload
	v_mov_b32_e32 v4, 0x7f800001
	s_waitcnt vmcnt(0)
	v_and_b32_e32 v5, 0x7f, v21
	v_cmp_ne_u32_e32 vcc, s86, v5
	s_and_saveexec_b64 s[36:37], vcc
	s_cbranch_execz .LBB6_16109
; %bb.16108:                            ;   in Loop: Header=BB6_14596 Depth=3
	v_and_b32_e32 v17, 7, v16
	v_ffbh_u32_e32 v4, v17
	v_min_u32_e32 v20, 32, v4
	v_subrev_u32_e32 v4, 28, v20
	v_lshrrev_b32_e32 v18, 3, v5
	v_cmp_gt_u32_e32 vcc, 8, v5
	v_lshlrev_b64 v[4:5], v4, v[16:17]
	v_sub_u32_e32 v5, 29, v20
	v_and_b32_e32 v4, 7, v4
	v_cndmask_b32_e32 v5, v18, v5, vcc
	v_cndmask_b32_e32 v4, v17, v4, vcc
	v_lshlrev_b32_e32 v16, 24, v21
	v_bfrev_b32_e32 v17, 60
	v_lshlrev_b32_e32 v4, 20, v4
	v_and_b32_e32 v16, 0x80000000, v16
	v_lshl_add_u32 v5, v5, 23, v17
	v_or3_b32 v4, v16, v5, v4
.LBB6_16109:                            ;   in Loop: Header=BB6_14596 Depth=3
	s_or_b64 exec, exec, s[36:37]
.LBB6_16110:                            ;   in Loop: Header=BB6_14596 Depth=3
	s_or_b64 exec, exec, s[34:35]
.LBB6_16111:                            ;   in Loop: Header=BB6_14596 Depth=3
	s_or_b64 exec, exec, s[28:29]
	v_and_b32_e32 v16, 0xff, v61
	v_cmp_ne_u16_e32 vcc, 0, v16
	s_and_saveexec_b64 s[28:29], vcc
	s_cbranch_execz .LBB6_16117
; %bb.16112:                            ;   in Loop: Header=BB6_14596 Depth=3
	v_cmp_ne_u16_e32 vcc, s96, v16
	v_bfrev_b32_e32 v2, 1
	s_and_saveexec_b64 s[34:35], vcc
	s_cbranch_execz .LBB6_16116
; %bb.16113:                            ;   in Loop: Header=BB6_14596 Depth=3
	v_and_b32_e32 v5, 0x7f, v61
	v_cmp_ne_u32_e32 vcc, s86, v5
	v_mov_b32_e32 v2, 0x7f800001
	s_and_saveexec_b64 s[36:37], vcc
	s_cbranch_execz .LBB6_16115
; %bb.16114:                            ;   in Loop: Header=BB6_14596 Depth=3
	v_and_b32_e32 v2, 7, v16
	v_lshrrev_b32_e32 v18, 3, v5
	v_cmp_gt_u32_e32 vcc, 8, v5
	v_ffbh_u32_e32 v5, v2
	v_min_u32_e32 v5, 32, v5
	v_subrev_u32_e32 v17, 28, v5
	v_lshlrev_b64 v[16:17], v17, v[16:17]
	v_sub_u32_e32 v5, 29, v5
	v_and_b32_e32 v16, 7, v16
	v_cndmask_b32_e32 v5, v18, v5, vcc
	v_cndmask_b32_e32 v2, v2, v16, vcc
	v_lshlrev_b32_e32 v16, 24, v61
	v_bfrev_b32_e32 v17, 60
	v_lshlrev_b32_e32 v2, 20, v2
	v_and_b32_e32 v16, 0x80000000, v16
	v_lshl_add_u32 v5, v5, 23, v17
	v_or3_b32 v2, v16, v5, v2
.LBB6_16115:                            ;   in Loop: Header=BB6_14596 Depth=3
	s_or_b64 exec, exec, s[36:37]
.LBB6_16116:                            ;   in Loop: Header=BB6_14596 Depth=3
	s_or_b64 exec, exec, s[34:35]
.LBB6_16117:                            ;   in Loop: Header=BB6_14596 Depth=3
	s_or_b64 exec, exec, s[28:29]
	v_add_f32_e32 v4, v4, v2
	v_and_b32_e32 v16, 0x7f800000, v4
	v_mov_b32_e32 v17, v51
	v_cmp_ne_u64_e32 vcc, s[76:77], v[16:17]
                                        ; implicit-def: $vgpr18
	s_and_saveexec_b64 s[28:29], vcc
	s_xor_b64 s[34:35], exec, s[28:29]
	s_cbranch_execz .LBB6_16135
; %bb.16118:                            ;   in Loop: Header=BB6_14596 Depth=3
	v_and_b32_e32 v16, 0x7fffffff, v4
	v_mov_b32_e32 v17, v51
	v_cmp_gt_u64_e32 vcc, s[78:79], v[16:17]
	v_and_b32_sdwa v2, v4, s96 dst_sel:DWORD dst_unused:UNUSED_PAD src0_sel:BYTE_3 src1_sel:DWORD
                                        ; implicit-def: $vgpr18
	s_and_saveexec_b64 s[28:29], vcc
	s_xor_b64 s[36:37], exec, s[28:29]
	s_cbranch_execz .LBB6_16132
; %bb.16119:                            ;   in Loop: Header=BB6_14596 Depth=3
	v_cmp_ne_u32_e32 vcc, 0, v4
	v_mov_b32_e32 v18, 0
	s_and_saveexec_b64 s[38:39], vcc
	s_cbranch_execz .LBB6_16131
; %bb.16120:                            ;   in Loop: Header=BB6_14596 Depth=3
	v_bfe_u32 v18, v4, 23, 8
	v_and_b32_e32 v5, 0x7fffff, v4
	v_cmp_gt_u32_e64 s[28:29], s97, v18
	v_sub_u32_e32 v4, 0x79, v18
	v_cmp_eq_u32_e32 vcc, 0, v18
	v_cndmask_b32_e64 v4, 0, v4, s[28:29]
	v_mov_b32_e32 v17, 0x78
	v_or_b32_e32 v16, 0x800000, v5
	v_cndmask_b32_e32 v20, v4, v17, vcc
	v_cndmask_b32_e32 v4, v16, v5, vcc
	v_add_u32_e32 v16, 20, v20
	v_lshlrev_b64 v[16:17], v16, -1
	v_add_u32_e32 v21, 19, v20
	v_lshlrev_b64 v[21:22], v21, 1
	v_mov_b32_e32 v5, v51
	v_bfi_b32 v17, v17, 0, 0
	v_bfi_b32 v16, v16, 0, v4
	v_cmp_eq_u64_e64 s[28:29], v[16:17], v[21:22]
	v_lshrrev_b64 v[16:17], v20, v[4:5]
	v_mov_b32_e32 v4, v16
	v_mov_b32_e32 v5, v17
	s_and_saveexec_b64 s[48:49], s[28:29]
; %bb.16121:                            ;   in Loop: Header=BB6_14596 Depth=3
	v_bfe_u32 v4, v16, 20, 1
	v_add_co_u32_e64 v4, s[28:29], v16, v4
	v_add_co_u32_e64 v4, s[28:29], -1, v4
; %bb.16122:                            ;   in Loop: Header=BB6_14596 Depth=3
	s_or_b64 exec, exec, s[48:49]
	v_add_u32_e32 v5, 0xffffff81, v18
	v_mov_b32_e32 v17, 0xffffff82
	v_cndmask_b32_e32 v5, v5, v17, vcc
	v_lshrrev_b32_e32 v17, 23, v16
	v_add3_u32 v18, v20, v5, v17
	v_add_u32_e32 v5, 6, v18
	v_and_b32_e32 v4, 0xfffff, v4
	v_add_u32_e32 v16, v4, v16
	v_mov_b32_e32 v17, v51
	v_cmp_ne_u32_e32 vcc, 0, v5
                                        ; implicit-def: $vgpr4
	s_and_saveexec_b64 s[28:29], vcc
	s_xor_b64 s[28:29], exec, s[28:29]
; %bb.16123:                            ;   in Loop: Header=BB6_14596 Depth=3
	v_cmp_lt_u64_e32 vcc, s[88:89], v[16:17]
	v_add_u32_e32 v4, 7, v18
	v_cndmask_b32_e32 v4, v5, v4, vcc
	v_cndmask_b32_e64 v5, 0, 1, vcc
	v_lshrrev_b64 v[16:17], v5, v[16:17]
; %bb.16124:                            ;   in Loop: Header=BB6_14596 Depth=3
	s_andn2_saveexec_b64 s[28:29], s[28:29]
; %bb.16125:                            ;   in Loop: Header=BB6_14596 Depth=3
	v_bfe_u32 v4, v16, 23, 1
; %bb.16126:                            ;   in Loop: Header=BB6_14596 Depth=3
	s_or_b64 exec, exec, s[28:29]
	v_lshrrev_b64 v[16:17], 20, v[16:17]
	v_cmp_gt_i32_e32 vcc, 16, v4
	v_cndmask_b32_e32 v17, 0, v17, vcc
	v_cndmask_b32_e32 v16, 7, v16, vcc
	v_cmp_ne_u64_e32 vcc, 0, v[16:17]
	v_cmp_ne_u32_e64 s[28:29], 0, v4
	s_or_b64 s[28:29], s[28:29], vcc
                                        ; implicit-def: $vgpr18
	s_and_saveexec_b64 vcc, s[28:29]
	s_xor_b64 s[28:29], exec, vcc
; %bb.16127:                            ;   in Loop: Header=BB6_14596 Depth=3
	v_min_i32_e32 v4, 15, v4
	v_lshl_or_b32 v2, v4, 3, v2
	v_and_or_b32 v18, v16, 7, v2
                                        ; implicit-def: $vgpr2
; %bb.16128:                            ;   in Loop: Header=BB6_14596 Depth=3
	s_andn2_saveexec_b64 s[28:29], s[28:29]
; %bb.16129:                            ;   in Loop: Header=BB6_14596 Depth=3
	v_mov_b32_e32 v18, v2
; %bb.16130:                            ;   in Loop: Header=BB6_14596 Depth=3
	s_or_b64 exec, exec, s[28:29]
.LBB6_16131:                            ;   in Loop: Header=BB6_14596 Depth=3
	s_or_b64 exec, exec, s[38:39]
                                        ; implicit-def: $vgpr2
.LBB6_16132:                            ;   in Loop: Header=BB6_14596 Depth=3
	s_andn2_saveexec_b64 s[28:29], s[36:37]
; %bb.16133:                            ;   in Loop: Header=BB6_14596 Depth=3
	v_or_b32_e32 v18, 0x7e, v2
; %bb.16134:                            ;   in Loop: Header=BB6_14596 Depth=3
	s_or_b64 exec, exec, s[28:29]
                                        ; implicit-def: $vgpr4
.LBB6_16135:                            ;   in Loop: Header=BB6_14596 Depth=3
	s_andn2_saveexec_b64 s[28:29], s[34:35]
; %bb.16136:                            ;   in Loop: Header=BB6_14596 Depth=3
	v_or_b32_sdwa v18, v4, s86 dst_sel:DWORD dst_unused:UNUSED_PAD src0_sel:BYTE_3 src1_sel:DWORD
; %bb.16137:                            ;   in Loop: Header=BB6_14596 Depth=3
	s_or_b64 exec, exec, s[28:29]
	buffer_load_dword v2, off, s[0:3], s33 offset:128 ; 4-byte Folded Reload
	v_mov_b32_e32 v4, 0
	s_waitcnt vmcnt(0)
	v_and_b32_e32 v16, 0xff, v2
	v_cmp_ne_u16_e32 vcc, 0, v16
	v_mov_b32_e32 v2, 0
	s_and_saveexec_b64 s[28:29], vcc
	s_cbranch_execz .LBB6_16143
; %bb.16138:                            ;   in Loop: Header=BB6_14596 Depth=3
	v_cmp_ne_u16_e32 vcc, s96, v16
	v_bfrev_b32_e32 v4, 1
	s_and_saveexec_b64 s[34:35], vcc
	s_cbranch_execz .LBB6_16142
; %bb.16139:                            ;   in Loop: Header=BB6_14596 Depth=3
	buffer_load_dword v22, off, s[0:3], s33 offset:128 ; 4-byte Folded Reload
	v_mov_b32_e32 v4, 0x7f800001
	s_waitcnt vmcnt(0)
	v_and_b32_e32 v5, 0x7f, v22
	v_cmp_ne_u32_e32 vcc, s86, v5
	s_and_saveexec_b64 s[36:37], vcc
	s_cbranch_execz .LBB6_16141
; %bb.16140:                            ;   in Loop: Header=BB6_14596 Depth=3
	v_and_b32_e32 v17, 7, v16
	v_ffbh_u32_e32 v4, v17
	v_min_u32_e32 v21, 32, v4
	v_subrev_u32_e32 v4, 28, v21
	v_lshrrev_b32_e32 v20, 3, v5
	v_cmp_gt_u32_e32 vcc, 8, v5
	v_lshlrev_b64 v[4:5], v4, v[16:17]
	v_sub_u32_e32 v5, 29, v21
	v_and_b32_e32 v4, 7, v4
	v_cndmask_b32_e32 v5, v20, v5, vcc
	v_cndmask_b32_e32 v4, v17, v4, vcc
	v_lshlrev_b32_e32 v16, 24, v22
	v_bfrev_b32_e32 v17, 60
	v_lshlrev_b32_e32 v4, 20, v4
	v_and_b32_e32 v16, 0x80000000, v16
	v_lshl_add_u32 v5, v5, 23, v17
	v_or3_b32 v4, v16, v5, v4
.LBB6_16141:                            ;   in Loop: Header=BB6_14596 Depth=3
	s_or_b64 exec, exec, s[36:37]
.LBB6_16142:                            ;   in Loop: Header=BB6_14596 Depth=3
	s_or_b64 exec, exec, s[34:35]
.LBB6_16143:                            ;   in Loop: Header=BB6_14596 Depth=3
	s_or_b64 exec, exec, s[28:29]
	v_and_b32_e32 v16, 0xff, v60
	v_cmp_ne_u16_e32 vcc, 0, v16
	s_and_saveexec_b64 s[28:29], vcc
	s_cbranch_execz .LBB6_16149
; %bb.16144:                            ;   in Loop: Header=BB6_14596 Depth=3
	v_cmp_ne_u16_e32 vcc, s96, v16
	v_bfrev_b32_e32 v2, 1
	s_and_saveexec_b64 s[34:35], vcc
	s_cbranch_execz .LBB6_16148
; %bb.16145:                            ;   in Loop: Header=BB6_14596 Depth=3
	v_and_b32_e32 v5, 0x7f, v60
	v_cmp_ne_u32_e32 vcc, s86, v5
	v_mov_b32_e32 v2, 0x7f800001
	s_and_saveexec_b64 s[36:37], vcc
	s_cbranch_execz .LBB6_16147
; %bb.16146:                            ;   in Loop: Header=BB6_14596 Depth=3
	v_and_b32_e32 v2, 7, v16
	v_lshrrev_b32_e32 v20, 3, v5
	v_cmp_gt_u32_e32 vcc, 8, v5
	v_ffbh_u32_e32 v5, v2
	v_min_u32_e32 v5, 32, v5
	v_subrev_u32_e32 v17, 28, v5
	v_lshlrev_b64 v[16:17], v17, v[16:17]
	v_sub_u32_e32 v5, 29, v5
	v_and_b32_e32 v16, 7, v16
	v_cndmask_b32_e32 v5, v20, v5, vcc
	v_cndmask_b32_e32 v2, v2, v16, vcc
	v_lshlrev_b32_e32 v16, 24, v60
	v_bfrev_b32_e32 v17, 60
	v_lshlrev_b32_e32 v2, 20, v2
	v_and_b32_e32 v16, 0x80000000, v16
	v_lshl_add_u32 v5, v5, 23, v17
	v_or3_b32 v2, v16, v5, v2
.LBB6_16147:                            ;   in Loop: Header=BB6_14596 Depth=3
	s_or_b64 exec, exec, s[36:37]
.LBB6_16148:                            ;   in Loop: Header=BB6_14596 Depth=3
	s_or_b64 exec, exec, s[34:35]
.LBB6_16149:                            ;   in Loop: Header=BB6_14596 Depth=3
	s_or_b64 exec, exec, s[28:29]
	v_add_f32_e32 v4, v4, v2
	v_and_b32_e32 v16, 0x7f800000, v4
	v_mov_b32_e32 v17, v51
	v_cmp_ne_u64_e32 vcc, s[76:77], v[16:17]
                                        ; implicit-def: $vgpr20
	s_and_saveexec_b64 s[28:29], vcc
	s_xor_b64 s[34:35], exec, s[28:29]
	s_cbranch_execz .LBB6_16167
; %bb.16150:                            ;   in Loop: Header=BB6_14596 Depth=3
	v_and_b32_e32 v16, 0x7fffffff, v4
	v_mov_b32_e32 v17, v51
	v_cmp_gt_u64_e32 vcc, s[78:79], v[16:17]
	v_and_b32_sdwa v2, v4, s96 dst_sel:DWORD dst_unused:UNUSED_PAD src0_sel:BYTE_3 src1_sel:DWORD
                                        ; implicit-def: $vgpr20
	s_and_saveexec_b64 s[28:29], vcc
	s_xor_b64 s[36:37], exec, s[28:29]
	s_cbranch_execz .LBB6_16164
; %bb.16151:                            ;   in Loop: Header=BB6_14596 Depth=3
	v_cmp_ne_u32_e32 vcc, 0, v4
	v_mov_b32_e32 v20, 0
	s_and_saveexec_b64 s[38:39], vcc
	s_cbranch_execz .LBB6_16163
; %bb.16152:                            ;   in Loop: Header=BB6_14596 Depth=3
	v_bfe_u32 v20, v4, 23, 8
	v_and_b32_e32 v5, 0x7fffff, v4
	v_cmp_gt_u32_e64 s[28:29], s97, v20
	v_sub_u32_e32 v4, 0x79, v20
	v_cmp_eq_u32_e32 vcc, 0, v20
	v_cndmask_b32_e64 v4, 0, v4, s[28:29]
	v_mov_b32_e32 v17, 0x78
	v_or_b32_e32 v16, 0x800000, v5
	v_cndmask_b32_e32 v21, v4, v17, vcc
	v_cndmask_b32_e32 v4, v16, v5, vcc
	v_add_u32_e32 v16, 20, v21
	v_lshlrev_b64 v[16:17], v16, -1
	v_add_u32_e32 v22, 19, v21
	v_lshlrev_b64 v[22:23], v22, 1
	v_mov_b32_e32 v5, v51
	v_bfi_b32 v17, v17, 0, 0
	v_bfi_b32 v16, v16, 0, v4
	v_cmp_eq_u64_e64 s[28:29], v[16:17], v[22:23]
	v_lshrrev_b64 v[16:17], v21, v[4:5]
	v_mov_b32_e32 v4, v16
	v_mov_b32_e32 v5, v17
	s_and_saveexec_b64 s[48:49], s[28:29]
; %bb.16153:                            ;   in Loop: Header=BB6_14596 Depth=3
	v_bfe_u32 v4, v16, 20, 1
	v_add_co_u32_e64 v4, s[28:29], v16, v4
	v_add_co_u32_e64 v4, s[28:29], -1, v4
; %bb.16154:                            ;   in Loop: Header=BB6_14596 Depth=3
	s_or_b64 exec, exec, s[48:49]
	v_add_u32_e32 v5, 0xffffff81, v20
	v_mov_b32_e32 v17, 0xffffff82
	v_cndmask_b32_e32 v5, v5, v17, vcc
	v_lshrrev_b32_e32 v17, 23, v16
	v_add3_u32 v20, v21, v5, v17
	v_add_u32_e32 v5, 6, v20
	v_and_b32_e32 v4, 0xfffff, v4
	v_add_u32_e32 v16, v4, v16
	v_mov_b32_e32 v17, v51
	v_cmp_ne_u32_e32 vcc, 0, v5
                                        ; implicit-def: $vgpr4
	s_and_saveexec_b64 s[28:29], vcc
	s_xor_b64 s[28:29], exec, s[28:29]
; %bb.16155:                            ;   in Loop: Header=BB6_14596 Depth=3
	v_cmp_lt_u64_e32 vcc, s[88:89], v[16:17]
	v_add_u32_e32 v4, 7, v20
	v_cndmask_b32_e32 v4, v5, v4, vcc
	v_cndmask_b32_e64 v5, 0, 1, vcc
	v_lshrrev_b64 v[16:17], v5, v[16:17]
; %bb.16156:                            ;   in Loop: Header=BB6_14596 Depth=3
	s_andn2_saveexec_b64 s[28:29], s[28:29]
; %bb.16157:                            ;   in Loop: Header=BB6_14596 Depth=3
	v_bfe_u32 v4, v16, 23, 1
; %bb.16158:                            ;   in Loop: Header=BB6_14596 Depth=3
	s_or_b64 exec, exec, s[28:29]
	v_lshrrev_b64 v[16:17], 20, v[16:17]
	v_cmp_gt_i32_e32 vcc, 16, v4
	v_cndmask_b32_e32 v17, 0, v17, vcc
	v_cndmask_b32_e32 v16, 7, v16, vcc
	v_cmp_ne_u64_e32 vcc, 0, v[16:17]
	v_cmp_ne_u32_e64 s[28:29], 0, v4
	s_or_b64 s[28:29], s[28:29], vcc
                                        ; implicit-def: $vgpr20
	s_and_saveexec_b64 vcc, s[28:29]
	s_xor_b64 s[28:29], exec, vcc
; %bb.16159:                            ;   in Loop: Header=BB6_14596 Depth=3
	v_min_i32_e32 v4, 15, v4
	v_lshl_or_b32 v2, v4, 3, v2
	v_and_or_b32 v20, v16, 7, v2
                                        ; implicit-def: $vgpr2
; %bb.16160:                            ;   in Loop: Header=BB6_14596 Depth=3
	s_andn2_saveexec_b64 s[28:29], s[28:29]
; %bb.16161:                            ;   in Loop: Header=BB6_14596 Depth=3
	v_mov_b32_e32 v20, v2
; %bb.16162:                            ;   in Loop: Header=BB6_14596 Depth=3
	s_or_b64 exec, exec, s[28:29]
.LBB6_16163:                            ;   in Loop: Header=BB6_14596 Depth=3
	s_or_b64 exec, exec, s[38:39]
                                        ; implicit-def: $vgpr2
.LBB6_16164:                            ;   in Loop: Header=BB6_14596 Depth=3
	s_andn2_saveexec_b64 s[28:29], s[36:37]
; %bb.16165:                            ;   in Loop: Header=BB6_14596 Depth=3
	v_or_b32_e32 v20, 0x7e, v2
; %bb.16166:                            ;   in Loop: Header=BB6_14596 Depth=3
	s_or_b64 exec, exec, s[28:29]
                                        ; implicit-def: $vgpr4
.LBB6_16167:                            ;   in Loop: Header=BB6_14596 Depth=3
	s_andn2_saveexec_b64 s[28:29], s[34:35]
; %bb.16168:                            ;   in Loop: Header=BB6_14596 Depth=3
	v_or_b32_sdwa v20, v4, s86 dst_sel:DWORD dst_unused:UNUSED_PAD src0_sel:BYTE_3 src1_sel:DWORD
; %bb.16169:                            ;   in Loop: Header=BB6_14596 Depth=3
	s_or_b64 exec, exec, s[28:29]
	buffer_load_dword v2, off, s[0:3], s33 offset:124 ; 4-byte Folded Reload
	v_mov_b32_e32 v4, 0
	s_waitcnt vmcnt(0)
	v_and_b32_e32 v16, 0xff, v2
	v_cmp_ne_u16_e32 vcc, 0, v16
	v_mov_b32_e32 v2, 0
	s_and_saveexec_b64 s[28:29], vcc
	s_cbranch_execz .LBB6_16175
; %bb.16170:                            ;   in Loop: Header=BB6_14596 Depth=3
	v_cmp_ne_u16_e32 vcc, s96, v16
	v_bfrev_b32_e32 v4, 1
	s_and_saveexec_b64 s[34:35], vcc
	s_cbranch_execz .LBB6_16174
; %bb.16171:                            ;   in Loop: Header=BB6_14596 Depth=3
	buffer_load_dword v23, off, s[0:3], s33 offset:124 ; 4-byte Folded Reload
	v_mov_b32_e32 v4, 0x7f800001
	s_waitcnt vmcnt(0)
	v_and_b32_e32 v5, 0x7f, v23
	v_cmp_ne_u32_e32 vcc, s86, v5
	s_and_saveexec_b64 s[36:37], vcc
	s_cbranch_execz .LBB6_16173
; %bb.16172:                            ;   in Loop: Header=BB6_14596 Depth=3
	v_and_b32_e32 v17, 7, v16
	v_ffbh_u32_e32 v4, v17
	v_min_u32_e32 v22, 32, v4
	v_subrev_u32_e32 v4, 28, v22
	v_lshrrev_b32_e32 v21, 3, v5
	v_cmp_gt_u32_e32 vcc, 8, v5
	v_lshlrev_b64 v[4:5], v4, v[16:17]
	v_sub_u32_e32 v5, 29, v22
	v_and_b32_e32 v4, 7, v4
	v_cndmask_b32_e32 v5, v21, v5, vcc
	v_cndmask_b32_e32 v4, v17, v4, vcc
	v_lshlrev_b32_e32 v16, 24, v23
	v_bfrev_b32_e32 v17, 60
	v_lshlrev_b32_e32 v4, 20, v4
	v_and_b32_e32 v16, 0x80000000, v16
	v_lshl_add_u32 v5, v5, 23, v17
	v_or3_b32 v4, v16, v5, v4
.LBB6_16173:                            ;   in Loop: Header=BB6_14596 Depth=3
	s_or_b64 exec, exec, s[36:37]
.LBB6_16174:                            ;   in Loop: Header=BB6_14596 Depth=3
	s_or_b64 exec, exec, s[34:35]
.LBB6_16175:                            ;   in Loop: Header=BB6_14596 Depth=3
	s_or_b64 exec, exec, s[28:29]
	v_and_b32_e32 v16, 0xff, v59
	v_cmp_ne_u16_e32 vcc, 0, v16
	s_and_saveexec_b64 s[28:29], vcc
	s_cbranch_execz .LBB6_16181
; %bb.16176:                            ;   in Loop: Header=BB6_14596 Depth=3
	v_cmp_ne_u16_e32 vcc, s96, v16
	v_bfrev_b32_e32 v2, 1
	s_and_saveexec_b64 s[34:35], vcc
	s_cbranch_execz .LBB6_16180
; %bb.16177:                            ;   in Loop: Header=BB6_14596 Depth=3
	v_and_b32_e32 v5, 0x7f, v59
	v_cmp_ne_u32_e32 vcc, s86, v5
	v_mov_b32_e32 v2, 0x7f800001
	s_and_saveexec_b64 s[36:37], vcc
	s_cbranch_execz .LBB6_16179
; %bb.16178:                            ;   in Loop: Header=BB6_14596 Depth=3
	v_and_b32_e32 v2, 7, v16
	v_lshrrev_b32_e32 v21, 3, v5
	v_cmp_gt_u32_e32 vcc, 8, v5
	v_ffbh_u32_e32 v5, v2
	v_min_u32_e32 v5, 32, v5
	v_subrev_u32_e32 v17, 28, v5
	v_lshlrev_b64 v[16:17], v17, v[16:17]
	v_sub_u32_e32 v5, 29, v5
	v_and_b32_e32 v16, 7, v16
	v_cndmask_b32_e32 v5, v21, v5, vcc
	v_cndmask_b32_e32 v2, v2, v16, vcc
	v_lshlrev_b32_e32 v16, 24, v59
	v_bfrev_b32_e32 v17, 60
	v_lshlrev_b32_e32 v2, 20, v2
	v_and_b32_e32 v16, 0x80000000, v16
	v_lshl_add_u32 v5, v5, 23, v17
	v_or3_b32 v2, v16, v5, v2
.LBB6_16179:                            ;   in Loop: Header=BB6_14596 Depth=3
	s_or_b64 exec, exec, s[36:37]
.LBB6_16180:                            ;   in Loop: Header=BB6_14596 Depth=3
	s_or_b64 exec, exec, s[34:35]
.LBB6_16181:                            ;   in Loop: Header=BB6_14596 Depth=3
	s_or_b64 exec, exec, s[28:29]
	v_add_f32_e32 v4, v4, v2
	v_and_b32_e32 v16, 0x7f800000, v4
	v_mov_b32_e32 v17, v51
	v_cmp_ne_u64_e32 vcc, s[76:77], v[16:17]
                                        ; implicit-def: $vgpr21
	s_and_saveexec_b64 s[28:29], vcc
	s_xor_b64 s[34:35], exec, s[28:29]
	s_cbranch_execz .LBB6_16199
; %bb.16182:                            ;   in Loop: Header=BB6_14596 Depth=3
	v_and_b32_e32 v16, 0x7fffffff, v4
	v_mov_b32_e32 v17, v51
	v_cmp_gt_u64_e32 vcc, s[78:79], v[16:17]
	v_and_b32_sdwa v2, v4, s96 dst_sel:DWORD dst_unused:UNUSED_PAD src0_sel:BYTE_3 src1_sel:DWORD
                                        ; implicit-def: $vgpr21
	s_and_saveexec_b64 s[28:29], vcc
	s_xor_b64 s[36:37], exec, s[28:29]
	s_cbranch_execz .LBB6_16196
; %bb.16183:                            ;   in Loop: Header=BB6_14596 Depth=3
	v_cmp_ne_u32_e32 vcc, 0, v4
	v_mov_b32_e32 v21, 0
	s_and_saveexec_b64 s[38:39], vcc
	s_cbranch_execz .LBB6_16195
; %bb.16184:                            ;   in Loop: Header=BB6_14596 Depth=3
	v_bfe_u32 v21, v4, 23, 8
	v_and_b32_e32 v5, 0x7fffff, v4
	v_cmp_gt_u32_e64 s[28:29], s97, v21
	v_sub_u32_e32 v4, 0x79, v21
	v_cmp_eq_u32_e32 vcc, 0, v21
	v_cndmask_b32_e64 v4, 0, v4, s[28:29]
	v_mov_b32_e32 v17, 0x78
	v_or_b32_e32 v16, 0x800000, v5
	v_cndmask_b32_e32 v22, v4, v17, vcc
	v_cndmask_b32_e32 v4, v16, v5, vcc
	v_add_u32_e32 v16, 20, v22
	v_lshlrev_b64 v[16:17], v16, -1
	v_add_u32_e32 v23, 19, v22
	v_lshlrev_b64 v[23:24], v23, 1
	v_mov_b32_e32 v5, v51
	v_bfi_b32 v17, v17, 0, 0
	v_bfi_b32 v16, v16, 0, v4
	v_cmp_eq_u64_e64 s[28:29], v[16:17], v[23:24]
	v_lshrrev_b64 v[16:17], v22, v[4:5]
	v_mov_b32_e32 v4, v16
	v_mov_b32_e32 v5, v17
	s_and_saveexec_b64 s[48:49], s[28:29]
; %bb.16185:                            ;   in Loop: Header=BB6_14596 Depth=3
	v_bfe_u32 v4, v16, 20, 1
	v_add_co_u32_e64 v4, s[28:29], v16, v4
	v_add_co_u32_e64 v4, s[28:29], -1, v4
; %bb.16186:                            ;   in Loop: Header=BB6_14596 Depth=3
	s_or_b64 exec, exec, s[48:49]
	v_add_u32_e32 v5, 0xffffff81, v21
	v_mov_b32_e32 v17, 0xffffff82
	v_cndmask_b32_e32 v5, v5, v17, vcc
	v_lshrrev_b32_e32 v17, 23, v16
	v_add3_u32 v21, v22, v5, v17
	v_add_u32_e32 v5, 6, v21
	v_and_b32_e32 v4, 0xfffff, v4
	v_add_u32_e32 v16, v4, v16
	v_mov_b32_e32 v17, v51
	v_cmp_ne_u32_e32 vcc, 0, v5
                                        ; implicit-def: $vgpr4
	s_and_saveexec_b64 s[28:29], vcc
	s_xor_b64 s[28:29], exec, s[28:29]
; %bb.16187:                            ;   in Loop: Header=BB6_14596 Depth=3
	v_cmp_lt_u64_e32 vcc, s[88:89], v[16:17]
	v_add_u32_e32 v4, 7, v21
	v_cndmask_b32_e32 v4, v5, v4, vcc
	v_cndmask_b32_e64 v5, 0, 1, vcc
	v_lshrrev_b64 v[16:17], v5, v[16:17]
; %bb.16188:                            ;   in Loop: Header=BB6_14596 Depth=3
	s_andn2_saveexec_b64 s[28:29], s[28:29]
; %bb.16189:                            ;   in Loop: Header=BB6_14596 Depth=3
	v_bfe_u32 v4, v16, 23, 1
; %bb.16190:                            ;   in Loop: Header=BB6_14596 Depth=3
	s_or_b64 exec, exec, s[28:29]
	v_lshrrev_b64 v[16:17], 20, v[16:17]
	v_cmp_gt_i32_e32 vcc, 16, v4
	v_cndmask_b32_e32 v17, 0, v17, vcc
	v_cndmask_b32_e32 v16, 7, v16, vcc
	v_cmp_ne_u64_e32 vcc, 0, v[16:17]
	v_cmp_ne_u32_e64 s[28:29], 0, v4
	s_or_b64 s[28:29], s[28:29], vcc
                                        ; implicit-def: $vgpr21
	s_and_saveexec_b64 vcc, s[28:29]
	s_xor_b64 s[28:29], exec, vcc
; %bb.16191:                            ;   in Loop: Header=BB6_14596 Depth=3
	v_min_i32_e32 v4, 15, v4
	v_lshl_or_b32 v2, v4, 3, v2
	v_and_or_b32 v21, v16, 7, v2
                                        ; implicit-def: $vgpr2
; %bb.16192:                            ;   in Loop: Header=BB6_14596 Depth=3
	s_andn2_saveexec_b64 s[28:29], s[28:29]
; %bb.16193:                            ;   in Loop: Header=BB6_14596 Depth=3
	v_mov_b32_e32 v21, v2
; %bb.16194:                            ;   in Loop: Header=BB6_14596 Depth=3
	s_or_b64 exec, exec, s[28:29]
.LBB6_16195:                            ;   in Loop: Header=BB6_14596 Depth=3
	s_or_b64 exec, exec, s[38:39]
                                        ; implicit-def: $vgpr2
.LBB6_16196:                            ;   in Loop: Header=BB6_14596 Depth=3
	s_andn2_saveexec_b64 s[28:29], s[36:37]
; %bb.16197:                            ;   in Loop: Header=BB6_14596 Depth=3
	v_or_b32_e32 v21, 0x7e, v2
; %bb.16198:                            ;   in Loop: Header=BB6_14596 Depth=3
	s_or_b64 exec, exec, s[28:29]
                                        ; implicit-def: $vgpr4
.LBB6_16199:                            ;   in Loop: Header=BB6_14596 Depth=3
	s_andn2_saveexec_b64 s[28:29], s[34:35]
; %bb.16200:                            ;   in Loop: Header=BB6_14596 Depth=3
	v_or_b32_sdwa v21, v4, s86 dst_sel:DWORD dst_unused:UNUSED_PAD src0_sel:BYTE_3 src1_sel:DWORD
; %bb.16201:                            ;   in Loop: Header=BB6_14596 Depth=3
	s_or_b64 exec, exec, s[28:29]
	buffer_load_dword v2, off, s[0:3], s33 offset:120 ; 4-byte Folded Reload
	v_mov_b32_e32 v4, 0
	s_waitcnt vmcnt(0)
	v_and_b32_e32 v16, 0xff, v2
	v_cmp_ne_u16_e32 vcc, 0, v16
	v_mov_b32_e32 v2, 0
	s_and_saveexec_b64 s[28:29], vcc
	s_cbranch_execz .LBB6_16207
; %bb.16202:                            ;   in Loop: Header=BB6_14596 Depth=3
	v_cmp_ne_u16_e32 vcc, s96, v16
	v_bfrev_b32_e32 v4, 1
	s_and_saveexec_b64 s[34:35], vcc
	s_cbranch_execz .LBB6_16206
; %bb.16203:                            ;   in Loop: Header=BB6_14596 Depth=3
	buffer_load_dword v24, off, s[0:3], s33 offset:120 ; 4-byte Folded Reload
	v_mov_b32_e32 v4, 0x7f800001
	s_waitcnt vmcnt(0)
	v_and_b32_e32 v5, 0x7f, v24
	v_cmp_ne_u32_e32 vcc, s86, v5
	s_and_saveexec_b64 s[36:37], vcc
	s_cbranch_execz .LBB6_16205
; %bb.16204:                            ;   in Loop: Header=BB6_14596 Depth=3
	v_and_b32_e32 v17, 7, v16
	v_ffbh_u32_e32 v4, v17
	v_min_u32_e32 v23, 32, v4
	v_subrev_u32_e32 v4, 28, v23
	v_lshrrev_b32_e32 v22, 3, v5
	v_cmp_gt_u32_e32 vcc, 8, v5
	v_lshlrev_b64 v[4:5], v4, v[16:17]
	v_sub_u32_e32 v5, 29, v23
	v_and_b32_e32 v4, 7, v4
	v_cndmask_b32_e32 v5, v22, v5, vcc
	v_cndmask_b32_e32 v4, v17, v4, vcc
	v_lshlrev_b32_e32 v16, 24, v24
	v_bfrev_b32_e32 v17, 60
	v_lshlrev_b32_e32 v4, 20, v4
	v_and_b32_e32 v16, 0x80000000, v16
	v_lshl_add_u32 v5, v5, 23, v17
	v_or3_b32 v4, v16, v5, v4
.LBB6_16205:                            ;   in Loop: Header=BB6_14596 Depth=3
	s_or_b64 exec, exec, s[36:37]
.LBB6_16206:                            ;   in Loop: Header=BB6_14596 Depth=3
	s_or_b64 exec, exec, s[34:35]
.LBB6_16207:                            ;   in Loop: Header=BB6_14596 Depth=3
	s_or_b64 exec, exec, s[28:29]
	v_and_b32_e32 v16, 0xff, v58
	v_cmp_ne_u16_e32 vcc, 0, v16
	s_and_saveexec_b64 s[28:29], vcc
	s_cbranch_execz .LBB6_16213
; %bb.16208:                            ;   in Loop: Header=BB6_14596 Depth=3
	v_cmp_ne_u16_e32 vcc, s96, v16
	v_bfrev_b32_e32 v2, 1
	s_and_saveexec_b64 s[34:35], vcc
	s_cbranch_execz .LBB6_16212
; %bb.16209:                            ;   in Loop: Header=BB6_14596 Depth=3
	v_and_b32_e32 v5, 0x7f, v58
	v_cmp_ne_u32_e32 vcc, s86, v5
	v_mov_b32_e32 v2, 0x7f800001
	s_and_saveexec_b64 s[36:37], vcc
	s_cbranch_execz .LBB6_16211
; %bb.16210:                            ;   in Loop: Header=BB6_14596 Depth=3
	v_and_b32_e32 v2, 7, v16
	v_lshrrev_b32_e32 v22, 3, v5
	v_cmp_gt_u32_e32 vcc, 8, v5
	v_ffbh_u32_e32 v5, v2
	v_min_u32_e32 v5, 32, v5
	v_subrev_u32_e32 v17, 28, v5
	v_lshlrev_b64 v[16:17], v17, v[16:17]
	v_sub_u32_e32 v5, 29, v5
	v_and_b32_e32 v16, 7, v16
	v_cndmask_b32_e32 v5, v22, v5, vcc
	v_cndmask_b32_e32 v2, v2, v16, vcc
	v_lshlrev_b32_e32 v16, 24, v58
	v_bfrev_b32_e32 v17, 60
	v_lshlrev_b32_e32 v2, 20, v2
	v_and_b32_e32 v16, 0x80000000, v16
	v_lshl_add_u32 v5, v5, 23, v17
	v_or3_b32 v2, v16, v5, v2
.LBB6_16211:                            ;   in Loop: Header=BB6_14596 Depth=3
	s_or_b64 exec, exec, s[36:37]
.LBB6_16212:                            ;   in Loop: Header=BB6_14596 Depth=3
	s_or_b64 exec, exec, s[34:35]
.LBB6_16213:                            ;   in Loop: Header=BB6_14596 Depth=3
	s_or_b64 exec, exec, s[28:29]
	v_add_f32_e32 v4, v4, v2
	v_and_b32_e32 v16, 0x7f800000, v4
	v_mov_b32_e32 v17, v51
	v_cmp_ne_u64_e32 vcc, s[76:77], v[16:17]
                                        ; implicit-def: $vgpr22
	s_and_saveexec_b64 s[28:29], vcc
	s_xor_b64 s[34:35], exec, s[28:29]
	s_cbranch_execz .LBB6_16231
; %bb.16214:                            ;   in Loop: Header=BB6_14596 Depth=3
	v_and_b32_e32 v16, 0x7fffffff, v4
	v_mov_b32_e32 v17, v51
	v_cmp_gt_u64_e32 vcc, s[78:79], v[16:17]
	v_and_b32_sdwa v2, v4, s96 dst_sel:DWORD dst_unused:UNUSED_PAD src0_sel:BYTE_3 src1_sel:DWORD
                                        ; implicit-def: $vgpr22
	s_and_saveexec_b64 s[28:29], vcc
	s_xor_b64 s[36:37], exec, s[28:29]
	s_cbranch_execz .LBB6_16228
; %bb.16215:                            ;   in Loop: Header=BB6_14596 Depth=3
	v_cmp_ne_u32_e32 vcc, 0, v4
	v_mov_b32_e32 v22, 0
	s_and_saveexec_b64 s[38:39], vcc
	s_cbranch_execz .LBB6_16227
; %bb.16216:                            ;   in Loop: Header=BB6_14596 Depth=3
	v_bfe_u32 v22, v4, 23, 8
	v_and_b32_e32 v5, 0x7fffff, v4
	v_cmp_gt_u32_e64 s[28:29], s97, v22
	v_sub_u32_e32 v4, 0x79, v22
	v_cmp_eq_u32_e32 vcc, 0, v22
	v_cndmask_b32_e64 v4, 0, v4, s[28:29]
	v_mov_b32_e32 v17, 0x78
	v_or_b32_e32 v16, 0x800000, v5
	v_cndmask_b32_e32 v23, v4, v17, vcc
	v_cndmask_b32_e32 v4, v16, v5, vcc
	v_add_u32_e32 v16, 20, v23
	v_lshlrev_b64 v[16:17], v16, -1
	v_add_u32_e32 v24, 19, v23
	v_lshlrev_b64 v[24:25], v24, 1
	v_mov_b32_e32 v5, v51
	v_bfi_b32 v17, v17, 0, 0
	v_bfi_b32 v16, v16, 0, v4
	v_cmp_eq_u64_e64 s[28:29], v[16:17], v[24:25]
	v_lshrrev_b64 v[16:17], v23, v[4:5]
	v_mov_b32_e32 v4, v16
	v_mov_b32_e32 v5, v17
	s_and_saveexec_b64 s[48:49], s[28:29]
; %bb.16217:                            ;   in Loop: Header=BB6_14596 Depth=3
	v_bfe_u32 v4, v16, 20, 1
	v_add_co_u32_e64 v4, s[28:29], v16, v4
	v_add_co_u32_e64 v4, s[28:29], -1, v4
; %bb.16218:                            ;   in Loop: Header=BB6_14596 Depth=3
	s_or_b64 exec, exec, s[48:49]
	v_add_u32_e32 v5, 0xffffff81, v22
	v_mov_b32_e32 v17, 0xffffff82
	v_cndmask_b32_e32 v5, v5, v17, vcc
	v_lshrrev_b32_e32 v17, 23, v16
	v_add3_u32 v22, v23, v5, v17
	v_add_u32_e32 v5, 6, v22
	v_and_b32_e32 v4, 0xfffff, v4
	v_add_u32_e32 v16, v4, v16
	v_mov_b32_e32 v17, v51
	v_cmp_ne_u32_e32 vcc, 0, v5
                                        ; implicit-def: $vgpr4
	s_and_saveexec_b64 s[28:29], vcc
	s_xor_b64 s[28:29], exec, s[28:29]
; %bb.16219:                            ;   in Loop: Header=BB6_14596 Depth=3
	v_cmp_lt_u64_e32 vcc, s[88:89], v[16:17]
	v_add_u32_e32 v4, 7, v22
	v_cndmask_b32_e32 v4, v5, v4, vcc
	v_cndmask_b32_e64 v5, 0, 1, vcc
	v_lshrrev_b64 v[16:17], v5, v[16:17]
; %bb.16220:                            ;   in Loop: Header=BB6_14596 Depth=3
	s_andn2_saveexec_b64 s[28:29], s[28:29]
; %bb.16221:                            ;   in Loop: Header=BB6_14596 Depth=3
	v_bfe_u32 v4, v16, 23, 1
; %bb.16222:                            ;   in Loop: Header=BB6_14596 Depth=3
	s_or_b64 exec, exec, s[28:29]
	v_lshrrev_b64 v[16:17], 20, v[16:17]
	v_cmp_gt_i32_e32 vcc, 16, v4
	v_cndmask_b32_e32 v17, 0, v17, vcc
	v_cndmask_b32_e32 v16, 7, v16, vcc
	v_cmp_ne_u64_e32 vcc, 0, v[16:17]
	v_cmp_ne_u32_e64 s[28:29], 0, v4
	s_or_b64 s[28:29], s[28:29], vcc
                                        ; implicit-def: $vgpr22
	s_and_saveexec_b64 vcc, s[28:29]
	s_xor_b64 s[28:29], exec, vcc
; %bb.16223:                            ;   in Loop: Header=BB6_14596 Depth=3
	v_min_i32_e32 v4, 15, v4
	v_lshl_or_b32 v2, v4, 3, v2
	v_and_or_b32 v22, v16, 7, v2
                                        ; implicit-def: $vgpr2
; %bb.16224:                            ;   in Loop: Header=BB6_14596 Depth=3
	s_andn2_saveexec_b64 s[28:29], s[28:29]
; %bb.16225:                            ;   in Loop: Header=BB6_14596 Depth=3
	v_mov_b32_e32 v22, v2
; %bb.16226:                            ;   in Loop: Header=BB6_14596 Depth=3
	s_or_b64 exec, exec, s[28:29]
.LBB6_16227:                            ;   in Loop: Header=BB6_14596 Depth=3
	s_or_b64 exec, exec, s[38:39]
                                        ; implicit-def: $vgpr2
.LBB6_16228:                            ;   in Loop: Header=BB6_14596 Depth=3
	s_andn2_saveexec_b64 s[28:29], s[36:37]
; %bb.16229:                            ;   in Loop: Header=BB6_14596 Depth=3
	v_or_b32_e32 v22, 0x7e, v2
; %bb.16230:                            ;   in Loop: Header=BB6_14596 Depth=3
	s_or_b64 exec, exec, s[28:29]
                                        ; implicit-def: $vgpr4
.LBB6_16231:                            ;   in Loop: Header=BB6_14596 Depth=3
	s_andn2_saveexec_b64 s[28:29], s[34:35]
; %bb.16232:                            ;   in Loop: Header=BB6_14596 Depth=3
	v_or_b32_sdwa v22, v4, s86 dst_sel:DWORD dst_unused:UNUSED_PAD src0_sel:BYTE_3 src1_sel:DWORD
; %bb.16233:                            ;   in Loop: Header=BB6_14596 Depth=3
	s_or_b64 exec, exec, s[28:29]
	buffer_load_dword v2, off, s[0:3], s33 offset:116 ; 4-byte Folded Reload
	v_mov_b32_e32 v4, 0
	s_waitcnt vmcnt(0)
	v_and_b32_e32 v16, 0xff, v2
	v_cmp_ne_u16_e32 vcc, 0, v16
	v_mov_b32_e32 v2, 0
	s_and_saveexec_b64 s[28:29], vcc
	s_cbranch_execz .LBB6_16239
; %bb.16234:                            ;   in Loop: Header=BB6_14596 Depth=3
	v_cmp_ne_u16_e32 vcc, s96, v16
	v_bfrev_b32_e32 v4, 1
	s_and_saveexec_b64 s[34:35], vcc
	s_cbranch_execz .LBB6_16238
; %bb.16235:                            ;   in Loop: Header=BB6_14596 Depth=3
	buffer_load_dword v25, off, s[0:3], s33 offset:116 ; 4-byte Folded Reload
	v_mov_b32_e32 v4, 0x7f800001
	s_waitcnt vmcnt(0)
	v_and_b32_e32 v5, 0x7f, v25
	v_cmp_ne_u32_e32 vcc, s86, v5
	s_and_saveexec_b64 s[36:37], vcc
	s_cbranch_execz .LBB6_16237
; %bb.16236:                            ;   in Loop: Header=BB6_14596 Depth=3
	v_and_b32_e32 v17, 7, v16
	v_ffbh_u32_e32 v4, v17
	v_min_u32_e32 v24, 32, v4
	v_subrev_u32_e32 v4, 28, v24
	v_lshrrev_b32_e32 v23, 3, v5
	v_cmp_gt_u32_e32 vcc, 8, v5
	v_lshlrev_b64 v[4:5], v4, v[16:17]
	v_sub_u32_e32 v5, 29, v24
	v_and_b32_e32 v4, 7, v4
	v_cndmask_b32_e32 v5, v23, v5, vcc
	v_cndmask_b32_e32 v4, v17, v4, vcc
	v_lshlrev_b32_e32 v16, 24, v25
	v_bfrev_b32_e32 v17, 60
	v_lshlrev_b32_e32 v4, 20, v4
	v_and_b32_e32 v16, 0x80000000, v16
	v_lshl_add_u32 v5, v5, 23, v17
	v_or3_b32 v4, v16, v5, v4
.LBB6_16237:                            ;   in Loop: Header=BB6_14596 Depth=3
	s_or_b64 exec, exec, s[36:37]
.LBB6_16238:                            ;   in Loop: Header=BB6_14596 Depth=3
	s_or_b64 exec, exec, s[34:35]
.LBB6_16239:                            ;   in Loop: Header=BB6_14596 Depth=3
	s_or_b64 exec, exec, s[28:29]
	v_and_b32_e32 v16, 0xff, v57
	v_cmp_ne_u16_e32 vcc, 0, v16
	s_and_saveexec_b64 s[28:29], vcc
	s_cbranch_execz .LBB6_16245
; %bb.16240:                            ;   in Loop: Header=BB6_14596 Depth=3
	v_cmp_ne_u16_e32 vcc, s96, v16
	v_bfrev_b32_e32 v2, 1
	s_and_saveexec_b64 s[34:35], vcc
	s_cbranch_execz .LBB6_16244
; %bb.16241:                            ;   in Loop: Header=BB6_14596 Depth=3
	v_and_b32_e32 v5, 0x7f, v57
	v_cmp_ne_u32_e32 vcc, s86, v5
	v_mov_b32_e32 v2, 0x7f800001
	s_and_saveexec_b64 s[36:37], vcc
	s_cbranch_execz .LBB6_16243
; %bb.16242:                            ;   in Loop: Header=BB6_14596 Depth=3
	v_and_b32_e32 v2, 7, v16
	v_lshrrev_b32_e32 v23, 3, v5
	v_cmp_gt_u32_e32 vcc, 8, v5
	v_ffbh_u32_e32 v5, v2
	v_min_u32_e32 v5, 32, v5
	v_subrev_u32_e32 v17, 28, v5
	v_lshlrev_b64 v[16:17], v17, v[16:17]
	v_sub_u32_e32 v5, 29, v5
	v_and_b32_e32 v16, 7, v16
	v_cndmask_b32_e32 v5, v23, v5, vcc
	v_cndmask_b32_e32 v2, v2, v16, vcc
	v_lshlrev_b32_e32 v16, 24, v57
	v_bfrev_b32_e32 v17, 60
	v_lshlrev_b32_e32 v2, 20, v2
	v_and_b32_e32 v16, 0x80000000, v16
	v_lshl_add_u32 v5, v5, 23, v17
	v_or3_b32 v2, v16, v5, v2
.LBB6_16243:                            ;   in Loop: Header=BB6_14596 Depth=3
	s_or_b64 exec, exec, s[36:37]
.LBB6_16244:                            ;   in Loop: Header=BB6_14596 Depth=3
	s_or_b64 exec, exec, s[34:35]
.LBB6_16245:                            ;   in Loop: Header=BB6_14596 Depth=3
	s_or_b64 exec, exec, s[28:29]
	v_add_f32_e32 v4, v4, v2
	v_and_b32_e32 v16, 0x7f800000, v4
	v_mov_b32_e32 v17, v51
	v_cmp_ne_u64_e32 vcc, s[76:77], v[16:17]
                                        ; implicit-def: $vgpr23
	s_and_saveexec_b64 s[28:29], vcc
	s_xor_b64 s[34:35], exec, s[28:29]
	s_cbranch_execz .LBB6_16263
; %bb.16246:                            ;   in Loop: Header=BB6_14596 Depth=3
	v_and_b32_e32 v16, 0x7fffffff, v4
	v_mov_b32_e32 v17, v51
	v_cmp_gt_u64_e32 vcc, s[78:79], v[16:17]
	v_and_b32_sdwa v2, v4, s96 dst_sel:DWORD dst_unused:UNUSED_PAD src0_sel:BYTE_3 src1_sel:DWORD
                                        ; implicit-def: $vgpr23
	s_and_saveexec_b64 s[28:29], vcc
	s_xor_b64 s[36:37], exec, s[28:29]
	s_cbranch_execz .LBB6_16260
; %bb.16247:                            ;   in Loop: Header=BB6_14596 Depth=3
	v_cmp_ne_u32_e32 vcc, 0, v4
	v_mov_b32_e32 v23, 0
	s_and_saveexec_b64 s[38:39], vcc
	s_cbranch_execz .LBB6_16259
; %bb.16248:                            ;   in Loop: Header=BB6_14596 Depth=3
	v_bfe_u32 v23, v4, 23, 8
	v_and_b32_e32 v5, 0x7fffff, v4
	v_cmp_gt_u32_e64 s[28:29], s97, v23
	v_sub_u32_e32 v4, 0x79, v23
	v_cmp_eq_u32_e32 vcc, 0, v23
	v_cndmask_b32_e64 v4, 0, v4, s[28:29]
	v_mov_b32_e32 v17, 0x78
	v_or_b32_e32 v16, 0x800000, v5
	v_cndmask_b32_e32 v24, v4, v17, vcc
	v_cndmask_b32_e32 v4, v16, v5, vcc
	v_add_u32_e32 v16, 20, v24
	v_lshlrev_b64 v[16:17], v16, -1
	v_add_u32_e32 v25, 19, v24
	v_lshlrev_b64 v[25:26], v25, 1
	v_mov_b32_e32 v5, v51
	v_bfi_b32 v17, v17, 0, 0
	v_bfi_b32 v16, v16, 0, v4
	v_cmp_eq_u64_e64 s[28:29], v[16:17], v[25:26]
	v_lshrrev_b64 v[16:17], v24, v[4:5]
	v_mov_b32_e32 v4, v16
	v_mov_b32_e32 v5, v17
	s_and_saveexec_b64 s[48:49], s[28:29]
; %bb.16249:                            ;   in Loop: Header=BB6_14596 Depth=3
	v_bfe_u32 v4, v16, 20, 1
	v_add_co_u32_e64 v4, s[28:29], v16, v4
	v_add_co_u32_e64 v4, s[28:29], -1, v4
; %bb.16250:                            ;   in Loop: Header=BB6_14596 Depth=3
	s_or_b64 exec, exec, s[48:49]
	v_add_u32_e32 v5, 0xffffff81, v23
	v_mov_b32_e32 v17, 0xffffff82
	v_cndmask_b32_e32 v5, v5, v17, vcc
	v_lshrrev_b32_e32 v17, 23, v16
	v_add3_u32 v23, v24, v5, v17
	v_add_u32_e32 v5, 6, v23
	v_and_b32_e32 v4, 0xfffff, v4
	v_add_u32_e32 v16, v4, v16
	v_mov_b32_e32 v17, v51
	v_cmp_ne_u32_e32 vcc, 0, v5
                                        ; implicit-def: $vgpr4
	s_and_saveexec_b64 s[28:29], vcc
	s_xor_b64 s[28:29], exec, s[28:29]
; %bb.16251:                            ;   in Loop: Header=BB6_14596 Depth=3
	v_cmp_lt_u64_e32 vcc, s[88:89], v[16:17]
	v_add_u32_e32 v4, 7, v23
	v_cndmask_b32_e32 v4, v5, v4, vcc
	v_cndmask_b32_e64 v5, 0, 1, vcc
	v_lshrrev_b64 v[16:17], v5, v[16:17]
; %bb.16252:                            ;   in Loop: Header=BB6_14596 Depth=3
	s_andn2_saveexec_b64 s[28:29], s[28:29]
; %bb.16253:                            ;   in Loop: Header=BB6_14596 Depth=3
	v_bfe_u32 v4, v16, 23, 1
; %bb.16254:                            ;   in Loop: Header=BB6_14596 Depth=3
	s_or_b64 exec, exec, s[28:29]
	v_lshrrev_b64 v[16:17], 20, v[16:17]
	v_cmp_gt_i32_e32 vcc, 16, v4
	v_cndmask_b32_e32 v17, 0, v17, vcc
	v_cndmask_b32_e32 v16, 7, v16, vcc
	v_cmp_ne_u64_e32 vcc, 0, v[16:17]
	v_cmp_ne_u32_e64 s[28:29], 0, v4
	s_or_b64 s[28:29], s[28:29], vcc
                                        ; implicit-def: $vgpr23
	s_and_saveexec_b64 vcc, s[28:29]
	s_xor_b64 s[28:29], exec, vcc
; %bb.16255:                            ;   in Loop: Header=BB6_14596 Depth=3
	v_min_i32_e32 v4, 15, v4
	v_lshl_or_b32 v2, v4, 3, v2
	v_and_or_b32 v23, v16, 7, v2
                                        ; implicit-def: $vgpr2
; %bb.16256:                            ;   in Loop: Header=BB6_14596 Depth=3
	s_andn2_saveexec_b64 s[28:29], s[28:29]
; %bb.16257:                            ;   in Loop: Header=BB6_14596 Depth=3
	v_mov_b32_e32 v23, v2
; %bb.16258:                            ;   in Loop: Header=BB6_14596 Depth=3
	s_or_b64 exec, exec, s[28:29]
.LBB6_16259:                            ;   in Loop: Header=BB6_14596 Depth=3
	s_or_b64 exec, exec, s[38:39]
                                        ; implicit-def: $vgpr2
.LBB6_16260:                            ;   in Loop: Header=BB6_14596 Depth=3
	s_andn2_saveexec_b64 s[28:29], s[36:37]
; %bb.16261:                            ;   in Loop: Header=BB6_14596 Depth=3
	v_or_b32_e32 v23, 0x7e, v2
; %bb.16262:                            ;   in Loop: Header=BB6_14596 Depth=3
	s_or_b64 exec, exec, s[28:29]
                                        ; implicit-def: $vgpr4
.LBB6_16263:                            ;   in Loop: Header=BB6_14596 Depth=3
	s_andn2_saveexec_b64 s[28:29], s[34:35]
; %bb.16264:                            ;   in Loop: Header=BB6_14596 Depth=3
	v_or_b32_sdwa v23, v4, s86 dst_sel:DWORD dst_unused:UNUSED_PAD src0_sel:BYTE_3 src1_sel:DWORD
; %bb.16265:                            ;   in Loop: Header=BB6_14596 Depth=3
	s_or_b64 exec, exec, s[28:29]
	buffer_load_dword v2, off, s[0:3], s33 offset:112 ; 4-byte Folded Reload
	v_mov_b32_e32 v4, 0
	s_waitcnt vmcnt(0)
	v_and_b32_e32 v16, 0xff, v2
	v_cmp_ne_u16_e32 vcc, 0, v16
	v_mov_b32_e32 v2, 0
	s_and_saveexec_b64 s[28:29], vcc
	s_cbranch_execz .LBB6_16271
; %bb.16266:                            ;   in Loop: Header=BB6_14596 Depth=3
	v_cmp_ne_u16_e32 vcc, s96, v16
	v_bfrev_b32_e32 v4, 1
	s_and_saveexec_b64 s[34:35], vcc
	s_cbranch_execz .LBB6_16270
; %bb.16267:                            ;   in Loop: Header=BB6_14596 Depth=3
	buffer_load_dword v26, off, s[0:3], s33 offset:112 ; 4-byte Folded Reload
	v_mov_b32_e32 v4, 0x7f800001
	s_waitcnt vmcnt(0)
	v_and_b32_e32 v5, 0x7f, v26
	v_cmp_ne_u32_e32 vcc, s86, v5
	s_and_saveexec_b64 s[36:37], vcc
	s_cbranch_execz .LBB6_16269
; %bb.16268:                            ;   in Loop: Header=BB6_14596 Depth=3
	v_and_b32_e32 v17, 7, v16
	v_ffbh_u32_e32 v4, v17
	v_min_u32_e32 v25, 32, v4
	v_subrev_u32_e32 v4, 28, v25
	v_lshrrev_b32_e32 v24, 3, v5
	v_cmp_gt_u32_e32 vcc, 8, v5
	v_lshlrev_b64 v[4:5], v4, v[16:17]
	v_sub_u32_e32 v5, 29, v25
	v_and_b32_e32 v4, 7, v4
	v_cndmask_b32_e32 v5, v24, v5, vcc
	v_cndmask_b32_e32 v4, v17, v4, vcc
	v_lshlrev_b32_e32 v16, 24, v26
	v_bfrev_b32_e32 v17, 60
	v_lshlrev_b32_e32 v4, 20, v4
	v_and_b32_e32 v16, 0x80000000, v16
	v_lshl_add_u32 v5, v5, 23, v17
	v_or3_b32 v4, v16, v5, v4
.LBB6_16269:                            ;   in Loop: Header=BB6_14596 Depth=3
	s_or_b64 exec, exec, s[36:37]
.LBB6_16270:                            ;   in Loop: Header=BB6_14596 Depth=3
	s_or_b64 exec, exec, s[34:35]
.LBB6_16271:                            ;   in Loop: Header=BB6_14596 Depth=3
	s_or_b64 exec, exec, s[28:29]
	v_and_b32_e32 v16, 0xff, v56
	v_cmp_ne_u16_e32 vcc, 0, v16
	s_and_saveexec_b64 s[28:29], vcc
	s_cbranch_execz .LBB6_16277
; %bb.16272:                            ;   in Loop: Header=BB6_14596 Depth=3
	v_cmp_ne_u16_e32 vcc, s96, v16
	v_bfrev_b32_e32 v2, 1
	s_and_saveexec_b64 s[34:35], vcc
	s_cbranch_execz .LBB6_16276
; %bb.16273:                            ;   in Loop: Header=BB6_14596 Depth=3
	v_and_b32_e32 v5, 0x7f, v56
	v_cmp_ne_u32_e32 vcc, s86, v5
	v_mov_b32_e32 v2, 0x7f800001
	s_and_saveexec_b64 s[36:37], vcc
	s_cbranch_execz .LBB6_16275
; %bb.16274:                            ;   in Loop: Header=BB6_14596 Depth=3
	v_and_b32_e32 v2, 7, v16
	v_lshrrev_b32_e32 v24, 3, v5
	v_cmp_gt_u32_e32 vcc, 8, v5
	v_ffbh_u32_e32 v5, v2
	v_min_u32_e32 v5, 32, v5
	v_subrev_u32_e32 v17, 28, v5
	v_lshlrev_b64 v[16:17], v17, v[16:17]
	v_sub_u32_e32 v5, 29, v5
	v_and_b32_e32 v16, 7, v16
	v_cndmask_b32_e32 v5, v24, v5, vcc
	v_cndmask_b32_e32 v2, v2, v16, vcc
	v_lshlrev_b32_e32 v16, 24, v56
	v_bfrev_b32_e32 v17, 60
	v_lshlrev_b32_e32 v2, 20, v2
	v_and_b32_e32 v16, 0x80000000, v16
	v_lshl_add_u32 v5, v5, 23, v17
	v_or3_b32 v2, v16, v5, v2
.LBB6_16275:                            ;   in Loop: Header=BB6_14596 Depth=3
	s_or_b64 exec, exec, s[36:37]
.LBB6_16276:                            ;   in Loop: Header=BB6_14596 Depth=3
	s_or_b64 exec, exec, s[34:35]
.LBB6_16277:                            ;   in Loop: Header=BB6_14596 Depth=3
	s_or_b64 exec, exec, s[28:29]
	v_add_f32_e32 v4, v4, v2
	v_and_b32_e32 v16, 0x7f800000, v4
	v_mov_b32_e32 v17, v51
	v_cmp_ne_u64_e32 vcc, s[76:77], v[16:17]
                                        ; implicit-def: $vgpr24
	s_and_saveexec_b64 s[28:29], vcc
	s_xor_b64 s[34:35], exec, s[28:29]
	s_cbranch_execz .LBB6_16295
; %bb.16278:                            ;   in Loop: Header=BB6_14596 Depth=3
	v_and_b32_e32 v16, 0x7fffffff, v4
	v_mov_b32_e32 v17, v51
	v_cmp_gt_u64_e32 vcc, s[78:79], v[16:17]
	v_and_b32_sdwa v2, v4, s96 dst_sel:DWORD dst_unused:UNUSED_PAD src0_sel:BYTE_3 src1_sel:DWORD
                                        ; implicit-def: $vgpr24
	s_and_saveexec_b64 s[28:29], vcc
	s_xor_b64 s[36:37], exec, s[28:29]
	s_cbranch_execz .LBB6_16292
; %bb.16279:                            ;   in Loop: Header=BB6_14596 Depth=3
	v_cmp_ne_u32_e32 vcc, 0, v4
	v_mov_b32_e32 v24, 0
	s_and_saveexec_b64 s[38:39], vcc
	s_cbranch_execz .LBB6_16291
; %bb.16280:                            ;   in Loop: Header=BB6_14596 Depth=3
	v_bfe_u32 v24, v4, 23, 8
	v_and_b32_e32 v5, 0x7fffff, v4
	v_cmp_gt_u32_e64 s[28:29], s97, v24
	v_sub_u32_e32 v4, 0x79, v24
	v_cmp_eq_u32_e32 vcc, 0, v24
	v_cndmask_b32_e64 v4, 0, v4, s[28:29]
	v_mov_b32_e32 v17, 0x78
	v_or_b32_e32 v16, 0x800000, v5
	v_cndmask_b32_e32 v25, v4, v17, vcc
	v_cndmask_b32_e32 v4, v16, v5, vcc
	v_add_u32_e32 v16, 20, v25
	v_lshlrev_b64 v[16:17], v16, -1
	v_add_u32_e32 v26, 19, v25
	v_lshlrev_b64 v[28:29], v26, 1
	v_mov_b32_e32 v5, v51
	v_bfi_b32 v17, v17, 0, 0
	v_bfi_b32 v16, v16, 0, v4
	v_cmp_eq_u64_e64 s[28:29], v[16:17], v[28:29]
	v_lshrrev_b64 v[16:17], v25, v[4:5]
	v_mov_b32_e32 v4, v16
	v_mov_b32_e32 v5, v17
	s_and_saveexec_b64 s[48:49], s[28:29]
; %bb.16281:                            ;   in Loop: Header=BB6_14596 Depth=3
	v_bfe_u32 v4, v16, 20, 1
	v_add_co_u32_e64 v4, s[28:29], v16, v4
	v_add_co_u32_e64 v4, s[28:29], -1, v4
; %bb.16282:                            ;   in Loop: Header=BB6_14596 Depth=3
	s_or_b64 exec, exec, s[48:49]
	v_add_u32_e32 v5, 0xffffff81, v24
	v_mov_b32_e32 v17, 0xffffff82
	v_cndmask_b32_e32 v5, v5, v17, vcc
	v_lshrrev_b32_e32 v17, 23, v16
	v_add3_u32 v24, v25, v5, v17
	v_add_u32_e32 v5, 6, v24
	v_and_b32_e32 v4, 0xfffff, v4
	v_add_u32_e32 v16, v4, v16
	v_mov_b32_e32 v17, v51
	v_cmp_ne_u32_e32 vcc, 0, v5
                                        ; implicit-def: $vgpr4
	s_and_saveexec_b64 s[28:29], vcc
	s_xor_b64 s[28:29], exec, s[28:29]
; %bb.16283:                            ;   in Loop: Header=BB6_14596 Depth=3
	v_cmp_lt_u64_e32 vcc, s[88:89], v[16:17]
	v_add_u32_e32 v4, 7, v24
	v_cndmask_b32_e32 v4, v5, v4, vcc
	v_cndmask_b32_e64 v5, 0, 1, vcc
	v_lshrrev_b64 v[16:17], v5, v[16:17]
; %bb.16284:                            ;   in Loop: Header=BB6_14596 Depth=3
	s_andn2_saveexec_b64 s[28:29], s[28:29]
; %bb.16285:                            ;   in Loop: Header=BB6_14596 Depth=3
	v_bfe_u32 v4, v16, 23, 1
; %bb.16286:                            ;   in Loop: Header=BB6_14596 Depth=3
	s_or_b64 exec, exec, s[28:29]
	v_lshrrev_b64 v[16:17], 20, v[16:17]
	v_cmp_gt_i32_e32 vcc, 16, v4
	v_cndmask_b32_e32 v17, 0, v17, vcc
	v_cndmask_b32_e32 v16, 7, v16, vcc
	v_cmp_ne_u64_e32 vcc, 0, v[16:17]
	v_cmp_ne_u32_e64 s[28:29], 0, v4
	s_or_b64 s[28:29], s[28:29], vcc
                                        ; implicit-def: $vgpr24
	s_and_saveexec_b64 vcc, s[28:29]
	s_xor_b64 s[28:29], exec, vcc
; %bb.16287:                            ;   in Loop: Header=BB6_14596 Depth=3
	v_min_i32_e32 v4, 15, v4
	v_lshl_or_b32 v2, v4, 3, v2
	v_and_or_b32 v24, v16, 7, v2
                                        ; implicit-def: $vgpr2
; %bb.16288:                            ;   in Loop: Header=BB6_14596 Depth=3
	s_andn2_saveexec_b64 s[28:29], s[28:29]
; %bb.16289:                            ;   in Loop: Header=BB6_14596 Depth=3
	v_mov_b32_e32 v24, v2
; %bb.16290:                            ;   in Loop: Header=BB6_14596 Depth=3
	s_or_b64 exec, exec, s[28:29]
.LBB6_16291:                            ;   in Loop: Header=BB6_14596 Depth=3
	s_or_b64 exec, exec, s[38:39]
                                        ; implicit-def: $vgpr2
.LBB6_16292:                            ;   in Loop: Header=BB6_14596 Depth=3
	s_andn2_saveexec_b64 s[28:29], s[36:37]
; %bb.16293:                            ;   in Loop: Header=BB6_14596 Depth=3
	v_or_b32_e32 v24, 0x7e, v2
; %bb.16294:                            ;   in Loop: Header=BB6_14596 Depth=3
	s_or_b64 exec, exec, s[28:29]
                                        ; implicit-def: $vgpr4
.LBB6_16295:                            ;   in Loop: Header=BB6_14596 Depth=3
	s_andn2_saveexec_b64 s[28:29], s[34:35]
; %bb.16296:                            ;   in Loop: Header=BB6_14596 Depth=3
	v_or_b32_sdwa v24, v4, s86 dst_sel:DWORD dst_unused:UNUSED_PAD src0_sel:BYTE_3 src1_sel:DWORD
; %bb.16297:                            ;   in Loop: Header=BB6_14596 Depth=3
	s_or_b64 exec, exec, s[28:29]
	buffer_load_dword v2, off, s[0:3], s33 offset:108 ; 4-byte Folded Reload
	v_mov_b32_e32 v4, 0
	s_waitcnt vmcnt(0)
	v_and_b32_e32 v16, 0xff, v2
	v_cmp_ne_u16_e32 vcc, 0, v16
	v_mov_b32_e32 v2, 0
	s_and_saveexec_b64 s[28:29], vcc
	s_cbranch_execz .LBB6_16303
; %bb.16298:                            ;   in Loop: Header=BB6_14596 Depth=3
	v_cmp_ne_u16_e32 vcc, s96, v16
	v_bfrev_b32_e32 v4, 1
	s_and_saveexec_b64 s[34:35], vcc
	s_cbranch_execz .LBB6_16302
; %bb.16299:                            ;   in Loop: Header=BB6_14596 Depth=3
	buffer_load_dword v28, off, s[0:3], s33 offset:108 ; 4-byte Folded Reload
	v_mov_b32_e32 v4, 0x7f800001
	s_waitcnt vmcnt(0)
	v_and_b32_e32 v5, 0x7f, v28
	v_cmp_ne_u32_e32 vcc, s86, v5
	s_and_saveexec_b64 s[36:37], vcc
	s_cbranch_execz .LBB6_16301
; %bb.16300:                            ;   in Loop: Header=BB6_14596 Depth=3
	v_and_b32_e32 v17, 7, v16
	v_ffbh_u32_e32 v4, v17
	v_min_u32_e32 v26, 32, v4
	v_subrev_u32_e32 v4, 28, v26
	v_lshrrev_b32_e32 v25, 3, v5
	v_cmp_gt_u32_e32 vcc, 8, v5
	v_lshlrev_b64 v[4:5], v4, v[16:17]
	v_sub_u32_e32 v5, 29, v26
	v_and_b32_e32 v4, 7, v4
	v_cndmask_b32_e32 v5, v25, v5, vcc
	v_cndmask_b32_e32 v4, v17, v4, vcc
	v_lshlrev_b32_e32 v16, 24, v28
	v_bfrev_b32_e32 v17, 60
	v_lshlrev_b32_e32 v4, 20, v4
	v_and_b32_e32 v16, 0x80000000, v16
	v_lshl_add_u32 v5, v5, 23, v17
	v_or3_b32 v4, v16, v5, v4
.LBB6_16301:                            ;   in Loop: Header=BB6_14596 Depth=3
	s_or_b64 exec, exec, s[36:37]
.LBB6_16302:                            ;   in Loop: Header=BB6_14596 Depth=3
	s_or_b64 exec, exec, s[34:35]
.LBB6_16303:                            ;   in Loop: Header=BB6_14596 Depth=3
	s_or_b64 exec, exec, s[28:29]
	buffer_load_dword v5, off, s[0:3], s33 offset:168 ; 4-byte Folded Reload
	s_waitcnt vmcnt(0)
	v_and_b32_e32 v16, 0xff, v5
	v_cmp_ne_u16_e32 vcc, 0, v16
	s_and_saveexec_b64 s[28:29], vcc
	s_cbranch_execz .LBB6_16309
; %bb.16304:                            ;   in Loop: Header=BB6_14596 Depth=3
	v_cmp_ne_u16_e32 vcc, s96, v16
	v_bfrev_b32_e32 v2, 1
	s_and_saveexec_b64 s[34:35], vcc
	s_cbranch_execz .LBB6_16308
; %bb.16305:                            ;   in Loop: Header=BB6_14596 Depth=3
	buffer_load_dword v26, off, s[0:3], s33 offset:168 ; 4-byte Folded Reload
	v_mov_b32_e32 v2, 0x7f800001
	s_waitcnt vmcnt(0)
	v_and_b32_e32 v5, 0x7f, v26
	v_cmp_ne_u32_e32 vcc, s86, v5
	s_and_saveexec_b64 s[36:37], vcc
	s_cbranch_execz .LBB6_16307
; %bb.16306:                            ;   in Loop: Header=BB6_14596 Depth=3
	v_and_b32_e32 v2, 7, v16
	v_lshrrev_b32_e32 v25, 3, v5
	v_cmp_gt_u32_e32 vcc, 8, v5
	v_ffbh_u32_e32 v5, v2
	v_min_u32_e32 v5, 32, v5
	v_subrev_u32_e32 v17, 28, v5
	v_lshlrev_b64 v[16:17], v17, v[16:17]
	v_sub_u32_e32 v5, 29, v5
	v_and_b32_e32 v16, 7, v16
	v_cndmask_b32_e32 v5, v25, v5, vcc
	v_cndmask_b32_e32 v2, v2, v16, vcc
	v_lshlrev_b32_e32 v16, 24, v26
	v_bfrev_b32_e32 v17, 60
	v_lshlrev_b32_e32 v2, 20, v2
	v_and_b32_e32 v16, 0x80000000, v16
	v_lshl_add_u32 v5, v5, 23, v17
	v_or3_b32 v2, v16, v5, v2
.LBB6_16307:                            ;   in Loop: Header=BB6_14596 Depth=3
	s_or_b64 exec, exec, s[36:37]
.LBB6_16308:                            ;   in Loop: Header=BB6_14596 Depth=3
	s_or_b64 exec, exec, s[34:35]
.LBB6_16309:                            ;   in Loop: Header=BB6_14596 Depth=3
	s_or_b64 exec, exec, s[28:29]
	v_add_f32_e32 v4, v4, v2
	v_and_b32_e32 v16, 0x7f800000, v4
	v_mov_b32_e32 v17, v51
	v_cmp_ne_u64_e32 vcc, s[76:77], v[16:17]
                                        ; implicit-def: $vgpr25
	s_and_saveexec_b64 s[28:29], vcc
	s_xor_b64 s[34:35], exec, s[28:29]
	s_cbranch_execz .LBB6_16327
; %bb.16310:                            ;   in Loop: Header=BB6_14596 Depth=3
	v_and_b32_e32 v16, 0x7fffffff, v4
	v_mov_b32_e32 v17, v51
	v_cmp_gt_u64_e32 vcc, s[78:79], v[16:17]
	v_and_b32_sdwa v2, v4, s96 dst_sel:DWORD dst_unused:UNUSED_PAD src0_sel:BYTE_3 src1_sel:DWORD
                                        ; implicit-def: $vgpr25
	s_and_saveexec_b64 s[28:29], vcc
	s_xor_b64 s[36:37], exec, s[28:29]
	s_cbranch_execz .LBB6_16324
; %bb.16311:                            ;   in Loop: Header=BB6_14596 Depth=3
	v_cmp_ne_u32_e32 vcc, 0, v4
	v_mov_b32_e32 v25, 0
	s_and_saveexec_b64 s[38:39], vcc
	s_cbranch_execz .LBB6_16323
; %bb.16312:                            ;   in Loop: Header=BB6_14596 Depth=3
	v_bfe_u32 v25, v4, 23, 8
	v_and_b32_e32 v5, 0x7fffff, v4
	v_cmp_gt_u32_e64 s[28:29], s97, v25
	v_sub_u32_e32 v4, 0x79, v25
	v_cmp_eq_u32_e32 vcc, 0, v25
	v_cndmask_b32_e64 v4, 0, v4, s[28:29]
	v_mov_b32_e32 v17, 0x78
	v_or_b32_e32 v16, 0x800000, v5
	v_cndmask_b32_e32 v26, v4, v17, vcc
	v_cndmask_b32_e32 v4, v16, v5, vcc
	v_add_u32_e32 v16, 20, v26
	v_lshlrev_b64 v[16:17], v16, -1
	v_add_u32_e32 v28, 19, v26
	v_lshlrev_b64 v[28:29], v28, 1
	v_mov_b32_e32 v5, v51
	v_bfi_b32 v17, v17, 0, 0
	v_bfi_b32 v16, v16, 0, v4
	v_cmp_eq_u64_e64 s[28:29], v[16:17], v[28:29]
	v_lshrrev_b64 v[16:17], v26, v[4:5]
	v_mov_b32_e32 v4, v16
	v_mov_b32_e32 v5, v17
	s_and_saveexec_b64 s[48:49], s[28:29]
; %bb.16313:                            ;   in Loop: Header=BB6_14596 Depth=3
	v_bfe_u32 v4, v16, 20, 1
	v_add_co_u32_e64 v4, s[28:29], v16, v4
	v_add_co_u32_e64 v4, s[28:29], -1, v4
; %bb.16314:                            ;   in Loop: Header=BB6_14596 Depth=3
	s_or_b64 exec, exec, s[48:49]
	v_add_u32_e32 v5, 0xffffff81, v25
	v_mov_b32_e32 v17, 0xffffff82
	v_cndmask_b32_e32 v5, v5, v17, vcc
	v_lshrrev_b32_e32 v17, 23, v16
	v_add3_u32 v25, v26, v5, v17
	v_add_u32_e32 v5, 6, v25
	v_and_b32_e32 v4, 0xfffff, v4
	v_add_u32_e32 v16, v4, v16
	v_mov_b32_e32 v17, v51
	v_cmp_ne_u32_e32 vcc, 0, v5
                                        ; implicit-def: $vgpr4
	s_and_saveexec_b64 s[28:29], vcc
	s_xor_b64 s[28:29], exec, s[28:29]
; %bb.16315:                            ;   in Loop: Header=BB6_14596 Depth=3
	v_cmp_lt_u64_e32 vcc, s[88:89], v[16:17]
	v_add_u32_e32 v4, 7, v25
	v_cndmask_b32_e32 v4, v5, v4, vcc
	v_cndmask_b32_e64 v5, 0, 1, vcc
	v_lshrrev_b64 v[16:17], v5, v[16:17]
; %bb.16316:                            ;   in Loop: Header=BB6_14596 Depth=3
	s_andn2_saveexec_b64 s[28:29], s[28:29]
; %bb.16317:                            ;   in Loop: Header=BB6_14596 Depth=3
	v_bfe_u32 v4, v16, 23, 1
; %bb.16318:                            ;   in Loop: Header=BB6_14596 Depth=3
	s_or_b64 exec, exec, s[28:29]
	v_lshrrev_b64 v[16:17], 20, v[16:17]
	v_cmp_gt_i32_e32 vcc, 16, v4
	v_cndmask_b32_e32 v17, 0, v17, vcc
	v_cndmask_b32_e32 v16, 7, v16, vcc
	v_cmp_ne_u64_e32 vcc, 0, v[16:17]
	v_cmp_ne_u32_e64 s[28:29], 0, v4
	s_or_b64 s[28:29], s[28:29], vcc
                                        ; implicit-def: $vgpr25
	s_and_saveexec_b64 vcc, s[28:29]
	s_xor_b64 s[28:29], exec, vcc
; %bb.16319:                            ;   in Loop: Header=BB6_14596 Depth=3
	v_min_i32_e32 v4, 15, v4
	v_lshl_or_b32 v2, v4, 3, v2
	v_and_or_b32 v25, v16, 7, v2
                                        ; implicit-def: $vgpr2
; %bb.16320:                            ;   in Loop: Header=BB6_14596 Depth=3
	s_andn2_saveexec_b64 s[28:29], s[28:29]
; %bb.16321:                            ;   in Loop: Header=BB6_14596 Depth=3
	v_mov_b32_e32 v25, v2
; %bb.16322:                            ;   in Loop: Header=BB6_14596 Depth=3
	s_or_b64 exec, exec, s[28:29]
.LBB6_16323:                            ;   in Loop: Header=BB6_14596 Depth=3
	s_or_b64 exec, exec, s[38:39]
                                        ; implicit-def: $vgpr2
.LBB6_16324:                            ;   in Loop: Header=BB6_14596 Depth=3
	s_andn2_saveexec_b64 s[28:29], s[36:37]
; %bb.16325:                            ;   in Loop: Header=BB6_14596 Depth=3
	v_or_b32_e32 v25, 0x7e, v2
; %bb.16326:                            ;   in Loop: Header=BB6_14596 Depth=3
	s_or_b64 exec, exec, s[28:29]
                                        ; implicit-def: $vgpr4
.LBB6_16327:                            ;   in Loop: Header=BB6_14596 Depth=3
	s_andn2_saveexec_b64 s[28:29], s[34:35]
; %bb.16328:                            ;   in Loop: Header=BB6_14596 Depth=3
	v_or_b32_sdwa v25, v4, s86 dst_sel:DWORD dst_unused:UNUSED_PAD src0_sel:BYTE_3 src1_sel:DWORD
; %bb.16329:                            ;   in Loop: Header=BB6_14596 Depth=3
	s_or_b64 exec, exec, s[28:29]
	buffer_load_dword v2, off, s[0:3], s33 offset:104 ; 4-byte Folded Reload
	v_mov_b32_e32 v4, 0
	s_waitcnt vmcnt(0)
	v_and_b32_e32 v16, 0xff, v2
	v_cmp_ne_u16_e32 vcc, 0, v16
	v_mov_b32_e32 v2, 0
	s_and_saveexec_b64 s[28:29], vcc
	s_cbranch_execz .LBB6_16335
; %bb.16330:                            ;   in Loop: Header=BB6_14596 Depth=3
	v_cmp_ne_u16_e32 vcc, s96, v16
	v_bfrev_b32_e32 v4, 1
	s_and_saveexec_b64 s[34:35], vcc
	s_cbranch_execz .LBB6_16334
; %bb.16331:                            ;   in Loop: Header=BB6_14596 Depth=3
	buffer_load_dword v29, off, s[0:3], s33 offset:104 ; 4-byte Folded Reload
	v_mov_b32_e32 v4, 0x7f800001
	s_waitcnt vmcnt(0)
	v_and_b32_e32 v5, 0x7f, v29
	v_cmp_ne_u32_e32 vcc, s86, v5
	s_and_saveexec_b64 s[36:37], vcc
	s_cbranch_execz .LBB6_16333
; %bb.16332:                            ;   in Loop: Header=BB6_14596 Depth=3
	v_and_b32_e32 v17, 7, v16
	v_ffbh_u32_e32 v4, v17
	v_min_u32_e32 v28, 32, v4
	v_subrev_u32_e32 v4, 28, v28
	v_lshrrev_b32_e32 v26, 3, v5
	v_cmp_gt_u32_e32 vcc, 8, v5
	v_lshlrev_b64 v[4:5], v4, v[16:17]
	v_sub_u32_e32 v5, 29, v28
	v_and_b32_e32 v4, 7, v4
	v_cndmask_b32_e32 v5, v26, v5, vcc
	v_cndmask_b32_e32 v4, v17, v4, vcc
	v_lshlrev_b32_e32 v16, 24, v29
	v_bfrev_b32_e32 v17, 60
	v_lshlrev_b32_e32 v4, 20, v4
	v_and_b32_e32 v16, 0x80000000, v16
	v_lshl_add_u32 v5, v5, 23, v17
	v_or3_b32 v4, v16, v5, v4
.LBB6_16333:                            ;   in Loop: Header=BB6_14596 Depth=3
	s_or_b64 exec, exec, s[36:37]
.LBB6_16334:                            ;   in Loop: Header=BB6_14596 Depth=3
	s_or_b64 exec, exec, s[34:35]
.LBB6_16335:                            ;   in Loop: Header=BB6_14596 Depth=3
	s_or_b64 exec, exec, s[28:29]
	buffer_load_dword v5, off, s[0:3], s33 offset:164 ; 4-byte Folded Reload
	s_waitcnt vmcnt(0)
	v_and_b32_e32 v16, 0xff, v5
	v_cmp_ne_u16_e32 vcc, 0, v16
	s_and_saveexec_b64 s[28:29], vcc
	s_cbranch_execz .LBB6_16341
; %bb.16336:                            ;   in Loop: Header=BB6_14596 Depth=3
	v_cmp_ne_u16_e32 vcc, s96, v16
	v_bfrev_b32_e32 v2, 1
	s_and_saveexec_b64 s[34:35], vcc
	s_cbranch_execz .LBB6_16340
; %bb.16337:                            ;   in Loop: Header=BB6_14596 Depth=3
	buffer_load_dword v28, off, s[0:3], s33 offset:164 ; 4-byte Folded Reload
	v_mov_b32_e32 v2, 0x7f800001
	s_waitcnt vmcnt(0)
	v_and_b32_e32 v5, 0x7f, v28
	v_cmp_ne_u32_e32 vcc, s86, v5
	s_and_saveexec_b64 s[36:37], vcc
	s_cbranch_execz .LBB6_16339
; %bb.16338:                            ;   in Loop: Header=BB6_14596 Depth=3
	v_and_b32_e32 v2, 7, v16
	v_lshrrev_b32_e32 v26, 3, v5
	v_cmp_gt_u32_e32 vcc, 8, v5
	v_ffbh_u32_e32 v5, v2
	v_min_u32_e32 v5, 32, v5
	v_subrev_u32_e32 v17, 28, v5
	v_lshlrev_b64 v[16:17], v17, v[16:17]
	v_sub_u32_e32 v5, 29, v5
	v_and_b32_e32 v16, 7, v16
	v_cndmask_b32_e32 v5, v26, v5, vcc
	v_cndmask_b32_e32 v2, v2, v16, vcc
	v_lshlrev_b32_e32 v16, 24, v28
	v_bfrev_b32_e32 v17, 60
	v_lshlrev_b32_e32 v2, 20, v2
	v_and_b32_e32 v16, 0x80000000, v16
	v_lshl_add_u32 v5, v5, 23, v17
	v_or3_b32 v2, v16, v5, v2
.LBB6_16339:                            ;   in Loop: Header=BB6_14596 Depth=3
	s_or_b64 exec, exec, s[36:37]
.LBB6_16340:                            ;   in Loop: Header=BB6_14596 Depth=3
	s_or_b64 exec, exec, s[34:35]
.LBB6_16341:                            ;   in Loop: Header=BB6_14596 Depth=3
	s_or_b64 exec, exec, s[28:29]
	v_add_f32_e32 v4, v4, v2
	v_and_b32_e32 v16, 0x7f800000, v4
	v_mov_b32_e32 v17, v51
	v_cmp_ne_u64_e32 vcc, s[76:77], v[16:17]
                                        ; implicit-def: $vgpr26
	s_and_saveexec_b64 s[28:29], vcc
	s_xor_b64 s[34:35], exec, s[28:29]
	s_cbranch_execz .LBB6_16359
; %bb.16342:                            ;   in Loop: Header=BB6_14596 Depth=3
	v_and_b32_e32 v16, 0x7fffffff, v4
	v_mov_b32_e32 v17, v51
	v_cmp_gt_u64_e32 vcc, s[78:79], v[16:17]
	v_and_b32_sdwa v2, v4, s96 dst_sel:DWORD dst_unused:UNUSED_PAD src0_sel:BYTE_3 src1_sel:DWORD
                                        ; implicit-def: $vgpr26
	s_and_saveexec_b64 s[28:29], vcc
	s_xor_b64 s[36:37], exec, s[28:29]
	s_cbranch_execz .LBB6_16356
; %bb.16343:                            ;   in Loop: Header=BB6_14596 Depth=3
	v_cmp_ne_u32_e32 vcc, 0, v4
	v_mov_b32_e32 v26, 0
	s_and_saveexec_b64 s[38:39], vcc
	s_cbranch_execz .LBB6_16355
; %bb.16344:                            ;   in Loop: Header=BB6_14596 Depth=3
	v_bfe_u32 v26, v4, 23, 8
	v_and_b32_e32 v5, 0x7fffff, v4
	v_cmp_gt_u32_e64 s[28:29], s97, v26
	v_sub_u32_e32 v4, 0x79, v26
	v_cmp_eq_u32_e32 vcc, 0, v26
	v_cndmask_b32_e64 v4, 0, v4, s[28:29]
	v_mov_b32_e32 v17, 0x78
	v_or_b32_e32 v16, 0x800000, v5
	v_cndmask_b32_e32 v28, v4, v17, vcc
	v_cndmask_b32_e32 v4, v16, v5, vcc
	v_add_u32_e32 v16, 20, v28
	v_lshlrev_b64 v[16:17], v16, -1
	v_add_u32_e32 v29, 19, v28
	v_lshlrev_b64 v[29:30], v29, 1
	v_mov_b32_e32 v5, v51
	v_bfi_b32 v17, v17, 0, 0
	v_bfi_b32 v16, v16, 0, v4
	v_cmp_eq_u64_e64 s[28:29], v[16:17], v[29:30]
	v_lshrrev_b64 v[16:17], v28, v[4:5]
	v_mov_b32_e32 v4, v16
	v_mov_b32_e32 v5, v17
	s_and_saveexec_b64 s[48:49], s[28:29]
; %bb.16345:                            ;   in Loop: Header=BB6_14596 Depth=3
	v_bfe_u32 v4, v16, 20, 1
	v_add_co_u32_e64 v4, s[28:29], v16, v4
	v_add_co_u32_e64 v4, s[28:29], -1, v4
; %bb.16346:                            ;   in Loop: Header=BB6_14596 Depth=3
	s_or_b64 exec, exec, s[48:49]
	v_add_u32_e32 v5, 0xffffff81, v26
	v_mov_b32_e32 v17, 0xffffff82
	v_cndmask_b32_e32 v5, v5, v17, vcc
	v_lshrrev_b32_e32 v17, 23, v16
	v_add3_u32 v26, v28, v5, v17
	v_add_u32_e32 v5, 6, v26
	v_and_b32_e32 v4, 0xfffff, v4
	v_add_u32_e32 v16, v4, v16
	v_mov_b32_e32 v17, v51
	v_cmp_ne_u32_e32 vcc, 0, v5
                                        ; implicit-def: $vgpr4
	s_and_saveexec_b64 s[28:29], vcc
	s_xor_b64 s[28:29], exec, s[28:29]
; %bb.16347:                            ;   in Loop: Header=BB6_14596 Depth=3
	v_cmp_lt_u64_e32 vcc, s[88:89], v[16:17]
	v_add_u32_e32 v4, 7, v26
	v_cndmask_b32_e32 v4, v5, v4, vcc
	v_cndmask_b32_e64 v5, 0, 1, vcc
	v_lshrrev_b64 v[16:17], v5, v[16:17]
; %bb.16348:                            ;   in Loop: Header=BB6_14596 Depth=3
	s_andn2_saveexec_b64 s[28:29], s[28:29]
; %bb.16349:                            ;   in Loop: Header=BB6_14596 Depth=3
	v_bfe_u32 v4, v16, 23, 1
; %bb.16350:                            ;   in Loop: Header=BB6_14596 Depth=3
	s_or_b64 exec, exec, s[28:29]
	v_lshrrev_b64 v[16:17], 20, v[16:17]
	v_cmp_gt_i32_e32 vcc, 16, v4
	v_cndmask_b32_e32 v17, 0, v17, vcc
	v_cndmask_b32_e32 v16, 7, v16, vcc
	v_cmp_ne_u64_e32 vcc, 0, v[16:17]
	v_cmp_ne_u32_e64 s[28:29], 0, v4
	s_or_b64 s[28:29], s[28:29], vcc
                                        ; implicit-def: $vgpr26
	s_and_saveexec_b64 vcc, s[28:29]
	s_xor_b64 s[28:29], exec, vcc
; %bb.16351:                            ;   in Loop: Header=BB6_14596 Depth=3
	v_min_i32_e32 v4, 15, v4
	v_lshl_or_b32 v2, v4, 3, v2
	v_and_or_b32 v26, v16, 7, v2
                                        ; implicit-def: $vgpr2
; %bb.16352:                            ;   in Loop: Header=BB6_14596 Depth=3
	s_andn2_saveexec_b64 s[28:29], s[28:29]
; %bb.16353:                            ;   in Loop: Header=BB6_14596 Depth=3
	v_mov_b32_e32 v26, v2
; %bb.16354:                            ;   in Loop: Header=BB6_14596 Depth=3
	s_or_b64 exec, exec, s[28:29]
.LBB6_16355:                            ;   in Loop: Header=BB6_14596 Depth=3
	s_or_b64 exec, exec, s[38:39]
                                        ; implicit-def: $vgpr2
.LBB6_16356:                            ;   in Loop: Header=BB6_14596 Depth=3
	s_andn2_saveexec_b64 s[28:29], s[36:37]
; %bb.16357:                            ;   in Loop: Header=BB6_14596 Depth=3
	v_or_b32_e32 v26, 0x7e, v2
; %bb.16358:                            ;   in Loop: Header=BB6_14596 Depth=3
	s_or_b64 exec, exec, s[28:29]
                                        ; implicit-def: $vgpr4
.LBB6_16359:                            ;   in Loop: Header=BB6_14596 Depth=3
	s_andn2_saveexec_b64 s[28:29], s[34:35]
; %bb.16360:                            ;   in Loop: Header=BB6_14596 Depth=3
	v_or_b32_sdwa v26, v4, s86 dst_sel:DWORD dst_unused:UNUSED_PAD src0_sel:BYTE_3 src1_sel:DWORD
; %bb.16361:                            ;   in Loop: Header=BB6_14596 Depth=3
	s_or_b64 exec, exec, s[28:29]
	buffer_load_dword v2, off, s[0:3], s33 offset:100 ; 4-byte Folded Reload
	v_mov_b32_e32 v4, 0
	s_waitcnt vmcnt(0)
	v_and_b32_e32 v16, 0xff, v2
	v_cmp_ne_u16_e32 vcc, 0, v16
	v_mov_b32_e32 v2, 0
	s_and_saveexec_b64 s[28:29], vcc
	s_cbranch_execz .LBB6_16367
; %bb.16362:                            ;   in Loop: Header=BB6_14596 Depth=3
	v_cmp_ne_u16_e32 vcc, s96, v16
	v_bfrev_b32_e32 v4, 1
	s_and_saveexec_b64 s[34:35], vcc
	s_cbranch_execz .LBB6_16366
; %bb.16363:                            ;   in Loop: Header=BB6_14596 Depth=3
	buffer_load_dword v30, off, s[0:3], s33 offset:100 ; 4-byte Folded Reload
	v_mov_b32_e32 v4, 0x7f800001
	s_waitcnt vmcnt(0)
	v_and_b32_e32 v5, 0x7f, v30
	v_cmp_ne_u32_e32 vcc, s86, v5
	s_and_saveexec_b64 s[36:37], vcc
	s_cbranch_execz .LBB6_16365
; %bb.16364:                            ;   in Loop: Header=BB6_14596 Depth=3
	v_and_b32_e32 v17, 7, v16
	v_ffbh_u32_e32 v4, v17
	v_min_u32_e32 v29, 32, v4
	v_subrev_u32_e32 v4, 28, v29
	v_lshrrev_b32_e32 v28, 3, v5
	v_cmp_gt_u32_e32 vcc, 8, v5
	v_lshlrev_b64 v[4:5], v4, v[16:17]
	v_sub_u32_e32 v5, 29, v29
	v_and_b32_e32 v4, 7, v4
	v_cndmask_b32_e32 v5, v28, v5, vcc
	v_cndmask_b32_e32 v4, v17, v4, vcc
	v_lshlrev_b32_e32 v16, 24, v30
	v_bfrev_b32_e32 v17, 60
	v_lshlrev_b32_e32 v4, 20, v4
	v_and_b32_e32 v16, 0x80000000, v16
	v_lshl_add_u32 v5, v5, 23, v17
	v_or3_b32 v4, v16, v5, v4
.LBB6_16365:                            ;   in Loop: Header=BB6_14596 Depth=3
	s_or_b64 exec, exec, s[36:37]
.LBB6_16366:                            ;   in Loop: Header=BB6_14596 Depth=3
	s_or_b64 exec, exec, s[34:35]
.LBB6_16367:                            ;   in Loop: Header=BB6_14596 Depth=3
	s_or_b64 exec, exec, s[28:29]
	buffer_load_dword v5, off, s[0:3], s33 offset:160 ; 4-byte Folded Reload
	s_waitcnt vmcnt(0)
	v_and_b32_e32 v16, 0xff, v5
	v_cmp_ne_u16_e32 vcc, 0, v16
	s_and_saveexec_b64 s[28:29], vcc
	s_cbranch_execz .LBB6_16373
; %bb.16368:                            ;   in Loop: Header=BB6_14596 Depth=3
	v_cmp_ne_u16_e32 vcc, s96, v16
	v_bfrev_b32_e32 v2, 1
	s_and_saveexec_b64 s[34:35], vcc
	s_cbranch_execz .LBB6_16372
; %bb.16369:                            ;   in Loop: Header=BB6_14596 Depth=3
	buffer_load_dword v29, off, s[0:3], s33 offset:160 ; 4-byte Folded Reload
	v_mov_b32_e32 v2, 0x7f800001
	s_waitcnt vmcnt(0)
	v_and_b32_e32 v5, 0x7f, v29
	v_cmp_ne_u32_e32 vcc, s86, v5
	s_and_saveexec_b64 s[36:37], vcc
	s_cbranch_execz .LBB6_16371
; %bb.16370:                            ;   in Loop: Header=BB6_14596 Depth=3
	v_and_b32_e32 v2, 7, v16
	v_lshrrev_b32_e32 v28, 3, v5
	v_cmp_gt_u32_e32 vcc, 8, v5
	v_ffbh_u32_e32 v5, v2
	v_min_u32_e32 v5, 32, v5
	v_subrev_u32_e32 v17, 28, v5
	v_lshlrev_b64 v[16:17], v17, v[16:17]
	v_sub_u32_e32 v5, 29, v5
	v_and_b32_e32 v16, 7, v16
	v_cndmask_b32_e32 v5, v28, v5, vcc
	v_cndmask_b32_e32 v2, v2, v16, vcc
	v_lshlrev_b32_e32 v16, 24, v29
	v_bfrev_b32_e32 v17, 60
	v_lshlrev_b32_e32 v2, 20, v2
	v_and_b32_e32 v16, 0x80000000, v16
	v_lshl_add_u32 v5, v5, 23, v17
	v_or3_b32 v2, v16, v5, v2
.LBB6_16371:                            ;   in Loop: Header=BB6_14596 Depth=3
	s_or_b64 exec, exec, s[36:37]
.LBB6_16372:                            ;   in Loop: Header=BB6_14596 Depth=3
	s_or_b64 exec, exec, s[34:35]
.LBB6_16373:                            ;   in Loop: Header=BB6_14596 Depth=3
	s_or_b64 exec, exec, s[28:29]
	v_add_f32_e32 v4, v4, v2
	v_and_b32_e32 v16, 0x7f800000, v4
	v_mov_b32_e32 v17, v51
	v_cmp_ne_u64_e32 vcc, s[76:77], v[16:17]
                                        ; implicit-def: $vgpr28
	s_and_saveexec_b64 s[28:29], vcc
	s_xor_b64 s[34:35], exec, s[28:29]
	s_cbranch_execz .LBB6_16391
; %bb.16374:                            ;   in Loop: Header=BB6_14596 Depth=3
	v_and_b32_e32 v16, 0x7fffffff, v4
	v_mov_b32_e32 v17, v51
	v_cmp_gt_u64_e32 vcc, s[78:79], v[16:17]
	v_and_b32_sdwa v2, v4, s96 dst_sel:DWORD dst_unused:UNUSED_PAD src0_sel:BYTE_3 src1_sel:DWORD
                                        ; implicit-def: $vgpr28
	s_and_saveexec_b64 s[28:29], vcc
	s_xor_b64 s[36:37], exec, s[28:29]
	s_cbranch_execz .LBB6_16388
; %bb.16375:                            ;   in Loop: Header=BB6_14596 Depth=3
	v_cmp_ne_u32_e32 vcc, 0, v4
	v_mov_b32_e32 v28, 0
	s_and_saveexec_b64 s[38:39], vcc
	s_cbranch_execz .LBB6_16387
; %bb.16376:                            ;   in Loop: Header=BB6_14596 Depth=3
	v_bfe_u32 v28, v4, 23, 8
	v_and_b32_e32 v5, 0x7fffff, v4
	v_cmp_gt_u32_e64 s[28:29], s97, v28
	v_sub_u32_e32 v4, 0x79, v28
	v_cmp_eq_u32_e32 vcc, 0, v28
	v_cndmask_b32_e64 v4, 0, v4, s[28:29]
	v_mov_b32_e32 v17, 0x78
	v_or_b32_e32 v16, 0x800000, v5
	v_cndmask_b32_e32 v29, v4, v17, vcc
	v_cndmask_b32_e32 v4, v16, v5, vcc
	v_add_u32_e32 v16, 20, v29
	v_lshlrev_b64 v[16:17], v16, -1
	v_add_u32_e32 v30, 19, v29
	v_lshlrev_b64 v[30:31], v30, 1
	v_mov_b32_e32 v5, v51
	v_bfi_b32 v17, v17, 0, 0
	v_bfi_b32 v16, v16, 0, v4
	v_cmp_eq_u64_e64 s[28:29], v[16:17], v[30:31]
	v_lshrrev_b64 v[16:17], v29, v[4:5]
	v_mov_b32_e32 v4, v16
	v_mov_b32_e32 v5, v17
	s_and_saveexec_b64 s[48:49], s[28:29]
; %bb.16377:                            ;   in Loop: Header=BB6_14596 Depth=3
	v_bfe_u32 v4, v16, 20, 1
	v_add_co_u32_e64 v4, s[28:29], v16, v4
	v_add_co_u32_e64 v4, s[28:29], -1, v4
; %bb.16378:                            ;   in Loop: Header=BB6_14596 Depth=3
	s_or_b64 exec, exec, s[48:49]
	v_add_u32_e32 v5, 0xffffff81, v28
	v_mov_b32_e32 v17, 0xffffff82
	v_cndmask_b32_e32 v5, v5, v17, vcc
	v_lshrrev_b32_e32 v17, 23, v16
	v_add3_u32 v28, v29, v5, v17
	v_add_u32_e32 v5, 6, v28
	v_and_b32_e32 v4, 0xfffff, v4
	v_add_u32_e32 v16, v4, v16
	v_mov_b32_e32 v17, v51
	v_cmp_ne_u32_e32 vcc, 0, v5
                                        ; implicit-def: $vgpr4
	s_and_saveexec_b64 s[28:29], vcc
	s_xor_b64 s[28:29], exec, s[28:29]
; %bb.16379:                            ;   in Loop: Header=BB6_14596 Depth=3
	v_cmp_lt_u64_e32 vcc, s[88:89], v[16:17]
	v_add_u32_e32 v4, 7, v28
	v_cndmask_b32_e32 v4, v5, v4, vcc
	v_cndmask_b32_e64 v5, 0, 1, vcc
	v_lshrrev_b64 v[16:17], v5, v[16:17]
; %bb.16380:                            ;   in Loop: Header=BB6_14596 Depth=3
	s_andn2_saveexec_b64 s[28:29], s[28:29]
; %bb.16381:                            ;   in Loop: Header=BB6_14596 Depth=3
	v_bfe_u32 v4, v16, 23, 1
; %bb.16382:                            ;   in Loop: Header=BB6_14596 Depth=3
	s_or_b64 exec, exec, s[28:29]
	v_lshrrev_b64 v[16:17], 20, v[16:17]
	v_cmp_gt_i32_e32 vcc, 16, v4
	v_cndmask_b32_e32 v17, 0, v17, vcc
	v_cndmask_b32_e32 v16, 7, v16, vcc
	v_cmp_ne_u64_e32 vcc, 0, v[16:17]
	v_cmp_ne_u32_e64 s[28:29], 0, v4
	s_or_b64 s[28:29], s[28:29], vcc
                                        ; implicit-def: $vgpr28
	s_and_saveexec_b64 vcc, s[28:29]
	s_xor_b64 s[28:29], exec, vcc
; %bb.16383:                            ;   in Loop: Header=BB6_14596 Depth=3
	v_min_i32_e32 v4, 15, v4
	v_lshl_or_b32 v2, v4, 3, v2
	v_and_or_b32 v28, v16, 7, v2
                                        ; implicit-def: $vgpr2
; %bb.16384:                            ;   in Loop: Header=BB6_14596 Depth=3
	s_andn2_saveexec_b64 s[28:29], s[28:29]
; %bb.16385:                            ;   in Loop: Header=BB6_14596 Depth=3
	v_mov_b32_e32 v28, v2
; %bb.16386:                            ;   in Loop: Header=BB6_14596 Depth=3
	s_or_b64 exec, exec, s[28:29]
.LBB6_16387:                            ;   in Loop: Header=BB6_14596 Depth=3
	s_or_b64 exec, exec, s[38:39]
                                        ; implicit-def: $vgpr2
.LBB6_16388:                            ;   in Loop: Header=BB6_14596 Depth=3
	s_andn2_saveexec_b64 s[28:29], s[36:37]
; %bb.16389:                            ;   in Loop: Header=BB6_14596 Depth=3
	v_or_b32_e32 v28, 0x7e, v2
; %bb.16390:                            ;   in Loop: Header=BB6_14596 Depth=3
	s_or_b64 exec, exec, s[28:29]
                                        ; implicit-def: $vgpr4
.LBB6_16391:                            ;   in Loop: Header=BB6_14596 Depth=3
	s_andn2_saveexec_b64 s[28:29], s[34:35]
; %bb.16392:                            ;   in Loop: Header=BB6_14596 Depth=3
	v_or_b32_sdwa v28, v4, s86 dst_sel:DWORD dst_unused:UNUSED_PAD src0_sel:BYTE_3 src1_sel:DWORD
; %bb.16393:                            ;   in Loop: Header=BB6_14596 Depth=3
	s_or_b64 exec, exec, s[28:29]
	buffer_load_dword v2, off, s[0:3], s33 offset:96 ; 4-byte Folded Reload
	v_mov_b32_e32 v4, 0
	s_waitcnt vmcnt(0)
	v_and_b32_e32 v16, 0xff, v2
	v_cmp_ne_u16_e32 vcc, 0, v16
	v_mov_b32_e32 v2, 0
	s_and_saveexec_b64 s[28:29], vcc
	s_cbranch_execz .LBB6_16399
; %bb.16394:                            ;   in Loop: Header=BB6_14596 Depth=3
	v_cmp_ne_u16_e32 vcc, s96, v16
	v_bfrev_b32_e32 v4, 1
	s_and_saveexec_b64 s[34:35], vcc
	s_cbranch_execz .LBB6_16398
; %bb.16395:                            ;   in Loop: Header=BB6_14596 Depth=3
	buffer_load_dword v31, off, s[0:3], s33 offset:96 ; 4-byte Folded Reload
	v_mov_b32_e32 v4, 0x7f800001
	s_waitcnt vmcnt(0)
	v_and_b32_e32 v5, 0x7f, v31
	v_cmp_ne_u32_e32 vcc, s86, v5
	s_and_saveexec_b64 s[36:37], vcc
	s_cbranch_execz .LBB6_16397
; %bb.16396:                            ;   in Loop: Header=BB6_14596 Depth=3
	v_and_b32_e32 v17, 7, v16
	v_ffbh_u32_e32 v4, v17
	v_min_u32_e32 v30, 32, v4
	v_subrev_u32_e32 v4, 28, v30
	v_lshrrev_b32_e32 v29, 3, v5
	v_cmp_gt_u32_e32 vcc, 8, v5
	v_lshlrev_b64 v[4:5], v4, v[16:17]
	v_sub_u32_e32 v5, 29, v30
	v_and_b32_e32 v4, 7, v4
	v_cndmask_b32_e32 v5, v29, v5, vcc
	v_cndmask_b32_e32 v4, v17, v4, vcc
	v_lshlrev_b32_e32 v16, 24, v31
	v_bfrev_b32_e32 v17, 60
	v_lshlrev_b32_e32 v4, 20, v4
	v_and_b32_e32 v16, 0x80000000, v16
	v_lshl_add_u32 v5, v5, 23, v17
	v_or3_b32 v4, v16, v5, v4
.LBB6_16397:                            ;   in Loop: Header=BB6_14596 Depth=3
	s_or_b64 exec, exec, s[36:37]
.LBB6_16398:                            ;   in Loop: Header=BB6_14596 Depth=3
	s_or_b64 exec, exec, s[34:35]
.LBB6_16399:                            ;   in Loop: Header=BB6_14596 Depth=3
	s_or_b64 exec, exec, s[28:29]
	buffer_load_dword v5, off, s[0:3], s33 offset:156 ; 4-byte Folded Reload
	s_waitcnt vmcnt(0)
	v_and_b32_e32 v16, 0xff, v5
	v_cmp_ne_u16_e32 vcc, 0, v16
	s_and_saveexec_b64 s[28:29], vcc
	s_cbranch_execz .LBB6_16405
; %bb.16400:                            ;   in Loop: Header=BB6_14596 Depth=3
	v_cmp_ne_u16_e32 vcc, s96, v16
	v_bfrev_b32_e32 v2, 1
	s_and_saveexec_b64 s[34:35], vcc
	s_cbranch_execz .LBB6_16404
; %bb.16401:                            ;   in Loop: Header=BB6_14596 Depth=3
	buffer_load_dword v30, off, s[0:3], s33 offset:156 ; 4-byte Folded Reload
	v_mov_b32_e32 v2, 0x7f800001
	s_waitcnt vmcnt(0)
	v_and_b32_e32 v5, 0x7f, v30
	v_cmp_ne_u32_e32 vcc, s86, v5
	s_and_saveexec_b64 s[36:37], vcc
	s_cbranch_execz .LBB6_16403
; %bb.16402:                            ;   in Loop: Header=BB6_14596 Depth=3
	v_and_b32_e32 v2, 7, v16
	v_lshrrev_b32_e32 v29, 3, v5
	v_cmp_gt_u32_e32 vcc, 8, v5
	v_ffbh_u32_e32 v5, v2
	v_min_u32_e32 v5, 32, v5
	v_subrev_u32_e32 v17, 28, v5
	v_lshlrev_b64 v[16:17], v17, v[16:17]
	v_sub_u32_e32 v5, 29, v5
	v_and_b32_e32 v16, 7, v16
	v_cndmask_b32_e32 v5, v29, v5, vcc
	v_cndmask_b32_e32 v2, v2, v16, vcc
	v_lshlrev_b32_e32 v16, 24, v30
	v_bfrev_b32_e32 v17, 60
	v_lshlrev_b32_e32 v2, 20, v2
	v_and_b32_e32 v16, 0x80000000, v16
	v_lshl_add_u32 v5, v5, 23, v17
	v_or3_b32 v2, v16, v5, v2
.LBB6_16403:                            ;   in Loop: Header=BB6_14596 Depth=3
	s_or_b64 exec, exec, s[36:37]
.LBB6_16404:                            ;   in Loop: Header=BB6_14596 Depth=3
	s_or_b64 exec, exec, s[34:35]
.LBB6_16405:                            ;   in Loop: Header=BB6_14596 Depth=3
	s_or_b64 exec, exec, s[28:29]
	v_add_f32_e32 v4, v4, v2
	v_and_b32_e32 v16, 0x7f800000, v4
	v_mov_b32_e32 v17, v51
	v_cmp_ne_u64_e32 vcc, s[76:77], v[16:17]
                                        ; implicit-def: $vgpr29
	s_and_saveexec_b64 s[28:29], vcc
	s_xor_b64 s[34:35], exec, s[28:29]
	s_cbranch_execz .LBB6_16423
; %bb.16406:                            ;   in Loop: Header=BB6_14596 Depth=3
	v_and_b32_e32 v16, 0x7fffffff, v4
	v_mov_b32_e32 v17, v51
	v_cmp_gt_u64_e32 vcc, s[78:79], v[16:17]
	v_and_b32_sdwa v2, v4, s96 dst_sel:DWORD dst_unused:UNUSED_PAD src0_sel:BYTE_3 src1_sel:DWORD
                                        ; implicit-def: $vgpr29
	s_and_saveexec_b64 s[28:29], vcc
	s_xor_b64 s[36:37], exec, s[28:29]
	s_cbranch_execz .LBB6_16420
; %bb.16407:                            ;   in Loop: Header=BB6_14596 Depth=3
	v_cmp_ne_u32_e32 vcc, 0, v4
	v_mov_b32_e32 v29, 0
	s_and_saveexec_b64 s[38:39], vcc
	s_cbranch_execz .LBB6_16419
; %bb.16408:                            ;   in Loop: Header=BB6_14596 Depth=3
	v_bfe_u32 v29, v4, 23, 8
	v_and_b32_e32 v5, 0x7fffff, v4
	v_cmp_gt_u32_e64 s[28:29], s97, v29
	v_sub_u32_e32 v4, 0x79, v29
	v_cmp_eq_u32_e32 vcc, 0, v29
	v_cndmask_b32_e64 v4, 0, v4, s[28:29]
	v_mov_b32_e32 v17, 0x78
	v_or_b32_e32 v16, 0x800000, v5
	v_cndmask_b32_e32 v30, v4, v17, vcc
	v_cndmask_b32_e32 v4, v16, v5, vcc
	v_add_u32_e32 v16, 20, v30
	v_lshlrev_b64 v[16:17], v16, -1
	v_add_u32_e32 v31, 19, v30
	v_lshlrev_b64 v[31:32], v31, 1
	v_mov_b32_e32 v5, v51
	v_bfi_b32 v17, v17, 0, 0
	v_bfi_b32 v16, v16, 0, v4
	v_cmp_eq_u64_e64 s[28:29], v[16:17], v[31:32]
	v_lshrrev_b64 v[16:17], v30, v[4:5]
	v_mov_b32_e32 v4, v16
	v_mov_b32_e32 v5, v17
	s_and_saveexec_b64 s[48:49], s[28:29]
; %bb.16409:                            ;   in Loop: Header=BB6_14596 Depth=3
	v_bfe_u32 v4, v16, 20, 1
	v_add_co_u32_e64 v4, s[28:29], v16, v4
	v_add_co_u32_e64 v4, s[28:29], -1, v4
; %bb.16410:                            ;   in Loop: Header=BB6_14596 Depth=3
	s_or_b64 exec, exec, s[48:49]
	v_add_u32_e32 v5, 0xffffff81, v29
	v_mov_b32_e32 v17, 0xffffff82
	v_cndmask_b32_e32 v5, v5, v17, vcc
	v_lshrrev_b32_e32 v17, 23, v16
	v_add3_u32 v29, v30, v5, v17
	v_add_u32_e32 v5, 6, v29
	v_and_b32_e32 v4, 0xfffff, v4
	v_add_u32_e32 v16, v4, v16
	v_mov_b32_e32 v17, v51
	v_cmp_ne_u32_e32 vcc, 0, v5
                                        ; implicit-def: $vgpr4
	s_and_saveexec_b64 s[28:29], vcc
	s_xor_b64 s[28:29], exec, s[28:29]
; %bb.16411:                            ;   in Loop: Header=BB6_14596 Depth=3
	v_cmp_lt_u64_e32 vcc, s[88:89], v[16:17]
	v_add_u32_e32 v4, 7, v29
	v_cndmask_b32_e32 v4, v5, v4, vcc
	v_cndmask_b32_e64 v5, 0, 1, vcc
	v_lshrrev_b64 v[16:17], v5, v[16:17]
; %bb.16412:                            ;   in Loop: Header=BB6_14596 Depth=3
	s_andn2_saveexec_b64 s[28:29], s[28:29]
; %bb.16413:                            ;   in Loop: Header=BB6_14596 Depth=3
	v_bfe_u32 v4, v16, 23, 1
; %bb.16414:                            ;   in Loop: Header=BB6_14596 Depth=3
	s_or_b64 exec, exec, s[28:29]
	v_lshrrev_b64 v[16:17], 20, v[16:17]
	v_cmp_gt_i32_e32 vcc, 16, v4
	v_cndmask_b32_e32 v17, 0, v17, vcc
	v_cndmask_b32_e32 v16, 7, v16, vcc
	v_cmp_ne_u64_e32 vcc, 0, v[16:17]
	v_cmp_ne_u32_e64 s[28:29], 0, v4
	s_or_b64 s[28:29], s[28:29], vcc
                                        ; implicit-def: $vgpr29
	s_and_saveexec_b64 vcc, s[28:29]
	s_xor_b64 s[28:29], exec, vcc
; %bb.16415:                            ;   in Loop: Header=BB6_14596 Depth=3
	v_min_i32_e32 v4, 15, v4
	v_lshl_or_b32 v2, v4, 3, v2
	v_and_or_b32 v29, v16, 7, v2
                                        ; implicit-def: $vgpr2
; %bb.16416:                            ;   in Loop: Header=BB6_14596 Depth=3
	s_andn2_saveexec_b64 s[28:29], s[28:29]
; %bb.16417:                            ;   in Loop: Header=BB6_14596 Depth=3
	v_mov_b32_e32 v29, v2
; %bb.16418:                            ;   in Loop: Header=BB6_14596 Depth=3
	s_or_b64 exec, exec, s[28:29]
.LBB6_16419:                            ;   in Loop: Header=BB6_14596 Depth=3
	s_or_b64 exec, exec, s[38:39]
                                        ; implicit-def: $vgpr2
.LBB6_16420:                            ;   in Loop: Header=BB6_14596 Depth=3
	s_andn2_saveexec_b64 s[28:29], s[36:37]
; %bb.16421:                            ;   in Loop: Header=BB6_14596 Depth=3
	v_or_b32_e32 v29, 0x7e, v2
; %bb.16422:                            ;   in Loop: Header=BB6_14596 Depth=3
	s_or_b64 exec, exec, s[28:29]
                                        ; implicit-def: $vgpr4
.LBB6_16423:                            ;   in Loop: Header=BB6_14596 Depth=3
	s_andn2_saveexec_b64 s[28:29], s[34:35]
; %bb.16424:                            ;   in Loop: Header=BB6_14596 Depth=3
	v_or_b32_sdwa v29, v4, s86 dst_sel:DWORD dst_unused:UNUSED_PAD src0_sel:BYTE_3 src1_sel:DWORD
; %bb.16425:                            ;   in Loop: Header=BB6_14596 Depth=3
	s_or_b64 exec, exec, s[28:29]
	v_and_b32_e32 v16, 0xff, v45
	v_cmp_ne_u16_e32 vcc, 0, v16
	v_mov_b32_e32 v2, 0
	v_mov_b32_e32 v4, 0
	s_and_saveexec_b64 s[28:29], vcc
	s_cbranch_execz .LBB6_16431
; %bb.16426:                            ;   in Loop: Header=BB6_14596 Depth=3
	v_cmp_ne_u16_e32 vcc, s96, v16
	v_bfrev_b32_e32 v4, 1
	s_and_saveexec_b64 s[34:35], vcc
	s_cbranch_execz .LBB6_16430
; %bb.16427:                            ;   in Loop: Header=BB6_14596 Depth=3
	v_and_b32_e32 v5, 0x7f, v45
	v_cmp_ne_u32_e32 vcc, s86, v5
	v_mov_b32_e32 v4, 0x7f800001
	s_and_saveexec_b64 s[36:37], vcc
	s_cbranch_execz .LBB6_16429
; %bb.16428:                            ;   in Loop: Header=BB6_14596 Depth=3
	v_and_b32_e32 v17, 7, v16
	v_ffbh_u32_e32 v4, v17
	v_min_u32_e32 v31, 32, v4
	v_subrev_u32_e32 v4, 28, v31
	v_lshrrev_b32_e32 v30, 3, v5
	v_cmp_gt_u32_e32 vcc, 8, v5
	v_lshlrev_b64 v[4:5], v4, v[16:17]
	v_sub_u32_e32 v5, 29, v31
	v_and_b32_e32 v4, 7, v4
	v_cndmask_b32_e32 v5, v30, v5, vcc
	v_cndmask_b32_e32 v4, v17, v4, vcc
	v_lshlrev_b32_e32 v16, 24, v45
	v_bfrev_b32_e32 v17, 60
	v_lshlrev_b32_e32 v4, 20, v4
	v_and_b32_e32 v16, 0x80000000, v16
	v_lshl_add_u32 v5, v5, 23, v17
	v_or3_b32 v4, v16, v5, v4
.LBB6_16429:                            ;   in Loop: Header=BB6_14596 Depth=3
	s_or_b64 exec, exec, s[36:37]
.LBB6_16430:                            ;   in Loop: Header=BB6_14596 Depth=3
	s_or_b64 exec, exec, s[34:35]
.LBB6_16431:                            ;   in Loop: Header=BB6_14596 Depth=3
	s_or_b64 exec, exec, s[28:29]
	v_and_b32_e32 v16, 0xff, v39
	v_cmp_ne_u16_e32 vcc, 0, v16
	s_and_saveexec_b64 s[28:29], vcc
	s_cbranch_execz .LBB6_16437
; %bb.16432:                            ;   in Loop: Header=BB6_14596 Depth=3
	v_cmp_ne_u16_e32 vcc, s96, v16
	v_bfrev_b32_e32 v2, 1
	s_and_saveexec_b64 s[34:35], vcc
	s_cbranch_execz .LBB6_16436
; %bb.16433:                            ;   in Loop: Header=BB6_14596 Depth=3
	v_and_b32_e32 v5, 0x7f, v39
	v_cmp_ne_u32_e32 vcc, s86, v5
	v_mov_b32_e32 v2, 0x7f800001
	s_and_saveexec_b64 s[36:37], vcc
	s_cbranch_execz .LBB6_16435
; %bb.16434:                            ;   in Loop: Header=BB6_14596 Depth=3
	v_and_b32_e32 v2, 7, v16
	v_lshrrev_b32_e32 v30, 3, v5
	v_cmp_gt_u32_e32 vcc, 8, v5
	v_ffbh_u32_e32 v5, v2
	v_min_u32_e32 v5, 32, v5
	v_subrev_u32_e32 v17, 28, v5
	v_lshlrev_b64 v[16:17], v17, v[16:17]
	v_sub_u32_e32 v5, 29, v5
	v_and_b32_e32 v16, 7, v16
	v_cndmask_b32_e32 v5, v30, v5, vcc
	v_cndmask_b32_e32 v2, v2, v16, vcc
	v_lshlrev_b32_e32 v16, 24, v39
	v_bfrev_b32_e32 v17, 60
	v_lshlrev_b32_e32 v2, 20, v2
	v_and_b32_e32 v16, 0x80000000, v16
	v_lshl_add_u32 v5, v5, 23, v17
	v_or3_b32 v2, v16, v5, v2
.LBB6_16435:                            ;   in Loop: Header=BB6_14596 Depth=3
	s_or_b64 exec, exec, s[36:37]
.LBB6_16436:                            ;   in Loop: Header=BB6_14596 Depth=3
	s_or_b64 exec, exec, s[34:35]
.LBB6_16437:                            ;   in Loop: Header=BB6_14596 Depth=3
	s_or_b64 exec, exec, s[28:29]
	v_add_f32_e32 v5, v4, v2
	v_and_b32_e32 v16, 0x7f800000, v5
	v_mov_b32_e32 v17, v51
	v_cmp_ne_u64_e32 vcc, s[76:77], v[16:17]
                                        ; implicit-def: $vgpr4
	s_and_saveexec_b64 s[28:29], vcc
	s_xor_b64 s[34:35], exec, s[28:29]
	s_cbranch_execz .LBB6_16455
; %bb.16438:                            ;   in Loop: Header=BB6_14596 Depth=3
	v_and_b32_e32 v16, 0x7fffffff, v5
	v_mov_b32_e32 v17, v51
	v_cmp_gt_u64_e32 vcc, s[78:79], v[16:17]
	v_and_b32_sdwa v2, v5, s96 dst_sel:DWORD dst_unused:UNUSED_PAD src0_sel:BYTE_3 src1_sel:DWORD
                                        ; implicit-def: $vgpr4
	s_and_saveexec_b64 s[28:29], vcc
	s_xor_b64 s[36:37], exec, s[28:29]
	s_cbranch_execz .LBB6_16452
; %bb.16439:                            ;   in Loop: Header=BB6_14596 Depth=3
	v_cmp_ne_u32_e32 vcc, 0, v5
	v_mov_b32_e32 v4, 0
	s_and_saveexec_b64 s[38:39], vcc
	s_cbranch_execz .LBB6_16451
; %bb.16440:                            ;   in Loop: Header=BB6_14596 Depth=3
	v_bfe_u32 v30, v5, 23, 8
	v_and_b32_e32 v4, 0x7fffff, v5
	v_cmp_gt_u32_e64 s[28:29], s97, v30
	v_sub_u32_e32 v5, 0x79, v30
	v_cmp_eq_u32_e32 vcc, 0, v30
	v_cndmask_b32_e64 v5, 0, v5, s[28:29]
	v_mov_b32_e32 v17, 0x78
	v_or_b32_e32 v16, 0x800000, v4
	v_cndmask_b32_e32 v31, v5, v17, vcc
	v_cndmask_b32_e32 v4, v16, v4, vcc
	v_add_u32_e32 v16, 20, v31
	v_lshlrev_b64 v[16:17], v16, -1
	v_add_u32_e32 v32, 19, v31
	v_lshlrev_b64 v[36:37], v32, 1
	v_mov_b32_e32 v5, v51
	v_bfi_b32 v17, v17, 0, 0
	v_bfi_b32 v16, v16, 0, v4
	v_cmp_eq_u64_e64 s[28:29], v[16:17], v[36:37]
	v_lshrrev_b64 v[16:17], v31, v[4:5]
	v_mov_b32_e32 v4, v16
	v_mov_b32_e32 v5, v17
	s_and_saveexec_b64 s[48:49], s[28:29]
; %bb.16441:                            ;   in Loop: Header=BB6_14596 Depth=3
	v_bfe_u32 v4, v16, 20, 1
	v_add_co_u32_e64 v4, s[28:29], v16, v4
	v_add_co_u32_e64 v4, s[28:29], -1, v4
; %bb.16442:                            ;   in Loop: Header=BB6_14596 Depth=3
	s_or_b64 exec, exec, s[48:49]
	v_add_u32_e32 v5, 0xffffff81, v30
	v_mov_b32_e32 v17, 0xffffff82
	v_cndmask_b32_e32 v5, v5, v17, vcc
	v_lshrrev_b32_e32 v17, 23, v16
	v_add3_u32 v31, v31, v5, v17
	v_add_u32_e32 v30, 6, v31
	v_and_b32_e32 v4, 0xfffff, v4
	v_add_u32_e32 v16, v4, v16
	v_mov_b32_e32 v17, v51
	v_cmp_ne_u32_e32 vcc, 0, v30
                                        ; implicit-def: $vgpr5
	s_and_saveexec_b64 s[28:29], vcc
	s_xor_b64 s[28:29], exec, s[28:29]
; %bb.16443:                            ;   in Loop: Header=BB6_14596 Depth=3
	v_cmp_lt_u64_e32 vcc, s[88:89], v[16:17]
	v_add_u32_e32 v4, 7, v31
	v_cndmask_b32_e32 v5, v30, v4, vcc
	v_cndmask_b32_e64 v4, 0, 1, vcc
	v_lshrrev_b64 v[16:17], v4, v[16:17]
; %bb.16444:                            ;   in Loop: Header=BB6_14596 Depth=3
	s_andn2_saveexec_b64 s[28:29], s[28:29]
; %bb.16445:                            ;   in Loop: Header=BB6_14596 Depth=3
	v_bfe_u32 v5, v16, 23, 1
; %bb.16446:                            ;   in Loop: Header=BB6_14596 Depth=3
	s_or_b64 exec, exec, s[28:29]
	v_lshrrev_b64 v[16:17], 20, v[16:17]
	v_cmp_gt_i32_e32 vcc, 16, v5
	v_cndmask_b32_e32 v17, 0, v17, vcc
	v_cndmask_b32_e32 v16, 7, v16, vcc
	v_cmp_ne_u64_e32 vcc, 0, v[16:17]
	v_cmp_ne_u32_e64 s[28:29], 0, v5
	s_or_b64 s[28:29], s[28:29], vcc
                                        ; implicit-def: $vgpr4
	s_and_saveexec_b64 vcc, s[28:29]
	s_xor_b64 s[28:29], exec, vcc
; %bb.16447:                            ;   in Loop: Header=BB6_14596 Depth=3
	v_min_i32_e32 v4, 15, v5
	v_lshl_or_b32 v2, v4, 3, v2
	v_and_or_b32 v4, v16, 7, v2
                                        ; implicit-def: $vgpr2
; %bb.16448:                            ;   in Loop: Header=BB6_14596 Depth=3
	s_andn2_saveexec_b64 s[28:29], s[28:29]
; %bb.16449:                            ;   in Loop: Header=BB6_14596 Depth=3
	v_mov_b32_e32 v4, v2
; %bb.16450:                            ;   in Loop: Header=BB6_14596 Depth=3
	s_or_b64 exec, exec, s[28:29]
.LBB6_16451:                            ;   in Loop: Header=BB6_14596 Depth=3
	s_or_b64 exec, exec, s[38:39]
                                        ; implicit-def: $vgpr2
.LBB6_16452:                            ;   in Loop: Header=BB6_14596 Depth=3
	s_andn2_saveexec_b64 s[28:29], s[36:37]
; %bb.16453:                            ;   in Loop: Header=BB6_14596 Depth=3
	v_or_b32_e32 v4, 0x7e, v2
; %bb.16454:                            ;   in Loop: Header=BB6_14596 Depth=3
	s_or_b64 exec, exec, s[28:29]
                                        ; implicit-def: $vgpr5
.LBB6_16455:                            ;   in Loop: Header=BB6_14596 Depth=3
	s_andn2_saveexec_b64 s[28:29], s[34:35]
	s_cbranch_execz .LBB6_14595
; %bb.16456:                            ;   in Loop: Header=BB6_14596 Depth=3
	v_or_b32_sdwa v4, v5, s86 dst_sel:DWORD dst_unused:UNUSED_PAD src0_sel:BYTE_3 src1_sel:DWORD
	s_branch .LBB6_14595
.LBB6_16457:                            ;   in Loop: Header=BB6_10483 Depth=2
	s_or_b64 exec, exec, s[30:31]
	buffer_load_dword v6, off, s[0:3], s33 offset:176 ; 4-byte Folded Reload
	buffer_load_dword v3, off, s[0:3], s33 offset:180 ; 4-byte Folded Reload
	;; [unrolled: 1-line block ×5, first 2 shown]
.LBB6_16458:                            ;   in Loop: Header=BB6_10483 Depth=2
	s_or_b64 exec, exec, s[40:41]
	s_waitcnt vmcnt(0)
	v_lshlrev_b32_e32 v0, 11, v1
	v_cmp_ne_u32_e32 vcc, v3, v0
	s_and_b64 exec, exec, vcc
	s_cbranch_execz .LBB6_16527
; %bb.16459:                            ;   in Loop: Header=BB6_10483 Depth=2
	v_lshlrev_b32_e32 v1, 6, v4
	v_sub_u32_e32 v1, v2, v1
	v_lshlrev_b32_e32 v2, 6, v19
	v_sub_u32_e32 v1, v1, v2
	v_add_u32_e32 v1, v0, v1
	v_sub_u32_e32 v0, v3, v1
	v_cmp_lt_i32_e32 vcc, 0, v0
	s_and_b64 exec, exec, vcc
	s_cbranch_execz .LBB6_16527
; %bb.16460:                            ;   in Loop: Header=BB6_10483 Depth=2
	s_trap 2
	ds_read_b128 v[2:5], v0
	v_add_u32_e32 v1, v1, v6
	v_ashrrev_i32_e32 v6, 31, v1
	s_mov_b64 s[30:31], 0
	s_waitcnt lgkmcnt(0)
	v_add_co_u32_e32 v8, vcc, v2, v1
	v_addc_co_u32_e32 v9, vcc, v3, v6, vcc
	v_add_co_u32_e32 v10, vcc, v4, v1
	v_addc_co_u32_e32 v11, vcc, v5, v6, vcc
	v_mov_b32_e32 v13, v9
	v_mov_b32_e32 v15, v11
	;; [unrolled: 1-line block ×4, first 2 shown]
.LBB6_16461:                            ;   Parent Loop BB6_47 Depth=1
                                        ;     Parent Loop BB6_10483 Depth=2
                                        ; =>    This Loop Header: Depth=3
                                        ;         Child Loop BB6_16525 Depth 4
	s_trap 2
	ds_read_b64 v[4:5], v0
	s_waitcnt lgkmcnt(0)
	v_cmp_eq_u32_sdwa s[40:41], v4, v51 src0_sel:BYTE_0 src1_sel:DWORD
	v_readfirstlane_b32 s28, v4
	v_readfirstlane_b32 s29, v5
	s_and_b64 vcc, exec, s[40:41]
	s_cbranch_vccnz .LBB6_16465
; %bb.16462:                            ;   in Loop: Header=BB6_16461 Depth=3
	v_cmp_eq_u32_sdwa s[40:41], v4, s96 src0_sel:BYTE_0 src1_sel:DWORD
	s_brev_b32 s9, 1
	s_and_b64 vcc, exec, s[40:41]
	s_cbranch_vccnz .LBB6_16466
; %bb.16463:                            ;   in Loop: Header=BB6_16461 Depth=3
	s_and_b32 s40, s28, 0x7f
	s_cmpk_eq_i32 s40, 0x7f
	s_mov_b32 s9, 0x7f800001
	s_cbranch_scc1 .LBB6_16466
; %bb.16464:                            ;   in Loop: Header=BB6_16461 Depth=3
	s_and_b32 s9, s28, 7
	s_flbit_i32_b32 s9, s9
	s_min_u32 s9, s9, 32
	s_lshr_b32 s41, s40, 3
	s_sub_i32 vcc_lo, s9, 28
	s_sub_i32 s9, 29, s9
	s_cmp_lt_u32 s40, 8
	s_cselect_b32 s9, s9, s41
	s_cselect_b32 s40, vcc_lo, 0
	s_lshl_b64 s[40:41], s[28:29], s40
	s_lshl_b32 s28, s28, 24
	s_lshl_b32 s9, s9, 23
	;; [unrolled: 1-line block ×3, first 2 shown]
	s_and_b32 s28, s28, 0x80000000
	s_add_i32 s9, s9, 0x3c000000
	s_and_b32 s29, s29, 0x700000
	s_or_b32 s9, s28, s9
	s_or_b32 s9, s9, s29
	s_branch .LBB6_16466
.LBB6_16465:                            ;   in Loop: Header=BB6_16461 Depth=3
	s_mov_b32 s9, 0
.LBB6_16466:                            ;   in Loop: Header=BB6_16461 Depth=3
	flat_load_ubyte v1, v[12:13] glc slc
	v_mov_b32_e32 v2, 0
	s_waitcnt vmcnt(0) lgkmcnt(0)
	v_cmp_ne_u16_e32 vcc, 0, v1
	s_and_saveexec_b64 s[28:29], vcc
	s_cbranch_execz .LBB6_16472
; %bb.16467:                            ;   in Loop: Header=BB6_16461 Depth=3
	v_cmp_ne_u16_e32 vcc, s96, v1
	v_bfrev_b32_e32 v2, 1
	s_and_saveexec_b64 s[40:41], vcc
	s_cbranch_execz .LBB6_16471
; %bb.16468:                            ;   in Loop: Header=BB6_16461 Depth=3
	v_and_b32_e32 v16, 0xffff, v1
	v_and_b32_e32 v3, 0x7f, v16
	v_cmp_ne_u32_e32 vcc, s86, v3
	v_mov_b32_e32 v2, 0x7f800001
	s_and_saveexec_b64 s[34:35], vcc
	s_cbranch_execz .LBB6_16470
; %bb.16469:                            ;   in Loop: Header=BB6_16461 Depth=3
	v_and_b32_e32 v4, 7, v16
	v_ffbh_u32_e32 v2, v4
	v_min_u32_e32 v6, 32, v2
	v_subrev_u32_e32 v2, 28, v6
	v_lshrrev_b32_e32 v5, 3, v3
	v_cmp_gt_u32_e32 vcc, 8, v3
	v_lshlrev_b64 v[2:3], v2, v[16:17]
	v_sub_u32_e32 v3, 29, v6
	v_and_b32_e32 v2, 7, v2
	v_cndmask_b32_e32 v3, v5, v3, vcc
	v_cndmask_b32_e32 v2, v4, v2, vcc
	v_lshlrev_b32_e32 v1, 24, v1
	v_bfrev_b32_e32 v4, 60
	v_lshlrev_b32_e32 v2, 20, v2
	v_and_b32_e32 v1, 0x80000000, v1
	v_lshl_add_u32 v3, v3, 23, v4
	v_or3_b32 v2, v1, v3, v2
.LBB6_16470:                            ;   in Loop: Header=BB6_16461 Depth=3
	s_or_b64 exec, exec, s[34:35]
.LBB6_16471:                            ;   in Loop: Header=BB6_16461 Depth=3
	s_or_b64 exec, exec, s[40:41]
.LBB6_16472:                            ;   in Loop: Header=BB6_16461 Depth=3
	s_or_b64 exec, exec, s[28:29]
	v_mul_f32_e32 v3, s9, v2
	v_and_b32_e32 v1, 0x7f800000, v3
	v_mov_b32_e32 v2, v51
	v_cmp_ne_u64_e32 vcc, s[76:77], v[1:2]
                                        ; implicit-def: $vgpr2
	s_and_saveexec_b64 s[28:29], vcc
	s_xor_b64 s[40:41], exec, s[28:29]
	s_cbranch_execz .LBB6_16490
; %bb.16473:                            ;   in Loop: Header=BB6_16461 Depth=3
	v_and_b32_e32 v1, 0x7fffffff, v3
	v_mov_b32_e32 v2, v51
	v_cmp_gt_u64_e32 vcc, s[78:79], v[1:2]
	v_and_b32_sdwa v1, v3, s96 dst_sel:DWORD dst_unused:UNUSED_PAD src0_sel:BYTE_3 src1_sel:DWORD
                                        ; implicit-def: $vgpr2
	s_and_saveexec_b64 s[28:29], vcc
	s_xor_b64 s[34:35], exec, s[28:29]
	s_cbranch_execz .LBB6_16487
; %bb.16474:                            ;   in Loop: Header=BB6_16461 Depth=3
	v_cmp_ne_u32_e32 vcc, 0, v3
	v_mov_b32_e32 v2, 0
	s_and_saveexec_b64 s[36:37], vcc
	s_cbranch_execz .LBB6_16486
; %bb.16475:                            ;   in Loop: Header=BB6_16461 Depth=3
	v_bfe_u32 v2, v3, 23, 8
	v_and_b32_e32 v4, 0x7fffff, v3
	v_cmp_gt_u32_e64 s[28:29], s97, v2
	v_sub_u32_e32 v3, 0x79, v2
	v_cmp_eq_u32_e32 vcc, 0, v2
	v_cndmask_b32_e64 v3, 0, v3, s[28:29]
	v_mov_b32_e32 v6, 0x78
	v_cndmask_b32_e32 v3, v3, v6, vcc
	v_add_u32_e32 v6, 20, v3
	v_or_b32_e32 v5, 0x800000, v4
	v_lshlrev_b64 v[6:7], v6, -1
	v_add_u32_e32 v16, 19, v3
	v_cndmask_b32_e32 v4, v5, v4, vcc
	v_lshlrev_b64 v[16:17], v16, 1
	v_mov_b32_e32 v5, v51
	v_bfi_b32 v7, v7, 0, 0
	v_bfi_b32 v6, v6, 0, v4
	v_cmp_eq_u64_e64 s[28:29], v[6:7], v[16:17]
	v_lshrrev_b64 v[16:17], v3, v[4:5]
	v_mov_b32_e32 v4, v16
	v_mov_b32_e32 v5, v17
	s_and_saveexec_b64 s[38:39], s[28:29]
; %bb.16476:                            ;   in Loop: Header=BB6_16461 Depth=3
	v_bfe_u32 v4, v16, 20, 1
	v_add_co_u32_e64 v4, s[28:29], v16, v4
	v_add_co_u32_e64 v4, s[28:29], -1, v4
; %bb.16477:                            ;   in Loop: Header=BB6_16461 Depth=3
	s_or_b64 exec, exec, s[38:39]
	v_add_u32_e32 v2, 0xffffff81, v2
	v_mov_b32_e32 v5, 0xffffff82
	v_cndmask_b32_e32 v2, v2, v5, vcc
	v_lshrrev_b32_e32 v5, 23, v16
	v_add3_u32 v5, v3, v2, v5
	v_add_u32_e32 v2, 6, v5
	v_and_b32_e32 v3, 0xfffff, v4
	v_add_u32_e32 v16, v3, v16
	v_mov_b32_e32 v17, v51
	v_cmp_ne_u32_e32 vcc, 0, v2
                                        ; implicit-def: $vgpr3
	s_and_saveexec_b64 s[28:29], vcc
	s_xor_b64 s[28:29], exec, s[28:29]
; %bb.16478:                            ;   in Loop: Header=BB6_16461 Depth=3
	v_cmp_lt_u64_e32 vcc, s[88:89], v[16:17]
	v_add_u32_e32 v3, 7, v5
	v_cndmask_b32_e32 v3, v2, v3, vcc
	v_cndmask_b32_e64 v2, 0, 1, vcc
	v_lshrrev_b64 v[16:17], v2, v[16:17]
; %bb.16479:                            ;   in Loop: Header=BB6_16461 Depth=3
	s_andn2_saveexec_b64 s[28:29], s[28:29]
; %bb.16480:                            ;   in Loop: Header=BB6_16461 Depth=3
	v_bfe_u32 v3, v16, 23, 1
; %bb.16481:                            ;   in Loop: Header=BB6_16461 Depth=3
	s_or_b64 exec, exec, s[28:29]
	v_lshrrev_b64 v[4:5], 20, v[16:17]
	v_cmp_gt_i32_e32 vcc, 16, v3
	v_cndmask_b32_e32 v17, 0, v5, vcc
	v_cndmask_b32_e32 v16, 7, v4, vcc
	v_cmp_ne_u64_e32 vcc, 0, v[16:17]
	v_cmp_ne_u32_e64 s[28:29], 0, v3
	s_or_b64 s[28:29], s[28:29], vcc
                                        ; implicit-def: $vgpr2
	s_and_saveexec_b64 vcc, s[28:29]
	s_xor_b64 s[28:29], exec, vcc
; %bb.16482:                            ;   in Loop: Header=BB6_16461 Depth=3
	v_min_i32_e32 v2, 15, v3
	v_lshl_or_b32 v1, v2, 3, v1
	v_and_or_b32 v2, v16, 7, v1
                                        ; implicit-def: $vgpr1
; %bb.16483:                            ;   in Loop: Header=BB6_16461 Depth=3
	s_andn2_saveexec_b64 s[28:29], s[28:29]
; %bb.16484:                            ;   in Loop: Header=BB6_16461 Depth=3
	v_mov_b32_e32 v2, v1
; %bb.16485:                            ;   in Loop: Header=BB6_16461 Depth=3
	s_or_b64 exec, exec, s[28:29]
.LBB6_16486:                            ;   in Loop: Header=BB6_16461 Depth=3
	s_or_b64 exec, exec, s[36:37]
                                        ; implicit-def: $vgpr1
.LBB6_16487:                            ;   in Loop: Header=BB6_16461 Depth=3
	s_andn2_saveexec_b64 s[28:29], s[34:35]
; %bb.16488:                            ;   in Loop: Header=BB6_16461 Depth=3
	v_or_b32_e32 v2, 0x7e, v1
; %bb.16489:                            ;   in Loop: Header=BB6_16461 Depth=3
	s_or_b64 exec, exec, s[28:29]
                                        ; implicit-def: $vgpr3
.LBB6_16490:                            ;   in Loop: Header=BB6_16461 Depth=3
	s_andn2_saveexec_b64 s[28:29], s[40:41]
; %bb.16491:                            ;   in Loop: Header=BB6_16461 Depth=3
	v_or_b32_sdwa v2, v3, s86 dst_sel:DWORD dst_unused:UNUSED_PAD src0_sel:BYTE_3 src1_sel:DWORD
; %bb.16492:                            ;   in Loop: Header=BB6_16461 Depth=3
	s_or_b64 exec, exec, s[28:29]
	flat_load_ubyte v3, v[14:15] glc slc
	v_and_b32_e32 v16, 0xff, v2
	v_cmp_ne_u16_e32 vcc, 0, v16
	v_mov_b32_e32 v1, 0
	v_mov_b32_e32 v4, 0
	s_and_saveexec_b64 s[28:29], vcc
	s_cbranch_execz .LBB6_16498
; %bb.16493:                            ;   in Loop: Header=BB6_16461 Depth=3
	v_cmp_ne_u16_e32 vcc, s96, v16
	v_bfrev_b32_e32 v4, 1
	s_and_saveexec_b64 s[40:41], vcc
	s_cbranch_execz .LBB6_16497
; %bb.16494:                            ;   in Loop: Header=BB6_16461 Depth=3
	v_and_b32_e32 v5, 0x7f, v2
	v_cmp_ne_u32_e32 vcc, s86, v5
	v_mov_b32_e32 v4, 0x7f800001
	s_and_saveexec_b64 s[34:35], vcc
	s_cbranch_execz .LBB6_16496
; %bb.16495:                            ;   in Loop: Header=BB6_16461 Depth=3
	v_and_b32_e32 v6, 7, v16
	v_ffbh_u32_e32 v4, v6
	v_min_u32_e32 v17, 32, v4
	v_subrev_u32_e32 v4, 28, v17
	v_lshrrev_b32_e32 v7, 3, v5
	v_cmp_gt_u32_e32 vcc, 8, v5
	v_lshlrev_b64 v[4:5], v4, v[16:17]
	v_sub_u32_e32 v5, 29, v17
	v_and_b32_e32 v4, 7, v4
	v_cndmask_b32_e32 v5, v7, v5, vcc
	v_cndmask_b32_e32 v4, v6, v4, vcc
	v_lshlrev_b32_e32 v2, 24, v2
	v_bfrev_b32_e32 v6, 60
	v_lshlrev_b32_e32 v4, 20, v4
	v_and_b32_e32 v2, 0x80000000, v2
	v_lshl_add_u32 v5, v5, 23, v6
	v_or3_b32 v4, v2, v5, v4
.LBB6_16496:                            ;   in Loop: Header=BB6_16461 Depth=3
	s_or_b64 exec, exec, s[34:35]
.LBB6_16497:                            ;   in Loop: Header=BB6_16461 Depth=3
	s_or_b64 exec, exec, s[40:41]
.LBB6_16498:                            ;   in Loop: Header=BB6_16461 Depth=3
	s_or_b64 exec, exec, s[28:29]
	s_waitcnt vmcnt(0) lgkmcnt(0)
	v_and_b32_e32 v16, 0xff, v3
	v_cmp_ne_u16_e32 vcc, 0, v16
	s_and_saveexec_b64 s[28:29], vcc
	s_cbranch_execz .LBB6_16504
; %bb.16499:                            ;   in Loop: Header=BB6_16461 Depth=3
	v_cmp_ne_u16_e32 vcc, s96, v16
	v_bfrev_b32_e32 v1, 1
	s_and_saveexec_b64 s[40:41], vcc
	s_cbranch_execz .LBB6_16503
; %bb.16500:                            ;   in Loop: Header=BB6_16461 Depth=3
	v_and_b32_e32 v2, 0x7f, v3
	v_cmp_ne_u32_e32 vcc, s86, v2
	v_mov_b32_e32 v1, 0x7f800001
	s_and_saveexec_b64 s[34:35], vcc
	s_cbranch_execz .LBB6_16502
; %bb.16501:                            ;   in Loop: Header=BB6_16461 Depth=3
	v_and_b32_e32 v5, 7, v16
	v_lshlrev_b32_e32 v1, 24, v3
	v_and_b32_e32 v3, 0x80000000, v1
	v_ffbh_u32_e32 v1, v5
	v_min_u32_e32 v7, 32, v1
	v_subrev_u32_e32 v1, 28, v7
	v_lshrrev_b32_e32 v6, 3, v2
	v_cmp_gt_u32_e32 vcc, 8, v2
	v_lshlrev_b64 v[1:2], v1, v[16:17]
	v_sub_u32_e32 v2, 29, v7
	v_and_b32_e32 v1, 7, v1
	v_cndmask_b32_e32 v2, v6, v2, vcc
	v_cndmask_b32_e32 v1, v5, v1, vcc
	v_bfrev_b32_e32 v5, 60
	v_lshlrev_b32_e32 v1, 20, v1
	v_lshl_add_u32 v2, v2, 23, v5
	v_or3_b32 v1, v3, v2, v1
.LBB6_16502:                            ;   in Loop: Header=BB6_16461 Depth=3
	s_or_b64 exec, exec, s[34:35]
.LBB6_16503:                            ;   in Loop: Header=BB6_16461 Depth=3
	s_or_b64 exec, exec, s[40:41]
.LBB6_16504:                            ;   in Loop: Header=BB6_16461 Depth=3
	s_or_b64 exec, exec, s[28:29]
	v_add_f32_e32 v3, v4, v1
	v_and_b32_e32 v1, 0x7f800000, v3
	v_mov_b32_e32 v2, v51
	v_cmp_ne_u64_e32 vcc, s[76:77], v[1:2]
                                        ; implicit-def: $vgpr2
	s_and_saveexec_b64 s[28:29], vcc
	s_xor_b64 s[40:41], exec, s[28:29]
	s_cbranch_execz .LBB6_16522
; %bb.16505:                            ;   in Loop: Header=BB6_16461 Depth=3
	v_and_b32_e32 v1, 0x7fffffff, v3
	v_mov_b32_e32 v2, v51
	v_cmp_gt_u64_e32 vcc, s[78:79], v[1:2]
	v_and_b32_sdwa v1, v3, s96 dst_sel:DWORD dst_unused:UNUSED_PAD src0_sel:BYTE_3 src1_sel:DWORD
                                        ; implicit-def: $vgpr2
	s_and_saveexec_b64 s[28:29], vcc
	s_xor_b64 s[34:35], exec, s[28:29]
	s_cbranch_execz .LBB6_16519
; %bb.16506:                            ;   in Loop: Header=BB6_16461 Depth=3
	v_cmp_ne_u32_e32 vcc, 0, v3
	v_mov_b32_e32 v2, 0
	s_and_saveexec_b64 s[36:37], vcc
	s_cbranch_execz .LBB6_16518
; %bb.16507:                            ;   in Loop: Header=BB6_16461 Depth=3
	v_bfe_u32 v2, v3, 23, 8
	v_and_b32_e32 v4, 0x7fffff, v3
	v_cmp_gt_u32_e64 s[28:29], s97, v2
	v_sub_u32_e32 v3, 0x79, v2
	v_cmp_eq_u32_e32 vcc, 0, v2
	v_cndmask_b32_e64 v3, 0, v3, s[28:29]
	v_mov_b32_e32 v6, 0x78
	v_cndmask_b32_e32 v3, v3, v6, vcc
	v_add_u32_e32 v6, 20, v3
	v_or_b32_e32 v5, 0x800000, v4
	v_lshlrev_b64 v[6:7], v6, -1
	v_add_u32_e32 v16, 19, v3
	v_cndmask_b32_e32 v4, v5, v4, vcc
	v_lshlrev_b64 v[16:17], v16, 1
	v_mov_b32_e32 v5, v51
	v_bfi_b32 v7, v7, 0, 0
	v_bfi_b32 v6, v6, 0, v4
	v_cmp_eq_u64_e64 s[28:29], v[6:7], v[16:17]
	v_lshrrev_b64 v[16:17], v3, v[4:5]
	v_mov_b32_e32 v4, v16
	v_mov_b32_e32 v5, v17
	s_and_saveexec_b64 s[38:39], s[28:29]
; %bb.16508:                            ;   in Loop: Header=BB6_16461 Depth=3
	v_bfe_u32 v4, v16, 20, 1
	v_add_co_u32_e64 v4, s[28:29], v16, v4
	v_add_co_u32_e64 v4, s[28:29], -1, v4
; %bb.16509:                            ;   in Loop: Header=BB6_16461 Depth=3
	s_or_b64 exec, exec, s[38:39]
	v_add_u32_e32 v2, 0xffffff81, v2
	v_mov_b32_e32 v5, 0xffffff82
	v_cndmask_b32_e32 v2, v2, v5, vcc
	v_lshrrev_b32_e32 v5, 23, v16
	v_add3_u32 v5, v3, v2, v5
	v_add_u32_e32 v2, 6, v5
	v_and_b32_e32 v3, 0xfffff, v4
	v_add_u32_e32 v16, v3, v16
	v_mov_b32_e32 v17, v51
	v_cmp_ne_u32_e32 vcc, 0, v2
                                        ; implicit-def: $vgpr3
	s_and_saveexec_b64 s[28:29], vcc
	s_xor_b64 s[28:29], exec, s[28:29]
; %bb.16510:                            ;   in Loop: Header=BB6_16461 Depth=3
	v_cmp_lt_u64_e32 vcc, s[88:89], v[16:17]
	v_add_u32_e32 v3, 7, v5
	v_cndmask_b32_e32 v3, v2, v3, vcc
	v_cndmask_b32_e64 v2, 0, 1, vcc
	v_lshrrev_b64 v[16:17], v2, v[16:17]
; %bb.16511:                            ;   in Loop: Header=BB6_16461 Depth=3
	s_andn2_saveexec_b64 s[28:29], s[28:29]
; %bb.16512:                            ;   in Loop: Header=BB6_16461 Depth=3
	v_bfe_u32 v3, v16, 23, 1
; %bb.16513:                            ;   in Loop: Header=BB6_16461 Depth=3
	s_or_b64 exec, exec, s[28:29]
	v_lshrrev_b64 v[4:5], 20, v[16:17]
	v_cmp_gt_i32_e32 vcc, 16, v3
	v_cndmask_b32_e32 v17, 0, v5, vcc
	v_cndmask_b32_e32 v16, 7, v4, vcc
	v_cmp_ne_u64_e32 vcc, 0, v[16:17]
	v_cmp_ne_u32_e64 s[28:29], 0, v3
	s_or_b64 s[28:29], s[28:29], vcc
                                        ; implicit-def: $vgpr2
	s_and_saveexec_b64 vcc, s[28:29]
	s_xor_b64 s[28:29], exec, vcc
; %bb.16514:                            ;   in Loop: Header=BB6_16461 Depth=3
	v_min_i32_e32 v2, 15, v3
	v_lshl_or_b32 v1, v2, 3, v1
	v_and_or_b32 v2, v16, 7, v1
                                        ; implicit-def: $vgpr1
; %bb.16515:                            ;   in Loop: Header=BB6_16461 Depth=3
	s_andn2_saveexec_b64 s[28:29], s[28:29]
; %bb.16516:                            ;   in Loop: Header=BB6_16461 Depth=3
	v_mov_b32_e32 v2, v1
; %bb.16517:                            ;   in Loop: Header=BB6_16461 Depth=3
	s_or_b64 exec, exec, s[28:29]
.LBB6_16518:                            ;   in Loop: Header=BB6_16461 Depth=3
	s_or_b64 exec, exec, s[36:37]
                                        ; implicit-def: $vgpr1
.LBB6_16519:                            ;   in Loop: Header=BB6_16461 Depth=3
	s_andn2_saveexec_b64 s[28:29], s[34:35]
; %bb.16520:                            ;   in Loop: Header=BB6_16461 Depth=3
	v_or_b32_e32 v2, 0x7e, v1
; %bb.16521:                            ;   in Loop: Header=BB6_16461 Depth=3
	s_or_b64 exec, exec, s[28:29]
                                        ; implicit-def: $vgpr3
.LBB6_16522:                            ;   in Loop: Header=BB6_16461 Depth=3
	s_andn2_saveexec_b64 s[28:29], s[40:41]
; %bb.16523:                            ;   in Loop: Header=BB6_16461 Depth=3
	v_or_b32_sdwa v2, v3, s86 dst_sel:DWORD dst_unused:UNUSED_PAD src0_sel:BYTE_3 src1_sel:DWORD
; %bb.16524:                            ;   in Loop: Header=BB6_16461 Depth=3
	s_or_b64 exec, exec, s[28:29]
	s_mov_b64 s[36:37], 0
	s_mov_b64 s[34:35], -1
.LBB6_16525:                            ;   Parent Loop BB6_47 Depth=1
                                        ;     Parent Loop BB6_10483 Depth=2
                                        ;       Parent Loop BB6_16461 Depth=3
                                        ; =>      This Inner Loop Header: Depth=4
	s_cmp_eq_u32 s36, 1
	s_cselect_b64 vcc, -1, 0
	v_cndmask_b32_e32 v3, v8, v10, vcc
	v_cndmask_b32_e32 v4, v9, v11, vcc
	v_add_co_u32_e64 v1, s[28:29], 64, v3
	s_cmp_eq_u32 s36, 0
	flat_store_byte v[3:4], v2 glc slc
	v_addc_co_u32_e64 v3, s[28:29], 0, v4, s[28:29]
	s_cselect_b64 s[28:29], -1, 0
	s_and_b64 s[40:41], exec, s[34:35]
	s_mov_b64 s[36:37], 1
	s_mov_b64 s[34:35], 0
	v_cndmask_b32_e32 v11, v11, v3, vcc
	v_cndmask_b32_e32 v10, v10, v1, vcc
	v_cndmask_b32_e64 v9, v9, v3, s[28:29]
	v_cndmask_b32_e64 v8, v8, v1, s[28:29]
	s_mov_b64 vcc, s[40:41]
	s_cbranch_vccnz .LBB6_16525
; %bb.16526:                            ;   in Loop: Header=BB6_16461 Depth=3
	buffer_load_dword v1, off, s[0:3], s33 offset:380 ; 4-byte Folded Reload
	buffer_load_dword v2, off, s[0:3], s33 offset:384 ; 4-byte Folded Reload
	;; [unrolled: 1-line block ×3, first 2 shown]
	s_waitcnt vmcnt(0)
	v_add_co_u32_e32 v12, vcc, v12, v1
	v_addc_co_u32_e32 v13, vcc, v13, v2, vcc
	v_add_co_u32_e32 v14, vcc, v14, v1
	v_addc_co_u32_e32 v15, vcc, v15, v2, vcc
	buffer_load_dword v2, off, s[0:3], s33 offset:372 ; 4-byte Folded Reload
	buffer_load_dword v1, off, s[0:3], s33 offset:316 ; 4-byte Folded Reload
	s_waitcnt vmcnt(0)
	v_add_co_u32_e32 v8, vcc, v8, v2
	v_addc_co_u32_e32 v9, vcc, v9, v3, vcc
	v_sub_u32_e32 v0, v0, v1
	v_cmp_gt_i32_e32 vcc, 1, v0
	s_or_b64 s[30:31], vcc, s[30:31]
	v_add_co_u32_e32 v10, vcc, v10, v2
	v_addc_co_u32_e32 v11, vcc, v11, v3, vcc
	s_andn2_b64 exec, exec, s[30:31]
	s_cbranch_execnz .LBB6_16461
.LBB6_16527:                            ;   in Loop: Header=BB6_10483 Depth=2
	s_or_b64 exec, exec, s[42:43]
	buffer_load_dword v6, off, s[0:3], s33 offset:444 ; 4-byte Folded Reload
	buffer_load_dword v7, off, s[0:3], s33 offset:448 ; 4-byte Folded Reload
; %bb.23125:                            ;   in Loop: Header=BB6_10483 Depth=2
	s_getpc_b64 s[98:99]
.Lpost_getpc26:
	s_add_u32 s98, s98, (.LBB6_22494-.Lpost_getpc26)&4294967295
	s_addc_u32 s99, s99, (.LBB6_22494-.Lpost_getpc26)>>32
	s_setpc_b64 s[98:99]
.LBB6_16528:                            ;   in Loop: Header=BB6_10483 Depth=2
	s_mov_b64 s[40:41], -1
	s_and_saveexec_b64 s[28:29], s[24:25]
	s_cbranch_execz .LBB6_16530
; %bb.16529:                            ;   in Loop: Header=BB6_10483 Depth=2
	ds_read_b32 v0, v0 offset:720
	s_waitcnt lgkmcnt(0)
	v_and_b32_e32 v0, 15, v0
	v_cmp_eq_u32_e32 vcc, 0, v0
	s_orn2_b64 s[40:41], vcc, exec
.LBB6_16530:                            ;   in Loop: Header=BB6_10483 Depth=2
	s_or_b64 exec, exec, s[28:29]
	s_and_saveexec_b64 s[28:29], s[14:15]
	s_cbranch_execz .LBB6_16532
; %bb.16531:                            ;   in Loop: Header=BB6_10483 Depth=2
	ds_read_b32 v0, v0 offset:784
	s_waitcnt lgkmcnt(0)
	v_and_b32_e32 v0, 15, v0
	v_cmp_eq_u32_e32 vcc, 0, v0
	s_and_b64 s[42:43], s[40:41], vcc
	s_andn2_b64 s[40:41], s[40:41], exec
	s_and_b64 s[42:43], s[42:43], exec
	s_or_b64 s[40:41], s[40:41], s[42:43]
.LBB6_16532:                            ;   in Loop: Header=BB6_10483 Depth=2
	s_or_b64 exec, exec, s[28:29]
	buffer_load_dword v3, off, s[0:3], s33 offset:364 ; 4-byte Folded Reload
	buffer_load_dword v2, off, s[0:3], s33 offset:392 ; 4-byte Folded Reload
	s_xor_b64 s[40:41], s[40:41], -1
	v_cndmask_b32_e64 v0, 0, 1, s[40:41]
	s_mov_b64 s[28:29], -1
	s_waitcnt vmcnt(0)
	v_mov_b32_e32 v6, 0
	v_cmp_ne_u32_e32 vcc, 0, v0
	s_cbranch_vccz .LBB6_16534
; %bb.16533:                            ;   in Loop: Header=BB6_10483 Depth=2
	s_and_saveexec_b64 s[40:41], s[28:29]
	s_cbranch_execnz .LBB6_20561
; %bb.23127:                            ;   in Loop: Header=BB6_10483 Depth=2
	s_getpc_b64 s[98:99]
.Lpost_getpc27:
	s_add_u32 s98, s98, (.LBB6_22493-.Lpost_getpc27)&4294967295
	s_addc_u32 s99, s99, (.LBB6_22493-.Lpost_getpc27)>>32
	s_setpc_b64 s[98:99]
.LBB6_16534:                            ;   in Loop: Header=BB6_10483 Depth=2
	buffer_load_dword v1, off, s[0:3], s33 offset:364 ; 4-byte Folded Reload
	s_waitcnt vmcnt(0)
	v_ashrrev_i32_e32 v0, 31, v1
	v_lshrrev_b32_e32 v0, 20, v0
	v_add_u32_e32 v0, v1, v0
	v_ashrrev_i32_e32 v1, 12, v0
	buffer_load_dword v0, off, s[0:3], s33 offset:428 ; 4-byte Folded Reload
	s_waitcnt vmcnt(0)
	v_sub_u32_e32 v4, v1, v0
	v_cmp_lt_i32_e32 vcc, 0, v4
	s_and_saveexec_b64 s[40:41], vcc
	s_cbranch_execz .LBB6_19746
; %bb.16535:                            ;   in Loop: Header=BB6_10483 Depth=2
	buffer_store_dword v1, off, s[0:3], s33 offset:308 ; 4-byte Folded Spill
	s_trap 2
	ds_read_b64 v[0:1], v0
	buffer_load_dword v2, off, s[0:3], s33 offset:572 ; 4-byte Folded Reload
	buffer_load_dword v5, off, s[0:3], s33 offset:436 ; 4-byte Folded Reload
	;; [unrolled: 1-line block ×3, first 2 shown]
	s_waitcnt lgkmcnt(0)
	v_readfirstlane_b32 s9, v0
	s_and_b32 s28, s9, 7
	s_flbit_i32_b32 s28, s28
	s_min_u32 s28, s28, 32
	s_and_b32 s29, s9, 0x7f
	s_bfe_u32 s42, s9, 0x40003
	s_sub_i32 s43, s28, 28
	s_sub_i32 s28, 29, s28
	s_cmp_lt_u32 s29, 8
	s_cselect_b32 s43, s43, 0
	s_cselect_b32 s28, s28, s42
	s_lshl_b32 s42, s9, 24
	s_lshl_b32 s28, s28, 23
	s_and_b32 s42, s42, 0x80000000
	s_add_i32 s28, s28, 0x3c000000
	s_or_b32 s28, s42, s28
	s_cmpk_lg_i32 s29, 0x7f
	s_waitcnt vmcnt(1)
	v_add_co_u32_e32 v26, vcc, v5, v2
	s_waitcnt vmcnt(0)
	v_addc_co_u32_e32 v27, vcc, 0, v6, vcc
	buffer_load_dword v5, off, s[0:3], s33 offset:420 ; 4-byte Folded Reload
	buffer_load_dword v6, off, s[0:3], s33 offset:424 ; 4-byte Folded Reload
	v_add_co_u32_e32 v58, vcc, v0, v2
	v_addc_co_u32_e32 v59, vcc, 0, v1, vcc
	v_lshlrev_b64 v[0:1], s43, v[0:1]
	v_mov_b32_e32 v1, 0x7f800001
	v_lshlrev_b32_e32 v0, 20, v0
	v_and_b32_e32 v0, 0x700000, v0
	v_or_b32_e32 v0, s28, v0
	s_mov_b64 s[42:43], 0
	s_waitcnt vmcnt(1)
	v_add_co_u32_e32 v60, vcc, v5, v2
	s_waitcnt vmcnt(0)
	v_addc_co_u32_e32 v61, vcc, 0, v6, vcc
	s_cselect_b64 vcc, -1, 0
	v_cndmask_b32_e32 v0, v1, v0, vcc
	s_and_b32 s9, s9, 0xff
	buffer_store_dword v0, off, s[0:3], s33 offset:296 ; 4-byte Folded Spill
	s_branch .LBB6_16537
.LBB6_16536:                            ;   in Loop: Header=BB6_16537 Depth=3
	s_or_b64 exec, exec, s[28:29]
	v_lshl_or_b32 v9, v43, 8, v30
	v_lshl_or_b32 v10, v36, 8, v22
	v_lshlrev_b32_e32 v11, 16, v19
	v_lshlrev_b32_e32 v13, 24, v44
	v_lshlrev_b32_e32 v14, 16, v55
	v_lshlrev_b32_e32 v19, 24, v40
	v_or3_b32 v44, v9, v11, v13
	v_or3_b32 v43, v10, v14, v19
	v_lshl_or_b32 v6, v45, 8, v6
	v_lshlrev_b32_e32 v9, 16, v46
	v_lshlrev_b32_e32 v10, 24, v47
	v_or3_b32 v45, v6, v9, v10
	v_lshl_or_b32 v6, v57, 8, v56
	v_lshlrev_b32_e32 v9, 24, v17
	v_lshlrev_b32_e32 v10, 16, v16
	v_or3_b32 v46, v6, v10, v9
	buffer_load_dword v1, off, s[0:3], s33 offset:232 ; 4-byte Folded Reload
	buffer_load_dword v6, off, s[0:3], s33 offset:252 ; 4-byte Folded Reload
	v_lshlrev_b32_e32 v9, 24, v33
	v_lshlrev_b32_e32 v0, 16, v0
	s_waitcnt vmcnt(0)
	v_lshl_or_b32 v1, v6, 8, v1
	buffer_load_dword v6, off, s[0:3], s33 offset:292 ; 4-byte Folded Reload
	buffer_load_dword v10, off, s[0:3], s33 offset:248 ; 4-byte Folded Reload
	;; [unrolled: 1-line block ×3, first 2 shown]
	s_waitcnt vmcnt(2)
	v_lshlrev_b32_e32 v6, 16, v6
	v_or3_b32 v23, v1, v6, v9
	buffer_load_dword v1, off, s[0:3], s33 offset:284 ; 4-byte Folded Reload
	buffer_load_dword v6, off, s[0:3], s33 offset:288 ; 4-byte Folded Reload
	s_waitcnt vmcnt(2)
	v_lshl_or_b32 v10, v11, 8, v10
	v_lshlrev_b32_e32 v9, 24, v50
	s_waitcnt vmcnt(1)
	v_lshlrev_b32_e32 v1, 16, v1
	s_waitcnt vmcnt(0)
	v_lshlrev_b32_e32 v6, 24, v6
	v_or3_b32 v22, v10, v1, v6
	v_lshl_or_b32 v1, v39, 8, v37
	v_lshlrev_b32_e32 v6, 16, v48
	v_or3_b32 v24, v1, v6, v9
	v_lshlrev_b32_e32 v1, 24, v21
	v_lshlrev_b32_e32 v6, 16, v20
	v_lshl_or_b32 v9, v49, 8, v34
	v_or3_b32 v25, v9, v6, v1
	buffer_load_dword v1, off, s[0:3], s33 offset:148 ; 4-byte Folded Reload
	buffer_load_dword v6, off, s[0:3], s33 offset:164 ; 4-byte Folded Reload
	v_lshlrev_b32_e32 v9, 24, v31
	s_waitcnt vmcnt(0)
	v_lshl_or_b32 v1, v6, 8, v1
	buffer_load_dword v6, off, s[0:3], s33 offset:184 ; 4-byte Folded Reload
	s_waitcnt vmcnt(0)
	v_lshlrev_b32_e32 v6, 16, v6
	v_or3_b32 v29, v1, v6, v9
	buffer_load_dword v1, off, s[0:3], s33 offset:96 ; 4-byte Folded Reload
	buffer_load_dword v6, off, s[0:3], s33 offset:100 ; 4-byte Folded Reload
	buffer_load_dword v9, off, s[0:3], s33 offset:124 ; 4-byte Folded Reload
	s_waitcnt vmcnt(1)
	v_lshl_or_b32 v1, v6, 8, v1
	buffer_load_dword v6, off, s[0:3], s33 offset:108 ; 4-byte Folded Reload
	s_waitcnt vmcnt(1)
	v_lshlrev_b32_e32 v9, 24, v9
	s_waitcnt vmcnt(0)
	v_lshlrev_b32_e32 v6, 16, v6
	v_or3_b32 v28, v1, v6, v9
	buffer_load_dword v1, off, s[0:3], s33 offset:216 ; 4-byte Folded Reload
	buffer_load_dword v6, off, s[0:3], s33 offset:236 ; 4-byte Folded Reload
	buffer_load_dword v9, off, s[0:3], s33 offset:272 ; 4-byte Folded Reload
	s_waitcnt vmcnt(1)
	v_lshl_or_b32 v1, v6, 8, v1
	buffer_load_dword v6, off, s[0:3], s33 offset:260 ; 4-byte Folded Reload
	s_waitcnt vmcnt(1)
	v_lshlrev_b32_e32 v9, 24, v9
	s_waitcnt vmcnt(0)
	v_lshlrev_b32_e32 v6, 16, v6
	v_or3_b32 v30, v1, v6, v9
	buffer_load_dword v1, off, s[0:3], s33 offset:280 ; 4-byte Folded Reload
	buffer_load_dword v6, off, s[0:3], s33 offset:276 ; 4-byte Folded Reload
	;; [unrolled: 1-line block ×3, first 2 shown]
	s_waitcnt vmcnt(2)
	v_lshlrev_b32_e32 v1, 24, v1
	s_waitcnt vmcnt(1)
	v_lshlrev_b32_e32 v6, 16, v6
	s_waitcnt vmcnt(0)
	v_lshl_or_b32 v9, v32, 8, v9
	v_or3_b32 v31, v9, v6, v1
	v_lshl_or_b32 v1, v41, 8, v2
	v_lshlrev_b32_e32 v2, 16, v15
	v_lshlrev_b32_e32 v6, 24, v38
	v_or3_b32 v10, v1, v2, v6
	v_lshl_or_b32 v1, v54, 8, v18
	v_lshlrev_b32_e32 v2, 16, v52
	v_lshlrev_b32_e32 v6, 24, v53
	v_or3_b32 v9, v1, v2, v6
	v_lshl_or_b32 v1, v35, 8, v42
	v_lshlrev_b32_e32 v2, 24, v3
	v_or3_b32 v11, v1, v0, v2
	v_lshlrev_b32_e32 v0, 24, v8
	v_lshlrev_b32_e32 v1, 16, v12
	v_lshl_or_b32 v2, v5, 8, v7
	v_or3_b32 v12, v2, v1, v0
	global_store_dwordx4 v[60:61], v[28:31], off glc slc
	global_store_dwordx4 v[60:61], v[22:25], off offset:1024 glc slc
	global_store_dwordx4 v[60:61], v[43:46], off offset:2048 glc slc
	;; [unrolled: 1-line block ×3, first 2 shown]
	buffer_load_dword v1, off, s[0:3], s33 offset:320 ; 4-byte Folded Reload
	buffer_load_dword v0, off, s[0:3], s33 offset:92 ; 4-byte Folded Reload
	s_waitcnt vmcnt(1)
	v_add_co_u32_e32 v26, vcc, v26, v1
	v_addc_co_u32_e32 v27, vcc, 0, v27, vcc
	v_add_co_u32_e32 v58, vcc, v58, v1
	v_addc_co_u32_e32 v59, vcc, 0, v59, vcc
	s_waitcnt vmcnt(0)
	v_sub_u32_e32 v4, v4, v0
	v_cmp_gt_i32_e32 vcc, 1, v4
	s_or_b64 s[42:43], vcc, s[42:43]
	v_add_co_u32_e32 v60, vcc, v60, v1
	v_addc_co_u32_e32 v61, vcc, 0, v61, vcc
	s_andn2_b64 exec, exec, s[42:43]
	s_cbranch_execz .LBB6_19745
.LBB6_16537:                            ;   Parent Loop BB6_47 Depth=1
                                        ;     Parent Loop BB6_10483 Depth=2
                                        ; =>    This Inner Loop Header: Depth=3
	s_cmpk_lt_i32 s9, 0x80
	s_cbranch_scc1 .LBB6_16541
; %bb.16538:                            ;   in Loop: Header=BB6_16537 Depth=3
	s_and_b32 vcc_lo, 0xffff, s9
	s_mov_b64 s[28:29], -1
	s_cmpk_eq_i32 vcc_lo, 0x80
	s_cbranch_scc0 .LBB6_16540
; %bb.16539:                            ;   in Loop: Header=BB6_16537 Depth=3
	s_mov_b64 s[28:29], 0
.LBB6_16540:                            ;   in Loop: Header=BB6_16537 Depth=3
	s_brev_b32 s30, 1
	s_branch .LBB6_16543
.LBB6_16541:                            ;   in Loop: Header=BB6_16537 Depth=3
	s_mov_b64 s[28:29], 0
	s_brev_b32 s30, 1
	s_cbranch_execz .LBB6_16543
; %bb.16542:                            ;   in Loop: Header=BB6_16537 Depth=3
	s_and_b32 s28, 0xffff, s9
	s_cmp_lg_u32 s28, 0
	s_mov_b32 s30, 0
	s_cselect_b64 s[28:29], -1, 0
.LBB6_16543:                            ;   in Loop: Header=BB6_16537 Depth=3
	s_andn2_b64 vcc, exec, s[28:29]
	v_mov_b32_e32 v16, s30
	s_cbranch_vccnz .LBB6_16545
; %bb.16544:                            ;   in Loop: Header=BB6_16537 Depth=3
	buffer_load_dword v16, off, s[0:3], s33 offset:296 ; 4-byte Folded Reload
.LBB6_16545:                            ;   in Loop: Header=BB6_16537 Depth=3
	global_load_dwordx4 v[8:11], v[26:27], off glc slc
	v_mov_b32_e32 v0, 0
	s_waitcnt vmcnt(0)
	v_cmp_ne_u16_sdwa vcc, v8, v51 src0_sel:BYTE_0 src1_sel:DWORD
	s_and_saveexec_b64 s[28:29], vcc
	s_cbranch_execz .LBB6_16551
; %bb.16546:                            ;   in Loop: Header=BB6_16537 Depth=3
	v_cmp_ne_u16_sdwa vcc, v8, s96 src0_sel:BYTE_0 src1_sel:DWORD
	v_bfrev_b32_e32 v0, 1
	s_and_saveexec_b64 s[30:31], vcc
	s_cbranch_execz .LBB6_16550
; %bb.16547:                            ;   in Loop: Header=BB6_16537 Depth=3
	v_and_b32_e32 v1, 0x7f, v8
	v_cmp_ne_u32_e32 vcc, s86, v1
	v_mov_b32_e32 v0, 0x7f800001
	s_and_saveexec_b64 s[34:35], vcc
	s_cbranch_execz .LBB6_16549
; %bb.16548:                            ;   in Loop: Header=BB6_16537 Depth=3
	v_and_b32_e32 v0, 7, v8
	v_ffbh_u32_e32 v0, v0
	v_min_u32_e32 v0, 32, v0
	v_lshrrev_b32_e32 v2, 3, v1
	v_cmp_gt_u32_e32 vcc, 8, v1
	v_subrev_u32_e32 v1, 28, v0
	v_sub_u32_e32 v0, 29, v0
	v_cndmask_b32_e32 v2, v2, v0, vcc
	v_cndmask_b32_e32 v0, 0, v1, vcc
	v_lshlrev_b64 v[0:1], v0, v[8:9]
	v_lshlrev_b32_e32 v1, 24, v8
	v_lshlrev_b32_e32 v0, 20, v0
	v_bfrev_b32_e32 v3, 60
	v_and_b32_e32 v0, 0x700000, v0
	v_and_b32_e32 v1, 0x80000000, v1
	v_lshl_add_u32 v2, v2, 23, v3
	v_or3_b32 v0, v1, v2, v0
.LBB6_16549:                            ;   in Loop: Header=BB6_16537 Depth=3
	s_or_b64 exec, exec, s[34:35]
.LBB6_16550:                            ;   in Loop: Header=BB6_16537 Depth=3
	s_or_b64 exec, exec, s[30:31]
.LBB6_16551:                            ;   in Loop: Header=BB6_16537 Depth=3
	s_or_b64 exec, exec, s[28:29]
	v_mul_f32_e32 v1, v16, v0
	v_and_b32_e32 v2, 0x7f800000, v1
	v_mov_b32_e32 v3, v51
	v_cmp_ne_u64_e32 vcc, s[76:77], v[2:3]
                                        ; implicit-def: $vgpr28
	s_and_saveexec_b64 s[28:29], vcc
	s_xor_b64 s[30:31], exec, s[28:29]
	s_cbranch_execz .LBB6_16565
; %bb.16552:                            ;   in Loop: Header=BB6_16537 Depth=3
	v_and_b32_e32 v2, 0x7fffffff, v1
	v_mov_b32_e32 v3, v51
	v_cmp_gt_u64_e32 vcc, s[78:79], v[2:3]
	v_and_b32_sdwa v0, v1, s96 dst_sel:DWORD dst_unused:UNUSED_PAD src0_sel:BYTE_3 src1_sel:DWORD
                                        ; implicit-def: $vgpr28
	s_and_saveexec_b64 s[28:29], vcc
	s_xor_b64 s[34:35], exec, s[28:29]
	s_cbranch_execz .LBB6_16562
; %bb.16553:                            ;   in Loop: Header=BB6_16537 Depth=3
	v_mov_b32_e32 v28, 0
	v_cmp_ne_u32_e32 vcc, 0, v1
	s_and_saveexec_b64 s[36:37], vcc
	s_cbranch_execz .LBB6_16561
; %bb.16554:                            ;   in Loop: Header=BB6_16537 Depth=3
	v_and_b32_e32 v3, 0x7fffff, v1
	v_bfe_u32 v1, v1, 23, 8
	v_cmp_gt_u32_e64 s[28:29], s97, v1
	v_sub_u32_e32 v2, 0x79, v1
	v_cmp_eq_u32_e32 vcc, 0, v1
	v_cndmask_b32_e64 v2, 0, v2, s[28:29]
	v_mov_b32_e32 v6, 0x78
	v_or_b32_e32 v5, 0x800000, v3
	v_cndmask_b32_e32 v2, v2, v6, vcc
	v_cndmask_b32_e32 v5, v5, v3, vcc
	v_add_u32_e32 v3, 20, v2
	v_lshlrev_b64 v[12:13], v3, -1
	v_add_u32_e32 v3, 19, v2
	v_lshlrev_b64 v[14:15], v3, 1
	v_mov_b32_e32 v6, v51
	v_bfi_b32 v13, v13, 0, 0
	v_bfi_b32 v12, v12, 0, v5
	v_cmp_eq_u64_e64 s[28:29], v[12:13], v[14:15]
	v_lshrrev_b64 v[12:13], v2, v[5:6]
	v_mov_b32_e32 v14, v13
	v_mov_b32_e32 v13, v12
	s_and_saveexec_b64 s[38:39], s[28:29]
; %bb.16555:                            ;   in Loop: Header=BB6_16537 Depth=3
	v_bfe_u32 v3, v12, 20, 1
	v_add_co_u32_e64 v3, s[28:29], v12, v3
	v_add_co_u32_e64 v13, s[28:29], -1, v3
; %bb.16556:                            ;   in Loop: Header=BB6_16537 Depth=3
	s_or_b64 exec, exec, s[38:39]
	v_add_u32_e32 v1, 0xffffff81, v1
	v_mov_b32_e32 v3, 0xffffff82
	v_cndmask_b32_e32 v1, v1, v3, vcc
	v_lshrrev_b32_e32 v3, 23, v12
	v_add3_u32 v3, v2, v1, v3
	v_add_u32_e32 v2, 6, v3
	v_and_b32_e32 v1, 0xfffff, v13
	v_add_u32_e32 v12, v1, v12
	v_mov_b32_e32 v13, v51
	v_cmp_ne_u32_e32 vcc, 0, v2
                                        ; implicit-def: $vgpr1
	s_and_saveexec_b64 s[28:29], vcc
	s_xor_b64 s[28:29], exec, s[28:29]
; %bb.16557:                            ;   in Loop: Header=BB6_16537 Depth=3
	v_cmp_lt_u64_e32 vcc, s[88:89], v[12:13]
	v_add_u32_e32 v1, 7, v3
	v_cndmask_b32_e32 v1, v2, v1, vcc
	v_cndmask_b32_e64 v2, 0, 1, vcc
	v_lshrrev_b64 v[12:13], v2, v[12:13]
; %bb.16558:                            ;   in Loop: Header=BB6_16537 Depth=3
	s_andn2_saveexec_b64 s[28:29], s[28:29]
; %bb.16559:                            ;   in Loop: Header=BB6_16537 Depth=3
	v_bfe_u32 v1, v12, 23, 1
; %bb.16560:                            ;   in Loop: Header=BB6_16537 Depth=3
	s_or_b64 exec, exec, s[28:29]
	v_lshrrev_b64 v[2:3], 20, v[12:13]
	v_cmp_gt_i32_e32 vcc, 16, v1
	v_cndmask_b32_e32 v3, 0, v3, vcc
	v_cndmask_b32_e32 v2, 7, v2, vcc
	v_cmp_eq_u32_e32 vcc, 0, v1
	v_min_i32_e32 v1, 15, v1
	v_cmp_eq_u64_e64 s[28:29], 0, v[2:3]
	v_lshlrev_b32_e32 v1, 3, v1
	v_and_b32_e32 v1, 0xf8, v1
	v_and_or_b32 v1, v2, 7, v1
	s_and_b64 s[28:29], vcc, s[28:29]
	v_cndmask_b32_e64 v1, v1, 0, s[28:29]
	v_or_b32_e32 v28, v1, v0
.LBB6_16561:                            ;   in Loop: Header=BB6_16537 Depth=3
	s_or_b64 exec, exec, s[36:37]
                                        ; implicit-def: $vgpr0
.LBB6_16562:                            ;   in Loop: Header=BB6_16537 Depth=3
	s_andn2_saveexec_b64 s[28:29], s[34:35]
; %bb.16563:                            ;   in Loop: Header=BB6_16537 Depth=3
	v_or_b32_e32 v28, 0x7e, v0
; %bb.16564:                            ;   in Loop: Header=BB6_16537 Depth=3
	s_or_b64 exec, exec, s[28:29]
                                        ; implicit-def: $vgpr1
.LBB6_16565:                            ;   in Loop: Header=BB6_16537 Depth=3
	s_andn2_saveexec_b64 s[28:29], s[30:31]
; %bb.16566:                            ;   in Loop: Header=BB6_16537 Depth=3
	v_or_b32_sdwa v28, v1, s86 dst_sel:DWORD dst_unused:UNUSED_PAD src0_sel:BYTE_3 src1_sel:DWORD
; %bb.16567:                            ;   in Loop: Header=BB6_16537 Depth=3
	s_or_b64 exec, exec, s[28:29]
	v_lshrrev_b16_e32 v12, 8, v8
	v_cmp_ne_u16_e32 vcc, 0, v12
	v_mov_b32_e32 v0, 0
	s_and_saveexec_b64 s[28:29], vcc
	s_cbranch_execz .LBB6_16573
; %bb.16568:                            ;   in Loop: Header=BB6_16537 Depth=3
	v_cmp_ne_u16_e32 vcc, s96, v12
	v_bfrev_b32_e32 v0, 1
	s_and_saveexec_b64 s[30:31], vcc
	s_cbranch_execz .LBB6_16572
; %bb.16569:                            ;   in Loop: Header=BB6_16537 Depth=3
	v_and_b32_e32 v1, 0x7f, v12
	v_cmp_ne_u32_e32 vcc, s86, v1
	v_mov_b32_e32 v0, 0x7f800001
	s_and_saveexec_b64 s[34:35], vcc
	s_cbranch_execz .LBB6_16571
; %bb.16570:                            ;   in Loop: Header=BB6_16537 Depth=3
	v_and_b32_e32 v2, 7, v12
	v_ffbh_u32_e32 v0, v2
	v_min_u32_e32 v5, 32, v0
	v_subrev_u32_e32 v0, 28, v5
	v_lshrrev_b32_e32 v3, 3, v1
	v_cmp_gt_u32_e32 vcc, 8, v1
	v_lshlrev_b64 v[0:1], v0, v[12:13]
	v_sub_u32_e32 v1, 29, v5
	v_and_b32_e32 v0, 7, v0
	v_cndmask_b32_e32 v1, v3, v1, vcc
	v_cndmask_b32_e32 v0, v2, v0, vcc
	v_lshlrev_b32_e32 v2, 16, v8
	v_bfrev_b32_e32 v3, 60
	v_lshlrev_b32_e32 v0, 20, v0
	v_and_b32_e32 v2, 0x80000000, v2
	v_lshl_add_u32 v1, v1, 23, v3
	v_or3_b32 v0, v2, v1, v0
.LBB6_16571:                            ;   in Loop: Header=BB6_16537 Depth=3
	s_or_b64 exec, exec, s[34:35]
.LBB6_16572:                            ;   in Loop: Header=BB6_16537 Depth=3
	s_or_b64 exec, exec, s[30:31]
.LBB6_16573:                            ;   in Loop: Header=BB6_16537 Depth=3
	s_or_b64 exec, exec, s[28:29]
	v_mul_f32_e32 v1, v16, v0
	v_and_b32_e32 v2, 0x7f800000, v1
	v_mov_b32_e32 v3, v51
	v_cmp_ne_u64_e32 vcc, s[76:77], v[2:3]
                                        ; implicit-def: $vgpr24
	s_and_saveexec_b64 s[28:29], vcc
	s_xor_b64 s[30:31], exec, s[28:29]
	s_cbranch_execz .LBB6_16587
; %bb.16574:                            ;   in Loop: Header=BB6_16537 Depth=3
	v_and_b32_e32 v2, 0x7fffffff, v1
	v_mov_b32_e32 v3, v51
	v_cmp_gt_u64_e32 vcc, s[78:79], v[2:3]
	v_and_b32_sdwa v0, v1, s96 dst_sel:DWORD dst_unused:UNUSED_PAD src0_sel:BYTE_3 src1_sel:DWORD
                                        ; implicit-def: $vgpr24
	s_and_saveexec_b64 s[28:29], vcc
	s_xor_b64 s[34:35], exec, s[28:29]
	s_cbranch_execz .LBB6_16584
; %bb.16575:                            ;   in Loop: Header=BB6_16537 Depth=3
	v_mov_b32_e32 v24, 0
	v_cmp_ne_u32_e32 vcc, 0, v1
	s_and_saveexec_b64 s[36:37], vcc
	s_cbranch_execz .LBB6_16583
; %bb.16576:                            ;   in Loop: Header=BB6_16537 Depth=3
	v_and_b32_e32 v3, 0x7fffff, v1
	v_bfe_u32 v1, v1, 23, 8
	v_cmp_gt_u32_e64 s[28:29], s97, v1
	v_sub_u32_e32 v2, 0x79, v1
	v_cmp_eq_u32_e32 vcc, 0, v1
	v_cndmask_b32_e64 v2, 0, v2, s[28:29]
	v_mov_b32_e32 v6, 0x78
	v_or_b32_e32 v5, 0x800000, v3
	v_cndmask_b32_e32 v2, v2, v6, vcc
	v_cndmask_b32_e32 v5, v5, v3, vcc
	v_add_u32_e32 v3, 20, v2
	v_lshlrev_b64 v[12:13], v3, -1
	v_add_u32_e32 v3, 19, v2
	v_lshlrev_b64 v[14:15], v3, 1
	v_mov_b32_e32 v6, v51
	v_bfi_b32 v13, v13, 0, 0
	v_bfi_b32 v12, v12, 0, v5
	v_cmp_eq_u64_e64 s[28:29], v[12:13], v[14:15]
	v_lshrrev_b64 v[12:13], v2, v[5:6]
	v_mov_b32_e32 v14, v13
	v_mov_b32_e32 v13, v12
	s_and_saveexec_b64 s[38:39], s[28:29]
; %bb.16577:                            ;   in Loop: Header=BB6_16537 Depth=3
	v_bfe_u32 v3, v12, 20, 1
	v_add_co_u32_e64 v3, s[28:29], v12, v3
	v_add_co_u32_e64 v13, s[28:29], -1, v3
; %bb.16578:                            ;   in Loop: Header=BB6_16537 Depth=3
	s_or_b64 exec, exec, s[38:39]
	v_add_u32_e32 v1, 0xffffff81, v1
	v_mov_b32_e32 v3, 0xffffff82
	v_cndmask_b32_e32 v1, v1, v3, vcc
	v_lshrrev_b32_e32 v3, 23, v12
	v_add3_u32 v3, v2, v1, v3
	v_add_u32_e32 v2, 6, v3
	v_and_b32_e32 v1, 0xfffff, v13
	v_add_u32_e32 v12, v1, v12
	v_mov_b32_e32 v13, v51
	v_cmp_ne_u32_e32 vcc, 0, v2
                                        ; implicit-def: $vgpr1
	s_and_saveexec_b64 s[28:29], vcc
	s_xor_b64 s[28:29], exec, s[28:29]
; %bb.16579:                            ;   in Loop: Header=BB6_16537 Depth=3
	v_cmp_lt_u64_e32 vcc, s[88:89], v[12:13]
	v_add_u32_e32 v1, 7, v3
	v_cndmask_b32_e32 v1, v2, v1, vcc
	v_cndmask_b32_e64 v2, 0, 1, vcc
	v_lshrrev_b64 v[12:13], v2, v[12:13]
; %bb.16580:                            ;   in Loop: Header=BB6_16537 Depth=3
	s_andn2_saveexec_b64 s[28:29], s[28:29]
; %bb.16581:                            ;   in Loop: Header=BB6_16537 Depth=3
	v_bfe_u32 v1, v12, 23, 1
; %bb.16582:                            ;   in Loop: Header=BB6_16537 Depth=3
	s_or_b64 exec, exec, s[28:29]
	v_lshrrev_b64 v[2:3], 20, v[12:13]
	v_cmp_gt_i32_e32 vcc, 16, v1
	v_cndmask_b32_e32 v3, 0, v3, vcc
	v_cndmask_b32_e32 v2, 7, v2, vcc
	v_cmp_eq_u32_e32 vcc, 0, v1
	v_min_i32_e32 v1, 15, v1
	v_cmp_eq_u64_e64 s[28:29], 0, v[2:3]
	v_lshlrev_b32_e32 v1, 3, v1
	v_and_b32_e32 v1, 0xf8, v1
	v_and_or_b32 v1, v2, 7, v1
	s_and_b64 s[28:29], vcc, s[28:29]
	v_cndmask_b32_e64 v1, v1, 0, s[28:29]
	v_or_b32_e32 v24, v1, v0
.LBB6_16583:                            ;   in Loop: Header=BB6_16537 Depth=3
	s_or_b64 exec, exec, s[36:37]
                                        ; implicit-def: $vgpr0
.LBB6_16584:                            ;   in Loop: Header=BB6_16537 Depth=3
	s_andn2_saveexec_b64 s[28:29], s[34:35]
; %bb.16585:                            ;   in Loop: Header=BB6_16537 Depth=3
	v_or_b32_e32 v24, 0x7e, v0
; %bb.16586:                            ;   in Loop: Header=BB6_16537 Depth=3
	s_or_b64 exec, exec, s[28:29]
                                        ; implicit-def: $vgpr1
.LBB6_16587:                            ;   in Loop: Header=BB6_16537 Depth=3
	s_andn2_saveexec_b64 s[28:29], s[30:31]
; %bb.16588:                            ;   in Loop: Header=BB6_16537 Depth=3
	v_or_b32_sdwa v24, v1, s86 dst_sel:DWORD dst_unused:UNUSED_PAD src0_sel:BYTE_3 src1_sel:DWORD
; %bb.16589:                            ;   in Loop: Header=BB6_16537 Depth=3
	s_or_b64 exec, exec, s[28:29]
	v_lshrrev_b32_e32 v12, 16, v8
	v_cmp_ne_u16_sdwa vcc, v12, v51 src0_sel:BYTE_0 src1_sel:DWORD
	v_mov_b32_e32 v0, 0
	s_and_saveexec_b64 s[28:29], vcc
	s_cbranch_execz .LBB6_16595
; %bb.16590:                            ;   in Loop: Header=BB6_16537 Depth=3
	v_cmp_ne_u16_sdwa vcc, v12, s96 src0_sel:BYTE_0 src1_sel:DWORD
	v_bfrev_b32_e32 v0, 1
	s_and_saveexec_b64 s[30:31], vcc
	s_cbranch_execz .LBB6_16594
; %bb.16591:                            ;   in Loop: Header=BB6_16537 Depth=3
	v_bfe_u32 v1, v8, 16, 7
	v_cmp_ne_u32_e32 vcc, s86, v1
	v_mov_b32_e32 v0, 0x7f800001
	s_and_saveexec_b64 s[34:35], vcc
	s_cbranch_execz .LBB6_16593
; %bb.16592:                            ;   in Loop: Header=BB6_16537 Depth=3
	v_and_b32_e32 v2, 7, v12
	v_ffbh_u32_e32 v0, v2
	v_min_u32_e32 v5, 32, v0
	v_subrev_u32_e32 v0, 28, v5
	v_lshrrev_b32_e32 v3, 3, v1
	v_cmp_gt_u32_e32 vcc, 8, v1
	v_lshlrev_b64 v[0:1], v0, v[12:13]
	v_sub_u32_e32 v1, 29, v5
	v_and_b32_e32 v0, 7, v0
	v_cndmask_b32_e32 v1, v3, v1, vcc
	v_cndmask_b32_e32 v0, v2, v0, vcc
	v_lshlrev_b32_e32 v2, 24, v12
	v_bfrev_b32_e32 v3, 60
	v_lshlrev_b32_e32 v0, 20, v0
	v_and_b32_e32 v2, 0x80000000, v2
	v_lshl_add_u32 v1, v1, 23, v3
	v_or3_b32 v0, v2, v1, v0
.LBB6_16593:                            ;   in Loop: Header=BB6_16537 Depth=3
	s_or_b64 exec, exec, s[34:35]
.LBB6_16594:                            ;   in Loop: Header=BB6_16537 Depth=3
	s_or_b64 exec, exec, s[30:31]
.LBB6_16595:                            ;   in Loop: Header=BB6_16537 Depth=3
	s_or_b64 exec, exec, s[28:29]
	v_mul_f32_e32 v1, v16, v0
	v_and_b32_e32 v2, 0x7f800000, v1
	v_mov_b32_e32 v3, v51
	v_cmp_ne_u64_e32 vcc, s[76:77], v[2:3]
                                        ; implicit-def: $vgpr25
	s_and_saveexec_b64 s[28:29], vcc
	s_xor_b64 s[30:31], exec, s[28:29]
	s_cbranch_execz .LBB6_16609
; %bb.16596:                            ;   in Loop: Header=BB6_16537 Depth=3
	v_and_b32_e32 v2, 0x7fffffff, v1
	v_mov_b32_e32 v3, v51
	v_cmp_gt_u64_e32 vcc, s[78:79], v[2:3]
	v_and_b32_sdwa v0, v1, s96 dst_sel:DWORD dst_unused:UNUSED_PAD src0_sel:BYTE_3 src1_sel:DWORD
                                        ; implicit-def: $vgpr25
	s_and_saveexec_b64 s[28:29], vcc
	s_xor_b64 s[34:35], exec, s[28:29]
	s_cbranch_execz .LBB6_16606
; %bb.16597:                            ;   in Loop: Header=BB6_16537 Depth=3
	v_mov_b32_e32 v25, 0
	v_cmp_ne_u32_e32 vcc, 0, v1
	s_and_saveexec_b64 s[36:37], vcc
	s_cbranch_execz .LBB6_16605
; %bb.16598:                            ;   in Loop: Header=BB6_16537 Depth=3
	v_and_b32_e32 v3, 0x7fffff, v1
	v_bfe_u32 v1, v1, 23, 8
	v_cmp_gt_u32_e64 s[28:29], s97, v1
	v_sub_u32_e32 v2, 0x79, v1
	v_cmp_eq_u32_e32 vcc, 0, v1
	v_cndmask_b32_e64 v2, 0, v2, s[28:29]
	v_mov_b32_e32 v6, 0x78
	v_or_b32_e32 v5, 0x800000, v3
	v_cndmask_b32_e32 v2, v2, v6, vcc
	v_cndmask_b32_e32 v5, v5, v3, vcc
	v_add_u32_e32 v3, 20, v2
	v_lshlrev_b64 v[12:13], v3, -1
	v_add_u32_e32 v3, 19, v2
	v_lshlrev_b64 v[14:15], v3, 1
	v_mov_b32_e32 v6, v51
	v_bfi_b32 v13, v13, 0, 0
	v_bfi_b32 v12, v12, 0, v5
	v_cmp_eq_u64_e64 s[28:29], v[12:13], v[14:15]
	v_lshrrev_b64 v[12:13], v2, v[5:6]
	v_mov_b32_e32 v14, v13
	v_mov_b32_e32 v13, v12
	s_and_saveexec_b64 s[38:39], s[28:29]
; %bb.16599:                            ;   in Loop: Header=BB6_16537 Depth=3
	v_bfe_u32 v3, v12, 20, 1
	v_add_co_u32_e64 v3, s[28:29], v12, v3
	v_add_co_u32_e64 v13, s[28:29], -1, v3
; %bb.16600:                            ;   in Loop: Header=BB6_16537 Depth=3
	s_or_b64 exec, exec, s[38:39]
	v_add_u32_e32 v1, 0xffffff81, v1
	v_mov_b32_e32 v3, 0xffffff82
	v_cndmask_b32_e32 v1, v1, v3, vcc
	v_lshrrev_b32_e32 v3, 23, v12
	v_add3_u32 v3, v2, v1, v3
	v_add_u32_e32 v2, 6, v3
	v_and_b32_e32 v1, 0xfffff, v13
	v_add_u32_e32 v12, v1, v12
	v_mov_b32_e32 v13, v51
	v_cmp_ne_u32_e32 vcc, 0, v2
                                        ; implicit-def: $vgpr1
	s_and_saveexec_b64 s[28:29], vcc
	s_xor_b64 s[28:29], exec, s[28:29]
; %bb.16601:                            ;   in Loop: Header=BB6_16537 Depth=3
	v_cmp_lt_u64_e32 vcc, s[88:89], v[12:13]
	v_add_u32_e32 v1, 7, v3
	v_cndmask_b32_e32 v1, v2, v1, vcc
	v_cndmask_b32_e64 v2, 0, 1, vcc
	v_lshrrev_b64 v[12:13], v2, v[12:13]
; %bb.16602:                            ;   in Loop: Header=BB6_16537 Depth=3
	s_andn2_saveexec_b64 s[28:29], s[28:29]
; %bb.16603:                            ;   in Loop: Header=BB6_16537 Depth=3
	v_bfe_u32 v1, v12, 23, 1
; %bb.16604:                            ;   in Loop: Header=BB6_16537 Depth=3
	s_or_b64 exec, exec, s[28:29]
	v_lshrrev_b64 v[2:3], 20, v[12:13]
	v_cmp_gt_i32_e32 vcc, 16, v1
	v_cndmask_b32_e32 v3, 0, v3, vcc
	v_cndmask_b32_e32 v2, 7, v2, vcc
	v_cmp_eq_u32_e32 vcc, 0, v1
	v_min_i32_e32 v1, 15, v1
	v_cmp_eq_u64_e64 s[28:29], 0, v[2:3]
	v_lshlrev_b32_e32 v1, 3, v1
	v_and_b32_e32 v1, 0xf8, v1
	v_and_or_b32 v1, v2, 7, v1
	s_and_b64 s[28:29], vcc, s[28:29]
	v_cndmask_b32_e64 v1, v1, 0, s[28:29]
	v_or_b32_e32 v25, v1, v0
.LBB6_16605:                            ;   in Loop: Header=BB6_16537 Depth=3
	s_or_b64 exec, exec, s[36:37]
                                        ; implicit-def: $vgpr0
.LBB6_16606:                            ;   in Loop: Header=BB6_16537 Depth=3
	s_andn2_saveexec_b64 s[28:29], s[34:35]
; %bb.16607:                            ;   in Loop: Header=BB6_16537 Depth=3
	v_or_b32_e32 v25, 0x7e, v0
; %bb.16608:                            ;   in Loop: Header=BB6_16537 Depth=3
	s_or_b64 exec, exec, s[28:29]
                                        ; implicit-def: $vgpr1
.LBB6_16609:                            ;   in Loop: Header=BB6_16537 Depth=3
	s_andn2_saveexec_b64 s[28:29], s[30:31]
; %bb.16610:                            ;   in Loop: Header=BB6_16537 Depth=3
	v_or_b32_sdwa v25, v1, s86 dst_sel:DWORD dst_unused:UNUSED_PAD src0_sel:BYTE_3 src1_sel:DWORD
; %bb.16611:                            ;   in Loop: Header=BB6_16537 Depth=3
	s_or_b64 exec, exec, s[28:29]
	v_cmp_lt_u32_e32 vcc, s57, v8
	v_mov_b32_e32 v0, 0
	s_and_saveexec_b64 s[28:29], vcc
	s_cbranch_execz .LBB6_16617
; %bb.16612:                            ;   in Loop: Header=BB6_16537 Depth=3
	v_lshrrev_b32_e32 v12, 24, v8
	v_cmp_ne_u32_e32 vcc, s96, v12
	v_bfrev_b32_e32 v0, 1
	s_and_saveexec_b64 s[30:31], vcc
	s_cbranch_execz .LBB6_16616
; %bb.16613:                            ;   in Loop: Header=BB6_16537 Depth=3
	v_bfe_u32 v1, v8, 24, 7
	v_cmp_ne_u32_e32 vcc, s86, v1
	v_mov_b32_e32 v0, 0x7f800001
	s_and_saveexec_b64 s[34:35], vcc
	s_cbranch_execz .LBB6_16615
; %bb.16614:                            ;   in Loop: Header=BB6_16537 Depth=3
	v_and_b32_e32 v2, 7, v12
	v_ffbh_u32_e32 v0, v2
	v_min_u32_e32 v5, 32, v0
	v_subrev_u32_e32 v0, 28, v5
	v_lshrrev_b32_e32 v3, 3, v1
	v_cmp_gt_u32_e32 vcc, 8, v1
	v_lshlrev_b64 v[0:1], v0, v[12:13]
	v_sub_u32_e32 v1, 29, v5
	v_and_b32_e32 v0, 7, v0
	v_cndmask_b32_e32 v1, v3, v1, vcc
	v_cndmask_b32_e32 v0, v2, v0, vcc
	v_lshlrev_b32_e32 v2, 24, v12
	v_bfrev_b32_e32 v3, 60
	v_lshlrev_b32_e32 v0, 20, v0
	v_and_b32_e32 v2, 0x80000000, v2
	v_lshl_add_u32 v1, v1, 23, v3
	v_or3_b32 v0, v2, v1, v0
.LBB6_16615:                            ;   in Loop: Header=BB6_16537 Depth=3
	s_or_b64 exec, exec, s[34:35]
.LBB6_16616:                            ;   in Loop: Header=BB6_16537 Depth=3
	s_or_b64 exec, exec, s[30:31]
.LBB6_16617:                            ;   in Loop: Header=BB6_16537 Depth=3
	s_or_b64 exec, exec, s[28:29]
	v_mul_f32_e32 v1, v16, v0
	v_and_b32_e32 v2, 0x7f800000, v1
	v_mov_b32_e32 v3, v51
	v_cmp_ne_u64_e32 vcc, s[76:77], v[2:3]
                                        ; implicit-def: $vgpr29
	s_and_saveexec_b64 s[28:29], vcc
	s_xor_b64 s[30:31], exec, s[28:29]
	s_cbranch_execz .LBB6_16631
; %bb.16618:                            ;   in Loop: Header=BB6_16537 Depth=3
	v_and_b32_e32 v2, 0x7fffffff, v1
	v_mov_b32_e32 v3, v51
	v_cmp_gt_u64_e32 vcc, s[78:79], v[2:3]
	v_and_b32_sdwa v0, v1, s96 dst_sel:DWORD dst_unused:UNUSED_PAD src0_sel:BYTE_3 src1_sel:DWORD
                                        ; implicit-def: $vgpr29
	s_and_saveexec_b64 s[28:29], vcc
	s_xor_b64 s[34:35], exec, s[28:29]
	s_cbranch_execz .LBB6_16628
; %bb.16619:                            ;   in Loop: Header=BB6_16537 Depth=3
	v_mov_b32_e32 v29, 0
	v_cmp_ne_u32_e32 vcc, 0, v1
	s_and_saveexec_b64 s[36:37], vcc
	s_cbranch_execz .LBB6_16627
; %bb.16620:                            ;   in Loop: Header=BB6_16537 Depth=3
	v_and_b32_e32 v3, 0x7fffff, v1
	v_bfe_u32 v1, v1, 23, 8
	v_cmp_gt_u32_e64 s[28:29], s97, v1
	v_sub_u32_e32 v2, 0x79, v1
	v_cmp_eq_u32_e32 vcc, 0, v1
	v_cndmask_b32_e64 v2, 0, v2, s[28:29]
	v_mov_b32_e32 v6, 0x78
	v_or_b32_e32 v5, 0x800000, v3
	v_cndmask_b32_e32 v2, v2, v6, vcc
	v_cndmask_b32_e32 v5, v5, v3, vcc
	v_add_u32_e32 v3, 20, v2
	v_lshlrev_b64 v[12:13], v3, -1
	v_add_u32_e32 v3, 19, v2
	v_lshlrev_b64 v[14:15], v3, 1
	v_mov_b32_e32 v6, v51
	v_bfi_b32 v13, v13, 0, 0
	v_bfi_b32 v12, v12, 0, v5
	v_cmp_eq_u64_e64 s[28:29], v[12:13], v[14:15]
	v_lshrrev_b64 v[12:13], v2, v[5:6]
	v_mov_b32_e32 v14, v13
	v_mov_b32_e32 v13, v12
	s_and_saveexec_b64 s[38:39], s[28:29]
; %bb.16621:                            ;   in Loop: Header=BB6_16537 Depth=3
	v_bfe_u32 v3, v12, 20, 1
	v_add_co_u32_e64 v3, s[28:29], v12, v3
	v_add_co_u32_e64 v13, s[28:29], -1, v3
; %bb.16622:                            ;   in Loop: Header=BB6_16537 Depth=3
	s_or_b64 exec, exec, s[38:39]
	v_add_u32_e32 v1, 0xffffff81, v1
	v_mov_b32_e32 v3, 0xffffff82
	v_cndmask_b32_e32 v1, v1, v3, vcc
	v_lshrrev_b32_e32 v3, 23, v12
	v_add3_u32 v3, v2, v1, v3
	v_add_u32_e32 v2, 6, v3
	v_and_b32_e32 v1, 0xfffff, v13
	v_add_u32_e32 v12, v1, v12
	v_mov_b32_e32 v13, v51
	v_cmp_ne_u32_e32 vcc, 0, v2
                                        ; implicit-def: $vgpr1
	s_and_saveexec_b64 s[28:29], vcc
	s_xor_b64 s[28:29], exec, s[28:29]
; %bb.16623:                            ;   in Loop: Header=BB6_16537 Depth=3
	v_cmp_lt_u64_e32 vcc, s[88:89], v[12:13]
	v_add_u32_e32 v1, 7, v3
	v_cndmask_b32_e32 v1, v2, v1, vcc
	v_cndmask_b32_e64 v2, 0, 1, vcc
	v_lshrrev_b64 v[12:13], v2, v[12:13]
; %bb.16624:                            ;   in Loop: Header=BB6_16537 Depth=3
	s_andn2_saveexec_b64 s[28:29], s[28:29]
; %bb.16625:                            ;   in Loop: Header=BB6_16537 Depth=3
	v_bfe_u32 v1, v12, 23, 1
; %bb.16626:                            ;   in Loop: Header=BB6_16537 Depth=3
	s_or_b64 exec, exec, s[28:29]
	v_lshrrev_b64 v[2:3], 20, v[12:13]
	v_cmp_gt_i32_e32 vcc, 16, v1
	v_cndmask_b32_e32 v3, 0, v3, vcc
	v_cndmask_b32_e32 v2, 7, v2, vcc
	v_cmp_eq_u32_e32 vcc, 0, v1
	v_min_i32_e32 v1, 15, v1
	v_cmp_eq_u64_e64 s[28:29], 0, v[2:3]
	v_lshlrev_b32_e32 v1, 3, v1
	v_and_b32_e32 v1, 0xf8, v1
	v_and_or_b32 v1, v2, 7, v1
	s_and_b64 s[28:29], vcc, s[28:29]
	v_cndmask_b32_e64 v1, v1, 0, s[28:29]
	v_or_b32_e32 v29, v1, v0
.LBB6_16627:                            ;   in Loop: Header=BB6_16537 Depth=3
	s_or_b64 exec, exec, s[36:37]
                                        ; implicit-def: $vgpr0
.LBB6_16628:                            ;   in Loop: Header=BB6_16537 Depth=3
	s_andn2_saveexec_b64 s[28:29], s[34:35]
; %bb.16629:                            ;   in Loop: Header=BB6_16537 Depth=3
	v_or_b32_e32 v29, 0x7e, v0
; %bb.16630:                            ;   in Loop: Header=BB6_16537 Depth=3
	s_or_b64 exec, exec, s[28:29]
                                        ; implicit-def: $vgpr1
.LBB6_16631:                            ;   in Loop: Header=BB6_16537 Depth=3
	s_andn2_saveexec_b64 s[28:29], s[30:31]
; %bb.16632:                            ;   in Loop: Header=BB6_16537 Depth=3
	v_or_b32_sdwa v29, v1, s86 dst_sel:DWORD dst_unused:UNUSED_PAD src0_sel:BYTE_3 src1_sel:DWORD
; %bb.16633:                            ;   in Loop: Header=BB6_16537 Depth=3
	s_or_b64 exec, exec, s[28:29]
	v_mov_b32_e32 v12, v9
	v_mov_b32_e32 v13, v51
	v_cmp_ne_u16_sdwa vcc, v9, v51 src0_sel:BYTE_0 src1_sel:DWORD
	v_mov_b32_e32 v0, 0
	s_and_saveexec_b64 s[28:29], vcc
	s_cbranch_execz .LBB6_16639
; %bb.16634:                            ;   in Loop: Header=BB6_16537 Depth=3
	v_cmp_ne_u16_sdwa vcc, v9, s96 src0_sel:BYTE_0 src1_sel:DWORD
	v_bfrev_b32_e32 v0, 1
	s_and_saveexec_b64 s[30:31], vcc
	s_cbranch_execz .LBB6_16638
; %bb.16635:                            ;   in Loop: Header=BB6_16537 Depth=3
	v_and_b32_e32 v1, 0x7f, v9
	v_cmp_ne_u32_e32 vcc, s86, v1
	v_mov_b32_e32 v0, 0x7f800001
	s_and_saveexec_b64 s[34:35], vcc
	s_cbranch_execz .LBB6_16637
; %bb.16636:                            ;   in Loop: Header=BB6_16537 Depth=3
	v_and_b32_e32 v0, 7, v9
	v_ffbh_u32_e32 v0, v0
	v_min_u32_e32 v0, 32, v0
	v_lshrrev_b32_e32 v2, 3, v1
	v_cmp_gt_u32_e32 vcc, 8, v1
	v_subrev_u32_e32 v1, 28, v0
	v_sub_u32_e32 v0, 29, v0
	v_cndmask_b32_e32 v2, v2, v0, vcc
	v_cndmask_b32_e32 v0, 0, v1, vcc
	v_lshlrev_b64 v[0:1], v0, v[12:13]
	v_lshlrev_b32_e32 v1, 24, v12
	v_lshlrev_b32_e32 v0, 20, v0
	v_bfrev_b32_e32 v3, 60
	v_and_b32_e32 v0, 0x700000, v0
	v_and_b32_e32 v1, 0x80000000, v1
	v_lshl_add_u32 v2, v2, 23, v3
	v_or3_b32 v0, v1, v2, v0
.LBB6_16637:                            ;   in Loop: Header=BB6_16537 Depth=3
	s_or_b64 exec, exec, s[34:35]
.LBB6_16638:                            ;   in Loop: Header=BB6_16537 Depth=3
	s_or_b64 exec, exec, s[30:31]
.LBB6_16639:                            ;   in Loop: Header=BB6_16537 Depth=3
	s_or_b64 exec, exec, s[28:29]
	v_mul_f32_e32 v1, v16, v0
	v_and_b32_e32 v2, 0x7f800000, v1
	v_mov_b32_e32 v3, v51
	v_cmp_ne_u64_e32 vcc, s[76:77], v[2:3]
                                        ; implicit-def: $vgpr35
	s_and_saveexec_b64 s[28:29], vcc
	s_xor_b64 s[30:31], exec, s[28:29]
	s_cbranch_execz .LBB6_16653
; %bb.16640:                            ;   in Loop: Header=BB6_16537 Depth=3
	v_and_b32_e32 v2, 0x7fffffff, v1
	v_mov_b32_e32 v3, v51
	v_cmp_gt_u64_e32 vcc, s[78:79], v[2:3]
	v_and_b32_sdwa v0, v1, s96 dst_sel:DWORD dst_unused:UNUSED_PAD src0_sel:BYTE_3 src1_sel:DWORD
                                        ; implicit-def: $vgpr35
	s_and_saveexec_b64 s[28:29], vcc
	s_xor_b64 s[34:35], exec, s[28:29]
	s_cbranch_execz .LBB6_16650
; %bb.16641:                            ;   in Loop: Header=BB6_16537 Depth=3
	v_mov_b32_e32 v35, 0
	v_cmp_ne_u32_e32 vcc, 0, v1
	s_and_saveexec_b64 s[36:37], vcc
	s_cbranch_execz .LBB6_16649
; %bb.16642:                            ;   in Loop: Header=BB6_16537 Depth=3
	v_and_b32_e32 v3, 0x7fffff, v1
	v_bfe_u32 v1, v1, 23, 8
	v_cmp_gt_u32_e64 s[28:29], s97, v1
	v_sub_u32_e32 v2, 0x79, v1
	v_cmp_eq_u32_e32 vcc, 0, v1
	v_cndmask_b32_e64 v2, 0, v2, s[28:29]
	v_mov_b32_e32 v6, 0x78
	v_or_b32_e32 v5, 0x800000, v3
	v_cndmask_b32_e32 v2, v2, v6, vcc
	v_cndmask_b32_e32 v5, v5, v3, vcc
	v_add_u32_e32 v3, 20, v2
	v_lshlrev_b64 v[13:14], v3, -1
	v_add_u32_e32 v3, 19, v2
	v_lshlrev_b64 v[17:18], v3, 1
	v_mov_b32_e32 v6, v51
	v_bfi_b32 v14, v14, 0, 0
	v_bfi_b32 v13, v13, 0, v5
	v_cmp_eq_u64_e64 s[28:29], v[13:14], v[17:18]
	v_lshrrev_b64 v[13:14], v2, v[5:6]
	v_mov_b32_e32 v15, v14
	v_mov_b32_e32 v14, v13
	s_and_saveexec_b64 s[38:39], s[28:29]
; %bb.16643:                            ;   in Loop: Header=BB6_16537 Depth=3
	v_bfe_u32 v3, v13, 20, 1
	v_add_co_u32_e64 v3, s[28:29], v13, v3
	v_add_co_u32_e64 v14, s[28:29], -1, v3
; %bb.16644:                            ;   in Loop: Header=BB6_16537 Depth=3
	s_or_b64 exec, exec, s[38:39]
	v_add_u32_e32 v1, 0xffffff81, v1
	v_mov_b32_e32 v3, 0xffffff82
	v_cndmask_b32_e32 v1, v1, v3, vcc
	v_lshrrev_b32_e32 v3, 23, v13
	v_add3_u32 v3, v2, v1, v3
	v_add_u32_e32 v2, 6, v3
	v_and_b32_e32 v1, 0xfffff, v14
	v_add_u32_e32 v13, v1, v13
	v_mov_b32_e32 v14, v51
	v_cmp_ne_u32_e32 vcc, 0, v2
                                        ; implicit-def: $vgpr1
	s_and_saveexec_b64 s[28:29], vcc
	s_xor_b64 s[28:29], exec, s[28:29]
; %bb.16645:                            ;   in Loop: Header=BB6_16537 Depth=3
	v_cmp_lt_u64_e32 vcc, s[88:89], v[13:14]
	v_add_u32_e32 v1, 7, v3
	v_cndmask_b32_e32 v1, v2, v1, vcc
	v_cndmask_b32_e64 v2, 0, 1, vcc
	v_lshrrev_b64 v[13:14], v2, v[13:14]
; %bb.16646:                            ;   in Loop: Header=BB6_16537 Depth=3
	s_andn2_saveexec_b64 s[28:29], s[28:29]
; %bb.16647:                            ;   in Loop: Header=BB6_16537 Depth=3
	v_bfe_u32 v1, v13, 23, 1
; %bb.16648:                            ;   in Loop: Header=BB6_16537 Depth=3
	s_or_b64 exec, exec, s[28:29]
	v_lshrrev_b64 v[2:3], 20, v[13:14]
	v_cmp_gt_i32_e32 vcc, 16, v1
	v_cndmask_b32_e32 v3, 0, v3, vcc
	v_cndmask_b32_e32 v2, 7, v2, vcc
	v_cmp_eq_u32_e32 vcc, 0, v1
	v_min_i32_e32 v1, 15, v1
	v_cmp_eq_u64_e64 s[28:29], 0, v[2:3]
	v_lshlrev_b32_e32 v1, 3, v1
	v_and_b32_e32 v1, 0xf8, v1
	v_and_or_b32 v1, v2, 7, v1
	s_and_b64 s[28:29], vcc, s[28:29]
	v_cndmask_b32_e64 v1, v1, 0, s[28:29]
	v_or_b32_e32 v35, v1, v0
.LBB6_16649:                            ;   in Loop: Header=BB6_16537 Depth=3
	s_or_b64 exec, exec, s[36:37]
                                        ; implicit-def: $vgpr0
.LBB6_16650:                            ;   in Loop: Header=BB6_16537 Depth=3
	s_andn2_saveexec_b64 s[28:29], s[34:35]
; %bb.16651:                            ;   in Loop: Header=BB6_16537 Depth=3
	v_or_b32_e32 v35, 0x7e, v0
; %bb.16652:                            ;   in Loop: Header=BB6_16537 Depth=3
	s_or_b64 exec, exec, s[28:29]
                                        ; implicit-def: $vgpr1
.LBB6_16653:                            ;   in Loop: Header=BB6_16537 Depth=3
	s_andn2_saveexec_b64 s[28:29], s[30:31]
; %bb.16654:                            ;   in Loop: Header=BB6_16537 Depth=3
	v_or_b32_sdwa v35, v1, s86 dst_sel:DWORD dst_unused:UNUSED_PAD src0_sel:BYTE_3 src1_sel:DWORD
; %bb.16655:                            ;   in Loop: Header=BB6_16537 Depth=3
	s_or_b64 exec, exec, s[28:29]
	v_lshrrev_b16_e32 v13, 8, v12
	v_cmp_ne_u16_e32 vcc, 0, v13
	v_mov_b32_e32 v0, 0
	s_and_saveexec_b64 s[28:29], vcc
	s_cbranch_execz .LBB6_16661
; %bb.16656:                            ;   in Loop: Header=BB6_16537 Depth=3
	v_cmp_ne_u16_e32 vcc, s96, v13
	v_bfrev_b32_e32 v0, 1
	s_and_saveexec_b64 s[30:31], vcc
	s_cbranch_execz .LBB6_16660
; %bb.16657:                            ;   in Loop: Header=BB6_16537 Depth=3
	v_and_b32_e32 v1, 0x7f, v13
	v_cmp_ne_u32_e32 vcc, s86, v1
	v_mov_b32_e32 v0, 0x7f800001
	s_and_saveexec_b64 s[34:35], vcc
	s_cbranch_execz .LBB6_16659
; %bb.16658:                            ;   in Loop: Header=BB6_16537 Depth=3
	v_and_b32_e32 v2, 7, v13
	v_ffbh_u32_e32 v0, v2
	v_min_u32_e32 v5, 32, v0
	v_subrev_u32_e32 v0, 28, v5
	v_lshrrev_b32_e32 v3, 3, v1
	v_cmp_gt_u32_e32 vcc, 8, v1
	v_lshlrev_b64 v[0:1], v0, v[13:14]
	v_sub_u32_e32 v1, 29, v5
	v_and_b32_e32 v0, 7, v0
	v_cndmask_b32_e32 v1, v3, v1, vcc
	v_cndmask_b32_e32 v0, v2, v0, vcc
	v_lshlrev_b32_e32 v2, 16, v12
	v_bfrev_b32_e32 v3, 60
	v_lshlrev_b32_e32 v0, 20, v0
	v_and_b32_e32 v2, 0x80000000, v2
	v_lshl_add_u32 v1, v1, 23, v3
	v_or3_b32 v0, v2, v1, v0
.LBB6_16659:                            ;   in Loop: Header=BB6_16537 Depth=3
	s_or_b64 exec, exec, s[34:35]
.LBB6_16660:                            ;   in Loop: Header=BB6_16537 Depth=3
	s_or_b64 exec, exec, s[30:31]
.LBB6_16661:                            ;   in Loop: Header=BB6_16537 Depth=3
	s_or_b64 exec, exec, s[28:29]
	v_mul_f32_e32 v1, v16, v0
	v_and_b32_e32 v2, 0x7f800000, v1
	v_mov_b32_e32 v3, v51
	v_cmp_ne_u64_e32 vcc, s[76:77], v[2:3]
                                        ; implicit-def: $vgpr5
	s_and_saveexec_b64 s[28:29], vcc
	s_xor_b64 s[30:31], exec, s[28:29]
	s_cbranch_execz .LBB6_16675
; %bb.16662:                            ;   in Loop: Header=BB6_16537 Depth=3
	v_and_b32_e32 v2, 0x7fffffff, v1
	v_mov_b32_e32 v3, v51
	v_cmp_gt_u64_e32 vcc, s[78:79], v[2:3]
	v_and_b32_sdwa v0, v1, s96 dst_sel:DWORD dst_unused:UNUSED_PAD src0_sel:BYTE_3 src1_sel:DWORD
                                        ; implicit-def: $vgpr5
	s_and_saveexec_b64 s[28:29], vcc
	s_xor_b64 s[34:35], exec, s[28:29]
	s_cbranch_execz .LBB6_16672
; %bb.16663:                            ;   in Loop: Header=BB6_16537 Depth=3
	v_mov_b32_e32 v5, 0
	v_cmp_ne_u32_e32 vcc, 0, v1
	s_and_saveexec_b64 s[36:37], vcc
	s_cbranch_execz .LBB6_16671
; %bb.16664:                            ;   in Loop: Header=BB6_16537 Depth=3
	v_and_b32_e32 v3, 0x7fffff, v1
	v_bfe_u32 v1, v1, 23, 8
	v_cmp_gt_u32_e64 s[28:29], s97, v1
	v_sub_u32_e32 v2, 0x79, v1
	v_cmp_eq_u32_e32 vcc, 0, v1
	v_cndmask_b32_e64 v2, 0, v2, s[28:29]
	v_mov_b32_e32 v6, 0x78
	v_or_b32_e32 v5, 0x800000, v3
	v_cndmask_b32_e32 v2, v2, v6, vcc
	v_cndmask_b32_e32 v5, v5, v3, vcc
	v_add_u32_e32 v3, 20, v2
	v_lshlrev_b64 v[12:13], v3, -1
	v_add_u32_e32 v3, 19, v2
	v_lshlrev_b64 v[14:15], v3, 1
	v_mov_b32_e32 v6, v51
	v_bfi_b32 v13, v13, 0, 0
	v_bfi_b32 v12, v12, 0, v5
	v_cmp_eq_u64_e64 s[28:29], v[12:13], v[14:15]
	v_lshrrev_b64 v[12:13], v2, v[5:6]
	v_mov_b32_e32 v14, v13
	v_mov_b32_e32 v13, v12
	s_and_saveexec_b64 s[38:39], s[28:29]
; %bb.16665:                            ;   in Loop: Header=BB6_16537 Depth=3
	v_bfe_u32 v3, v12, 20, 1
	v_add_co_u32_e64 v3, s[28:29], v12, v3
	v_add_co_u32_e64 v13, s[28:29], -1, v3
; %bb.16666:                            ;   in Loop: Header=BB6_16537 Depth=3
	s_or_b64 exec, exec, s[38:39]
	v_add_u32_e32 v1, 0xffffff81, v1
	v_mov_b32_e32 v3, 0xffffff82
	v_cndmask_b32_e32 v1, v1, v3, vcc
	v_lshrrev_b32_e32 v3, 23, v12
	v_add3_u32 v3, v2, v1, v3
	v_add_u32_e32 v2, 6, v3
	v_and_b32_e32 v1, 0xfffff, v13
	v_add_u32_e32 v12, v1, v12
	v_mov_b32_e32 v13, v51
	v_cmp_ne_u32_e32 vcc, 0, v2
                                        ; implicit-def: $vgpr1
	s_and_saveexec_b64 s[28:29], vcc
	s_xor_b64 s[28:29], exec, s[28:29]
; %bb.16667:                            ;   in Loop: Header=BB6_16537 Depth=3
	v_cmp_lt_u64_e32 vcc, s[88:89], v[12:13]
	v_add_u32_e32 v1, 7, v3
	v_cndmask_b32_e32 v1, v2, v1, vcc
	v_cndmask_b32_e64 v2, 0, 1, vcc
	v_lshrrev_b64 v[12:13], v2, v[12:13]
; %bb.16668:                            ;   in Loop: Header=BB6_16537 Depth=3
	s_andn2_saveexec_b64 s[28:29], s[28:29]
; %bb.16669:                            ;   in Loop: Header=BB6_16537 Depth=3
	v_bfe_u32 v1, v12, 23, 1
; %bb.16670:                            ;   in Loop: Header=BB6_16537 Depth=3
	s_or_b64 exec, exec, s[28:29]
	v_lshrrev_b64 v[2:3], 20, v[12:13]
	v_cmp_gt_i32_e32 vcc, 16, v1
	v_cndmask_b32_e32 v3, 0, v3, vcc
	v_cndmask_b32_e32 v2, 7, v2, vcc
	v_cmp_eq_u32_e32 vcc, 0, v1
	v_min_i32_e32 v1, 15, v1
	v_cmp_eq_u64_e64 s[28:29], 0, v[2:3]
	v_lshlrev_b32_e32 v1, 3, v1
	v_and_b32_e32 v1, 0xf8, v1
	v_and_or_b32 v1, v2, 7, v1
	s_and_b64 s[28:29], vcc, s[28:29]
	v_cndmask_b32_e64 v1, v1, 0, s[28:29]
	v_or_b32_e32 v5, v1, v0
.LBB6_16671:                            ;   in Loop: Header=BB6_16537 Depth=3
	s_or_b64 exec, exec, s[36:37]
                                        ; implicit-def: $vgpr0
.LBB6_16672:                            ;   in Loop: Header=BB6_16537 Depth=3
	s_andn2_saveexec_b64 s[28:29], s[34:35]
; %bb.16673:                            ;   in Loop: Header=BB6_16537 Depth=3
	v_or_b32_e32 v5, 0x7e, v0
; %bb.16674:                            ;   in Loop: Header=BB6_16537 Depth=3
	s_or_b64 exec, exec, s[28:29]
                                        ; implicit-def: $vgpr1
.LBB6_16675:                            ;   in Loop: Header=BB6_16537 Depth=3
	s_andn2_saveexec_b64 s[28:29], s[30:31]
; %bb.16676:                            ;   in Loop: Header=BB6_16537 Depth=3
	v_or_b32_sdwa v5, v1, s86 dst_sel:DWORD dst_unused:UNUSED_PAD src0_sel:BYTE_3 src1_sel:DWORD
; %bb.16677:                            ;   in Loop: Header=BB6_16537 Depth=3
	s_or_b64 exec, exec, s[28:29]
	v_lshrrev_b32_e32 v12, 16, v9
	v_cmp_ne_u16_sdwa vcc, v12, v51 src0_sel:BYTE_0 src1_sel:DWORD
	v_mov_b32_e32 v0, 0
	s_and_saveexec_b64 s[28:29], vcc
	s_cbranch_execz .LBB6_16683
; %bb.16678:                            ;   in Loop: Header=BB6_16537 Depth=3
	v_cmp_ne_u16_sdwa vcc, v12, s96 src0_sel:BYTE_0 src1_sel:DWORD
	v_bfrev_b32_e32 v0, 1
	s_and_saveexec_b64 s[30:31], vcc
	s_cbranch_execz .LBB6_16682
; %bb.16679:                            ;   in Loop: Header=BB6_16537 Depth=3
	v_bfe_u32 v1, v9, 16, 7
	v_cmp_ne_u32_e32 vcc, s86, v1
	v_mov_b32_e32 v0, 0x7f800001
	s_and_saveexec_b64 s[34:35], vcc
	s_cbranch_execz .LBB6_16681
; %bb.16680:                            ;   in Loop: Header=BB6_16537 Depth=3
	v_and_b32_e32 v2, 7, v12
	v_ffbh_u32_e32 v0, v2
	v_min_u32_e32 v6, 32, v0
	v_subrev_u32_e32 v0, 28, v6
	v_lshrrev_b32_e32 v3, 3, v1
	v_cmp_gt_u32_e32 vcc, 8, v1
	v_lshlrev_b64 v[0:1], v0, v[12:13]
	v_sub_u32_e32 v1, 29, v6
	v_and_b32_e32 v0, 7, v0
	v_cndmask_b32_e32 v1, v3, v1, vcc
	v_cndmask_b32_e32 v0, v2, v0, vcc
	v_lshlrev_b32_e32 v2, 24, v12
	v_bfrev_b32_e32 v3, 60
	v_lshlrev_b32_e32 v0, 20, v0
	v_and_b32_e32 v2, 0x80000000, v2
	v_lshl_add_u32 v1, v1, 23, v3
	v_or3_b32 v0, v2, v1, v0
.LBB6_16681:                            ;   in Loop: Header=BB6_16537 Depth=3
	s_or_b64 exec, exec, s[34:35]
.LBB6_16682:                            ;   in Loop: Header=BB6_16537 Depth=3
	s_or_b64 exec, exec, s[30:31]
.LBB6_16683:                            ;   in Loop: Header=BB6_16537 Depth=3
	s_or_b64 exec, exec, s[28:29]
	v_mul_f32_e32 v1, v16, v0
	v_and_b32_e32 v2, 0x7f800000, v1
	v_mov_b32_e32 v3, v51
	v_cmp_ne_u64_e32 vcc, s[76:77], v[2:3]
                                        ; implicit-def: $vgpr33
	s_and_saveexec_b64 s[28:29], vcc
	s_xor_b64 s[30:31], exec, s[28:29]
	s_cbranch_execz .LBB6_16697
; %bb.16684:                            ;   in Loop: Header=BB6_16537 Depth=3
	v_and_b32_e32 v2, 0x7fffffff, v1
	v_mov_b32_e32 v3, v51
	v_cmp_gt_u64_e32 vcc, s[78:79], v[2:3]
	v_and_b32_sdwa v0, v1, s96 dst_sel:DWORD dst_unused:UNUSED_PAD src0_sel:BYTE_3 src1_sel:DWORD
                                        ; implicit-def: $vgpr33
	s_and_saveexec_b64 s[28:29], vcc
	s_xor_b64 s[34:35], exec, s[28:29]
	s_cbranch_execz .LBB6_16694
; %bb.16685:                            ;   in Loop: Header=BB6_16537 Depth=3
	v_mov_b32_e32 v33, 0
	v_cmp_ne_u32_e32 vcc, 0, v1
	s_and_saveexec_b64 s[36:37], vcc
	s_cbranch_execz .LBB6_16693
; %bb.16686:                            ;   in Loop: Header=BB6_16537 Depth=3
	v_and_b32_e32 v3, 0x7fffff, v1
	v_bfe_u32 v1, v1, 23, 8
	v_cmp_gt_u32_e64 s[28:29], s97, v1
	v_sub_u32_e32 v2, 0x79, v1
	v_cmp_eq_u32_e32 vcc, 0, v1
	v_cndmask_b32_e64 v2, 0, v2, s[28:29]
	v_mov_b32_e32 v7, 0x78
	v_or_b32_e32 v6, 0x800000, v3
	v_cndmask_b32_e32 v2, v2, v7, vcc
	v_cndmask_b32_e32 v6, v6, v3, vcc
	v_add_u32_e32 v3, 20, v2
	v_lshlrev_b64 v[12:13], v3, -1
	v_add_u32_e32 v3, 19, v2
	v_lshlrev_b64 v[14:15], v3, 1
	v_mov_b32_e32 v7, v51
	v_bfi_b32 v13, v13, 0, 0
	v_bfi_b32 v12, v12, 0, v6
	v_cmp_eq_u64_e64 s[28:29], v[12:13], v[14:15]
	v_lshrrev_b64 v[12:13], v2, v[6:7]
	v_mov_b32_e32 v14, v13
	v_mov_b32_e32 v13, v12
	s_and_saveexec_b64 s[38:39], s[28:29]
; %bb.16687:                            ;   in Loop: Header=BB6_16537 Depth=3
	v_bfe_u32 v3, v12, 20, 1
	v_add_co_u32_e64 v3, s[28:29], v12, v3
	v_add_co_u32_e64 v13, s[28:29], -1, v3
; %bb.16688:                            ;   in Loop: Header=BB6_16537 Depth=3
	s_or_b64 exec, exec, s[38:39]
	v_add_u32_e32 v1, 0xffffff81, v1
	v_mov_b32_e32 v3, 0xffffff82
	v_cndmask_b32_e32 v1, v1, v3, vcc
	v_lshrrev_b32_e32 v3, 23, v12
	v_add3_u32 v3, v2, v1, v3
	v_add_u32_e32 v2, 6, v3
	v_and_b32_e32 v1, 0xfffff, v13
	v_add_u32_e32 v12, v1, v12
	v_mov_b32_e32 v13, v51
	v_cmp_ne_u32_e32 vcc, 0, v2
                                        ; implicit-def: $vgpr1
	s_and_saveexec_b64 s[28:29], vcc
	s_xor_b64 s[28:29], exec, s[28:29]
; %bb.16689:                            ;   in Loop: Header=BB6_16537 Depth=3
	v_cmp_lt_u64_e32 vcc, s[88:89], v[12:13]
	v_add_u32_e32 v1, 7, v3
	v_cndmask_b32_e32 v1, v2, v1, vcc
	v_cndmask_b32_e64 v2, 0, 1, vcc
	v_lshrrev_b64 v[12:13], v2, v[12:13]
; %bb.16690:                            ;   in Loop: Header=BB6_16537 Depth=3
	s_andn2_saveexec_b64 s[28:29], s[28:29]
; %bb.16691:                            ;   in Loop: Header=BB6_16537 Depth=3
	v_bfe_u32 v1, v12, 23, 1
; %bb.16692:                            ;   in Loop: Header=BB6_16537 Depth=3
	s_or_b64 exec, exec, s[28:29]
	v_lshrrev_b64 v[2:3], 20, v[12:13]
	v_cmp_gt_i32_e32 vcc, 16, v1
	v_cndmask_b32_e32 v3, 0, v3, vcc
	v_cndmask_b32_e32 v2, 7, v2, vcc
	v_cmp_eq_u32_e32 vcc, 0, v1
	v_min_i32_e32 v1, 15, v1
	v_cmp_eq_u64_e64 s[28:29], 0, v[2:3]
	v_lshlrev_b32_e32 v1, 3, v1
	v_and_b32_e32 v1, 0xf8, v1
	v_and_or_b32 v1, v2, 7, v1
	s_and_b64 s[28:29], vcc, s[28:29]
	v_cndmask_b32_e64 v1, v1, 0, s[28:29]
	v_or_b32_e32 v33, v1, v0
.LBB6_16693:                            ;   in Loop: Header=BB6_16537 Depth=3
	s_or_b64 exec, exec, s[36:37]
                                        ; implicit-def: $vgpr0
.LBB6_16694:                            ;   in Loop: Header=BB6_16537 Depth=3
	s_andn2_saveexec_b64 s[28:29], s[34:35]
; %bb.16695:                            ;   in Loop: Header=BB6_16537 Depth=3
	v_or_b32_e32 v33, 0x7e, v0
; %bb.16696:                            ;   in Loop: Header=BB6_16537 Depth=3
	s_or_b64 exec, exec, s[28:29]
                                        ; implicit-def: $vgpr1
.LBB6_16697:                            ;   in Loop: Header=BB6_16537 Depth=3
	s_andn2_saveexec_b64 s[28:29], s[30:31]
; %bb.16698:                            ;   in Loop: Header=BB6_16537 Depth=3
	v_or_b32_sdwa v33, v1, s86 dst_sel:DWORD dst_unused:UNUSED_PAD src0_sel:BYTE_3 src1_sel:DWORD
; %bb.16699:                            ;   in Loop: Header=BB6_16537 Depth=3
	s_or_b64 exec, exec, s[28:29]
	v_cmp_lt_u64_e32 vcc, s[56:57], v[8:9]
	v_mov_b32_e32 v0, 0
	s_and_saveexec_b64 s[28:29], vcc
	s_cbranch_execz .LBB6_16705
; %bb.16700:                            ;   in Loop: Header=BB6_16537 Depth=3
	v_lshrrev_b32_e32 v8, 24, v9
	v_cmp_ne_u32_e32 vcc, s96, v8
	v_bfrev_b32_e32 v0, 1
	s_and_saveexec_b64 s[30:31], vcc
	s_cbranch_execz .LBB6_16704
; %bb.16701:                            ;   in Loop: Header=BB6_16537 Depth=3
	v_bfe_u32 v1, v9, 24, 7
	v_cmp_ne_u32_e32 vcc, s86, v1
	v_mov_b32_e32 v0, 0x7f800001
	s_and_saveexec_b64 s[34:35], vcc
	s_cbranch_execz .LBB6_16703
; %bb.16702:                            ;   in Loop: Header=BB6_16537 Depth=3
	v_and_b32_e32 v2, 7, v8
	v_ffbh_u32_e32 v0, v2
	v_min_u32_e32 v6, 32, v0
	v_subrev_u32_e32 v0, 28, v6
	v_lshrrev_b32_e32 v3, 3, v1
	v_cmp_gt_u32_e32 vcc, 8, v1
	v_lshlrev_b64 v[0:1], v0, v[8:9]
	v_sub_u32_e32 v1, 29, v6
	v_and_b32_e32 v0, 7, v0
	v_cndmask_b32_e32 v1, v3, v1, vcc
	v_cndmask_b32_e32 v0, v2, v0, vcc
	v_lshlrev_b32_e32 v2, 24, v8
	v_bfrev_b32_e32 v3, 60
	v_lshlrev_b32_e32 v0, 20, v0
	v_and_b32_e32 v2, 0x80000000, v2
	v_lshl_add_u32 v1, v1, 23, v3
	v_or3_b32 v0, v2, v1, v0
.LBB6_16703:                            ;   in Loop: Header=BB6_16537 Depth=3
	s_or_b64 exec, exec, s[34:35]
.LBB6_16704:                            ;   in Loop: Header=BB6_16537 Depth=3
	s_or_b64 exec, exec, s[30:31]
.LBB6_16705:                            ;   in Loop: Header=BB6_16537 Depth=3
	s_or_b64 exec, exec, s[28:29]
	v_mul_f32_e32 v1, v16, v0
	v_and_b32_e32 v2, 0x7f800000, v1
	v_mov_b32_e32 v3, v51
	v_cmp_ne_u64_e32 vcc, s[76:77], v[2:3]
                                        ; implicit-def: $vgpr40
	s_and_saveexec_b64 s[28:29], vcc
	s_xor_b64 s[30:31], exec, s[28:29]
	s_cbranch_execz .LBB6_16719
; %bb.16706:                            ;   in Loop: Header=BB6_16537 Depth=3
	v_and_b32_e32 v2, 0x7fffffff, v1
	v_mov_b32_e32 v3, v51
	v_cmp_gt_u64_e32 vcc, s[78:79], v[2:3]
	v_and_b32_sdwa v0, v1, s96 dst_sel:DWORD dst_unused:UNUSED_PAD src0_sel:BYTE_3 src1_sel:DWORD
                                        ; implicit-def: $vgpr40
	s_and_saveexec_b64 s[28:29], vcc
	s_xor_b64 s[34:35], exec, s[28:29]
	s_cbranch_execz .LBB6_16716
; %bb.16707:                            ;   in Loop: Header=BB6_16537 Depth=3
	v_mov_b32_e32 v40, 0
	v_cmp_ne_u32_e32 vcc, 0, v1
	s_and_saveexec_b64 s[36:37], vcc
	s_cbranch_execz .LBB6_16715
; %bb.16708:                            ;   in Loop: Header=BB6_16537 Depth=3
	v_and_b32_e32 v3, 0x7fffff, v1
	v_bfe_u32 v1, v1, 23, 8
	v_cmp_gt_u32_e64 s[28:29], s97, v1
	v_sub_u32_e32 v2, 0x79, v1
	v_cmp_eq_u32_e32 vcc, 0, v1
	v_cndmask_b32_e64 v2, 0, v2, s[28:29]
	v_mov_b32_e32 v7, 0x78
	v_or_b32_e32 v6, 0x800000, v3
	v_cndmask_b32_e32 v2, v2, v7, vcc
	v_cndmask_b32_e32 v6, v6, v3, vcc
	v_add_u32_e32 v3, 20, v2
	v_lshlrev_b64 v[8:9], v3, -1
	v_add_u32_e32 v3, 19, v2
	v_lshlrev_b64 v[12:13], v3, 1
	v_mov_b32_e32 v7, v51
	v_bfi_b32 v9, v9, 0, 0
	v_bfi_b32 v8, v8, 0, v6
	v_cmp_eq_u64_e64 s[28:29], v[8:9], v[12:13]
	v_lshrrev_b64 v[8:9], v2, v[6:7]
	v_mov_b32_e32 v13, v9
	v_mov_b32_e32 v12, v8
	s_and_saveexec_b64 s[38:39], s[28:29]
; %bb.16709:                            ;   in Loop: Header=BB6_16537 Depth=3
	v_bfe_u32 v3, v8, 20, 1
	v_add_co_u32_e64 v3, s[28:29], v8, v3
	v_add_co_u32_e64 v12, s[28:29], -1, v3
; %bb.16710:                            ;   in Loop: Header=BB6_16537 Depth=3
	s_or_b64 exec, exec, s[38:39]
	v_add_u32_e32 v1, 0xffffff81, v1
	v_mov_b32_e32 v3, 0xffffff82
	v_cndmask_b32_e32 v1, v1, v3, vcc
	v_lshrrev_b32_e32 v3, 23, v8
	v_add3_u32 v3, v2, v1, v3
	v_add_u32_e32 v2, 6, v3
	v_and_b32_e32 v1, 0xfffff, v12
	v_add_u32_e32 v8, v1, v8
	v_mov_b32_e32 v9, v51
	v_cmp_ne_u32_e32 vcc, 0, v2
                                        ; implicit-def: $vgpr1
	s_and_saveexec_b64 s[28:29], vcc
	s_xor_b64 s[28:29], exec, s[28:29]
; %bb.16711:                            ;   in Loop: Header=BB6_16537 Depth=3
	v_cmp_lt_u64_e32 vcc, s[88:89], v[8:9]
	v_add_u32_e32 v1, 7, v3
	v_cndmask_b32_e32 v1, v2, v1, vcc
	v_cndmask_b32_e64 v2, 0, 1, vcc
	v_lshrrev_b64 v[8:9], v2, v[8:9]
; %bb.16712:                            ;   in Loop: Header=BB6_16537 Depth=3
	s_andn2_saveexec_b64 s[28:29], s[28:29]
; %bb.16713:                            ;   in Loop: Header=BB6_16537 Depth=3
	v_bfe_u32 v1, v8, 23, 1
; %bb.16714:                            ;   in Loop: Header=BB6_16537 Depth=3
	s_or_b64 exec, exec, s[28:29]
	v_lshrrev_b64 v[2:3], 20, v[8:9]
	v_cmp_gt_i32_e32 vcc, 16, v1
	v_cndmask_b32_e32 v3, 0, v3, vcc
	v_cndmask_b32_e32 v2, 7, v2, vcc
	v_cmp_eq_u32_e32 vcc, 0, v1
	v_min_i32_e32 v1, 15, v1
	v_cmp_eq_u64_e64 s[28:29], 0, v[2:3]
	v_lshlrev_b32_e32 v1, 3, v1
	v_and_b32_e32 v1, 0xf8, v1
	v_and_or_b32 v1, v2, 7, v1
	s_and_b64 s[28:29], vcc, s[28:29]
	v_cndmask_b32_e64 v1, v1, 0, s[28:29]
	v_or_b32_e32 v40, v1, v0
.LBB6_16715:                            ;   in Loop: Header=BB6_16537 Depth=3
	s_or_b64 exec, exec, s[36:37]
                                        ; implicit-def: $vgpr0
.LBB6_16716:                            ;   in Loop: Header=BB6_16537 Depth=3
	s_andn2_saveexec_b64 s[28:29], s[34:35]
; %bb.16717:                            ;   in Loop: Header=BB6_16537 Depth=3
	v_or_b32_e32 v40, 0x7e, v0
; %bb.16718:                            ;   in Loop: Header=BB6_16537 Depth=3
	s_or_b64 exec, exec, s[28:29]
                                        ; implicit-def: $vgpr1
.LBB6_16719:                            ;   in Loop: Header=BB6_16537 Depth=3
	s_andn2_saveexec_b64 s[28:29], s[30:31]
; %bb.16720:                            ;   in Loop: Header=BB6_16537 Depth=3
	v_or_b32_sdwa v40, v1, s86 dst_sel:DWORD dst_unused:UNUSED_PAD src0_sel:BYTE_3 src1_sel:DWORD
; %bb.16721:                            ;   in Loop: Header=BB6_16537 Depth=3
	s_or_b64 exec, exec, s[28:29]
	v_cmp_ne_u16_sdwa vcc, v10, v51 src0_sel:BYTE_0 src1_sel:DWORD
	v_mov_b32_e32 v0, 0
	s_and_saveexec_b64 s[28:29], vcc
	s_cbranch_execz .LBB6_16727
; %bb.16722:                            ;   in Loop: Header=BB6_16537 Depth=3
	v_cmp_ne_u16_sdwa vcc, v10, s96 src0_sel:BYTE_0 src1_sel:DWORD
	v_bfrev_b32_e32 v0, 1
	s_and_saveexec_b64 s[30:31], vcc
	s_cbranch_execz .LBB6_16726
; %bb.16723:                            ;   in Loop: Header=BB6_16537 Depth=3
	v_and_b32_e32 v1, 0x7f, v10
	v_cmp_ne_u32_e32 vcc, s86, v1
	v_mov_b32_e32 v0, 0x7f800001
	s_and_saveexec_b64 s[34:35], vcc
	s_cbranch_execz .LBB6_16725
; %bb.16724:                            ;   in Loop: Header=BB6_16537 Depth=3
	v_and_b32_e32 v0, 7, v10
	v_ffbh_u32_e32 v0, v0
	v_min_u32_e32 v0, 32, v0
	v_lshrrev_b32_e32 v2, 3, v1
	v_cmp_gt_u32_e32 vcc, 8, v1
	v_subrev_u32_e32 v1, 28, v0
	v_sub_u32_e32 v0, 29, v0
	v_cndmask_b32_e32 v2, v2, v0, vcc
	v_cndmask_b32_e32 v0, 0, v1, vcc
	v_lshlrev_b64 v[0:1], v0, v[10:11]
	v_lshlrev_b32_e32 v1, 24, v10
	v_lshlrev_b32_e32 v0, 20, v0
	v_bfrev_b32_e32 v3, 60
	v_and_b32_e32 v0, 0x700000, v0
	v_and_b32_e32 v1, 0x80000000, v1
	v_lshl_add_u32 v2, v2, 23, v3
	v_or3_b32 v0, v1, v2, v0
.LBB6_16725:                            ;   in Loop: Header=BB6_16537 Depth=3
	s_or_b64 exec, exec, s[34:35]
.LBB6_16726:                            ;   in Loop: Header=BB6_16537 Depth=3
	s_or_b64 exec, exec, s[30:31]
.LBB6_16727:                            ;   in Loop: Header=BB6_16537 Depth=3
	s_or_b64 exec, exec, s[28:29]
	v_mul_f32_e32 v1, v16, v0
	v_and_b32_e32 v2, 0x7f800000, v1
	v_mov_b32_e32 v3, v51
	v_cmp_ne_u64_e32 vcc, s[76:77], v[2:3]
                                        ; implicit-def: $vgpr38
	s_and_saveexec_b64 s[28:29], vcc
	s_xor_b64 s[30:31], exec, s[28:29]
	s_cbranch_execz .LBB6_16741
; %bb.16728:                            ;   in Loop: Header=BB6_16537 Depth=3
	v_and_b32_e32 v2, 0x7fffffff, v1
	v_mov_b32_e32 v3, v51
	v_cmp_gt_u64_e32 vcc, s[78:79], v[2:3]
	v_and_b32_sdwa v0, v1, s96 dst_sel:DWORD dst_unused:UNUSED_PAD src0_sel:BYTE_3 src1_sel:DWORD
                                        ; implicit-def: $vgpr38
	s_and_saveexec_b64 s[28:29], vcc
	s_xor_b64 s[34:35], exec, s[28:29]
	s_cbranch_execz .LBB6_16738
; %bb.16729:                            ;   in Loop: Header=BB6_16537 Depth=3
	v_mov_b32_e32 v38, 0
	v_cmp_ne_u32_e32 vcc, 0, v1
	s_and_saveexec_b64 s[36:37], vcc
	s_cbranch_execz .LBB6_16737
; %bb.16730:                            ;   in Loop: Header=BB6_16537 Depth=3
	v_and_b32_e32 v3, 0x7fffff, v1
	v_bfe_u32 v1, v1, 23, 8
	v_cmp_gt_u32_e64 s[28:29], s97, v1
	v_sub_u32_e32 v2, 0x79, v1
	v_cmp_eq_u32_e32 vcc, 0, v1
	v_cndmask_b32_e64 v2, 0, v2, s[28:29]
	v_mov_b32_e32 v7, 0x78
	v_or_b32_e32 v6, 0x800000, v3
	v_cndmask_b32_e32 v2, v2, v7, vcc
	v_cndmask_b32_e32 v6, v6, v3, vcc
	v_add_u32_e32 v3, 20, v2
	v_lshlrev_b64 v[8:9], v3, -1
	v_add_u32_e32 v3, 19, v2
	v_lshlrev_b64 v[12:13], v3, 1
	v_mov_b32_e32 v7, v51
	v_bfi_b32 v9, v9, 0, 0
	v_bfi_b32 v8, v8, 0, v6
	v_cmp_eq_u64_e64 s[28:29], v[8:9], v[12:13]
	v_lshrrev_b64 v[8:9], v2, v[6:7]
	v_mov_b32_e32 v13, v9
	v_mov_b32_e32 v12, v8
	s_and_saveexec_b64 s[38:39], s[28:29]
; %bb.16731:                            ;   in Loop: Header=BB6_16537 Depth=3
	v_bfe_u32 v3, v8, 20, 1
	v_add_co_u32_e64 v3, s[28:29], v8, v3
	v_add_co_u32_e64 v12, s[28:29], -1, v3
; %bb.16732:                            ;   in Loop: Header=BB6_16537 Depth=3
	s_or_b64 exec, exec, s[38:39]
	v_add_u32_e32 v1, 0xffffff81, v1
	v_mov_b32_e32 v3, 0xffffff82
	v_cndmask_b32_e32 v1, v1, v3, vcc
	v_lshrrev_b32_e32 v3, 23, v8
	v_add3_u32 v3, v2, v1, v3
	v_add_u32_e32 v2, 6, v3
	v_and_b32_e32 v1, 0xfffff, v12
	v_add_u32_e32 v8, v1, v8
	v_mov_b32_e32 v9, v51
	v_cmp_ne_u32_e32 vcc, 0, v2
                                        ; implicit-def: $vgpr1
	s_and_saveexec_b64 s[28:29], vcc
	s_xor_b64 s[28:29], exec, s[28:29]
; %bb.16733:                            ;   in Loop: Header=BB6_16537 Depth=3
	v_cmp_lt_u64_e32 vcc, s[88:89], v[8:9]
	v_add_u32_e32 v1, 7, v3
	v_cndmask_b32_e32 v1, v2, v1, vcc
	v_cndmask_b32_e64 v2, 0, 1, vcc
	v_lshrrev_b64 v[8:9], v2, v[8:9]
; %bb.16734:                            ;   in Loop: Header=BB6_16537 Depth=3
	s_andn2_saveexec_b64 s[28:29], s[28:29]
; %bb.16735:                            ;   in Loop: Header=BB6_16537 Depth=3
	v_bfe_u32 v1, v8, 23, 1
; %bb.16736:                            ;   in Loop: Header=BB6_16537 Depth=3
	s_or_b64 exec, exec, s[28:29]
	v_lshrrev_b64 v[2:3], 20, v[8:9]
	v_cmp_gt_i32_e32 vcc, 16, v1
	v_cndmask_b32_e32 v3, 0, v3, vcc
	v_cndmask_b32_e32 v2, 7, v2, vcc
	v_cmp_eq_u32_e32 vcc, 0, v1
	v_min_i32_e32 v1, 15, v1
	v_cmp_eq_u64_e64 s[28:29], 0, v[2:3]
	v_lshlrev_b32_e32 v1, 3, v1
	v_and_b32_e32 v1, 0xf8, v1
	v_and_or_b32 v1, v2, 7, v1
	s_and_b64 s[28:29], vcc, s[28:29]
	v_cndmask_b32_e64 v1, v1, 0, s[28:29]
	v_or_b32_e32 v38, v1, v0
.LBB6_16737:                            ;   in Loop: Header=BB6_16537 Depth=3
	s_or_b64 exec, exec, s[36:37]
                                        ; implicit-def: $vgpr0
.LBB6_16738:                            ;   in Loop: Header=BB6_16537 Depth=3
	s_andn2_saveexec_b64 s[28:29], s[34:35]
; %bb.16739:                            ;   in Loop: Header=BB6_16537 Depth=3
	v_or_b32_e32 v38, 0x7e, v0
; %bb.16740:                            ;   in Loop: Header=BB6_16537 Depth=3
	s_or_b64 exec, exec, s[28:29]
                                        ; implicit-def: $vgpr1
.LBB6_16741:                            ;   in Loop: Header=BB6_16537 Depth=3
	s_andn2_saveexec_b64 s[28:29], s[30:31]
; %bb.16742:                            ;   in Loop: Header=BB6_16537 Depth=3
	v_or_b32_sdwa v38, v1, s86 dst_sel:DWORD dst_unused:UNUSED_PAD src0_sel:BYTE_3 src1_sel:DWORD
; %bb.16743:                            ;   in Loop: Header=BB6_16537 Depth=3
	s_or_b64 exec, exec, s[28:29]
	v_lshrrev_b16_e32 v8, 8, v10
	v_cmp_ne_u16_e32 vcc, 0, v8
	v_mov_b32_e32 v0, 0
	s_and_saveexec_b64 s[28:29], vcc
	s_cbranch_execz .LBB6_16749
; %bb.16744:                            ;   in Loop: Header=BB6_16537 Depth=3
	v_cmp_ne_u16_e32 vcc, s96, v8
	v_bfrev_b32_e32 v0, 1
	s_and_saveexec_b64 s[30:31], vcc
	s_cbranch_execz .LBB6_16748
; %bb.16745:                            ;   in Loop: Header=BB6_16537 Depth=3
	v_and_b32_e32 v1, 0x7f, v8
	v_cmp_ne_u32_e32 vcc, s86, v1
	v_mov_b32_e32 v0, 0x7f800001
	s_and_saveexec_b64 s[34:35], vcc
	s_cbranch_execz .LBB6_16747
; %bb.16746:                            ;   in Loop: Header=BB6_16537 Depth=3
	v_and_b32_e32 v2, 7, v8
	v_ffbh_u32_e32 v0, v2
	v_min_u32_e32 v6, 32, v0
	v_subrev_u32_e32 v0, 28, v6
	v_lshrrev_b32_e32 v3, 3, v1
	v_cmp_gt_u32_e32 vcc, 8, v1
	v_lshlrev_b64 v[0:1], v0, v[8:9]
	v_sub_u32_e32 v1, 29, v6
	v_and_b32_e32 v0, 7, v0
	v_cndmask_b32_e32 v1, v3, v1, vcc
	v_cndmask_b32_e32 v0, v2, v0, vcc
	v_lshlrev_b32_e32 v2, 16, v10
	v_bfrev_b32_e32 v3, 60
	v_lshlrev_b32_e32 v0, 20, v0
	v_and_b32_e32 v2, 0x80000000, v2
	v_lshl_add_u32 v1, v1, 23, v3
	v_or3_b32 v0, v2, v1, v0
.LBB6_16747:                            ;   in Loop: Header=BB6_16537 Depth=3
	s_or_b64 exec, exec, s[34:35]
.LBB6_16748:                            ;   in Loop: Header=BB6_16537 Depth=3
	s_or_b64 exec, exec, s[30:31]
.LBB6_16749:                            ;   in Loop: Header=BB6_16537 Depth=3
	s_or_b64 exec, exec, s[28:29]
	v_mul_f32_e32 v1, v16, v0
	v_and_b32_e32 v2, 0x7f800000, v1
	v_mov_b32_e32 v3, v51
	v_cmp_ne_u64_e32 vcc, s[76:77], v[2:3]
                                        ; implicit-def: $vgpr41
	s_and_saveexec_b64 s[28:29], vcc
	s_xor_b64 s[30:31], exec, s[28:29]
	s_cbranch_execz .LBB6_16763
; %bb.16750:                            ;   in Loop: Header=BB6_16537 Depth=3
	v_and_b32_e32 v2, 0x7fffffff, v1
	v_mov_b32_e32 v3, v51
	v_cmp_gt_u64_e32 vcc, s[78:79], v[2:3]
	v_and_b32_sdwa v0, v1, s96 dst_sel:DWORD dst_unused:UNUSED_PAD src0_sel:BYTE_3 src1_sel:DWORD
                                        ; implicit-def: $vgpr41
	s_and_saveexec_b64 s[28:29], vcc
	s_xor_b64 s[34:35], exec, s[28:29]
	s_cbranch_execz .LBB6_16760
; %bb.16751:                            ;   in Loop: Header=BB6_16537 Depth=3
	v_mov_b32_e32 v41, 0
	v_cmp_ne_u32_e32 vcc, 0, v1
	s_and_saveexec_b64 s[36:37], vcc
	s_cbranch_execz .LBB6_16759
; %bb.16752:                            ;   in Loop: Header=BB6_16537 Depth=3
	v_and_b32_e32 v3, 0x7fffff, v1
	v_bfe_u32 v1, v1, 23, 8
	v_cmp_gt_u32_e64 s[28:29], s97, v1
	v_sub_u32_e32 v2, 0x79, v1
	v_cmp_eq_u32_e32 vcc, 0, v1
	v_cndmask_b32_e64 v2, 0, v2, s[28:29]
	v_mov_b32_e32 v7, 0x78
	v_or_b32_e32 v6, 0x800000, v3
	v_cndmask_b32_e32 v2, v2, v7, vcc
	v_cndmask_b32_e32 v6, v6, v3, vcc
	v_add_u32_e32 v3, 20, v2
	v_lshlrev_b64 v[8:9], v3, -1
	v_add_u32_e32 v3, 19, v2
	v_lshlrev_b64 v[12:13], v3, 1
	v_mov_b32_e32 v7, v51
	v_bfi_b32 v9, v9, 0, 0
	v_bfi_b32 v8, v8, 0, v6
	v_cmp_eq_u64_e64 s[28:29], v[8:9], v[12:13]
	v_lshrrev_b64 v[8:9], v2, v[6:7]
	v_mov_b32_e32 v13, v9
	v_mov_b32_e32 v12, v8
	s_and_saveexec_b64 s[38:39], s[28:29]
; %bb.16753:                            ;   in Loop: Header=BB6_16537 Depth=3
	v_bfe_u32 v3, v8, 20, 1
	v_add_co_u32_e64 v3, s[28:29], v8, v3
	v_add_co_u32_e64 v12, s[28:29], -1, v3
; %bb.16754:                            ;   in Loop: Header=BB6_16537 Depth=3
	s_or_b64 exec, exec, s[38:39]
	v_add_u32_e32 v1, 0xffffff81, v1
	v_mov_b32_e32 v3, 0xffffff82
	v_cndmask_b32_e32 v1, v1, v3, vcc
	v_lshrrev_b32_e32 v3, 23, v8
	v_add3_u32 v3, v2, v1, v3
	v_add_u32_e32 v2, 6, v3
	v_and_b32_e32 v1, 0xfffff, v12
	v_add_u32_e32 v8, v1, v8
	v_mov_b32_e32 v9, v51
	v_cmp_ne_u32_e32 vcc, 0, v2
                                        ; implicit-def: $vgpr1
	s_and_saveexec_b64 s[28:29], vcc
	s_xor_b64 s[28:29], exec, s[28:29]
; %bb.16755:                            ;   in Loop: Header=BB6_16537 Depth=3
	v_cmp_lt_u64_e32 vcc, s[88:89], v[8:9]
	v_add_u32_e32 v1, 7, v3
	v_cndmask_b32_e32 v1, v2, v1, vcc
	v_cndmask_b32_e64 v2, 0, 1, vcc
	v_lshrrev_b64 v[8:9], v2, v[8:9]
; %bb.16756:                            ;   in Loop: Header=BB6_16537 Depth=3
	s_andn2_saveexec_b64 s[28:29], s[28:29]
; %bb.16757:                            ;   in Loop: Header=BB6_16537 Depth=3
	v_bfe_u32 v1, v8, 23, 1
; %bb.16758:                            ;   in Loop: Header=BB6_16537 Depth=3
	s_or_b64 exec, exec, s[28:29]
	v_lshrrev_b64 v[2:3], 20, v[8:9]
	v_cmp_gt_i32_e32 vcc, 16, v1
	v_cndmask_b32_e32 v3, 0, v3, vcc
	v_cndmask_b32_e32 v2, 7, v2, vcc
	v_cmp_eq_u32_e32 vcc, 0, v1
	v_min_i32_e32 v1, 15, v1
	v_cmp_eq_u64_e64 s[28:29], 0, v[2:3]
	v_lshlrev_b32_e32 v1, 3, v1
	v_and_b32_e32 v1, 0xf8, v1
	v_and_or_b32 v1, v2, 7, v1
	s_and_b64 s[28:29], vcc, s[28:29]
	v_cndmask_b32_e64 v1, v1, 0, s[28:29]
	v_or_b32_e32 v41, v1, v0
.LBB6_16759:                            ;   in Loop: Header=BB6_16537 Depth=3
	s_or_b64 exec, exec, s[36:37]
                                        ; implicit-def: $vgpr0
.LBB6_16760:                            ;   in Loop: Header=BB6_16537 Depth=3
	s_andn2_saveexec_b64 s[28:29], s[34:35]
; %bb.16761:                            ;   in Loop: Header=BB6_16537 Depth=3
	v_or_b32_e32 v41, 0x7e, v0
; %bb.16762:                            ;   in Loop: Header=BB6_16537 Depth=3
	s_or_b64 exec, exec, s[28:29]
                                        ; implicit-def: $vgpr1
.LBB6_16763:                            ;   in Loop: Header=BB6_16537 Depth=3
	s_andn2_saveexec_b64 s[28:29], s[30:31]
; %bb.16764:                            ;   in Loop: Header=BB6_16537 Depth=3
	v_or_b32_sdwa v41, v1, s86 dst_sel:DWORD dst_unused:UNUSED_PAD src0_sel:BYTE_3 src1_sel:DWORD
; %bb.16765:                            ;   in Loop: Header=BB6_16537 Depth=3
	s_or_b64 exec, exec, s[28:29]
	v_lshrrev_b32_e32 v8, 16, v10
	v_cmp_ne_u16_sdwa vcc, v8, v51 src0_sel:BYTE_0 src1_sel:DWORD
	v_mov_b32_e32 v0, 0
	s_and_saveexec_b64 s[28:29], vcc
	s_cbranch_execz .LBB6_16771
; %bb.16766:                            ;   in Loop: Header=BB6_16537 Depth=3
	v_cmp_ne_u16_sdwa vcc, v8, s96 src0_sel:BYTE_0 src1_sel:DWORD
	v_bfrev_b32_e32 v0, 1
	s_and_saveexec_b64 s[30:31], vcc
	s_cbranch_execz .LBB6_16770
; %bb.16767:                            ;   in Loop: Header=BB6_16537 Depth=3
	v_bfe_u32 v1, v10, 16, 7
	v_cmp_ne_u32_e32 vcc, s86, v1
	v_mov_b32_e32 v0, 0x7f800001
	s_and_saveexec_b64 s[34:35], vcc
	s_cbranch_execz .LBB6_16769
; %bb.16768:                            ;   in Loop: Header=BB6_16537 Depth=3
	v_and_b32_e32 v2, 7, v8
	v_ffbh_u32_e32 v0, v2
	v_min_u32_e32 v6, 32, v0
	v_subrev_u32_e32 v0, 28, v6
	v_lshrrev_b32_e32 v3, 3, v1
	v_cmp_gt_u32_e32 vcc, 8, v1
	v_lshlrev_b64 v[0:1], v0, v[8:9]
	v_sub_u32_e32 v1, 29, v6
	v_and_b32_e32 v0, 7, v0
	v_cndmask_b32_e32 v1, v3, v1, vcc
	v_cndmask_b32_e32 v0, v2, v0, vcc
	v_lshlrev_b32_e32 v2, 24, v8
	v_bfrev_b32_e32 v3, 60
	v_lshlrev_b32_e32 v0, 20, v0
	v_and_b32_e32 v2, 0x80000000, v2
	v_lshl_add_u32 v1, v1, 23, v3
	v_or3_b32 v0, v2, v1, v0
.LBB6_16769:                            ;   in Loop: Header=BB6_16537 Depth=3
	s_or_b64 exec, exec, s[34:35]
.LBB6_16770:                            ;   in Loop: Header=BB6_16537 Depth=3
	s_or_b64 exec, exec, s[30:31]
.LBB6_16771:                            ;   in Loop: Header=BB6_16537 Depth=3
	s_or_b64 exec, exec, s[28:29]
	v_mul_f32_e32 v1, v16, v0
	v_and_b32_e32 v2, 0x7f800000, v1
	v_mov_b32_e32 v3, v51
	v_cmp_ne_u64_e32 vcc, s[76:77], v[2:3]
                                        ; implicit-def: $vgpr3
	s_and_saveexec_b64 s[28:29], vcc
	s_xor_b64 s[30:31], exec, s[28:29]
	s_cbranch_execz .LBB6_16785
; %bb.16772:                            ;   in Loop: Header=BB6_16537 Depth=3
	v_and_b32_e32 v2, 0x7fffffff, v1
	v_mov_b32_e32 v3, v51
	v_cmp_gt_u64_e32 vcc, s[78:79], v[2:3]
	v_and_b32_sdwa v0, v1, s96 dst_sel:DWORD dst_unused:UNUSED_PAD src0_sel:BYTE_3 src1_sel:DWORD
                                        ; implicit-def: $vgpr3
	s_and_saveexec_b64 s[28:29], vcc
	s_xor_b64 s[34:35], exec, s[28:29]
	s_cbranch_execz .LBB6_16782
; %bb.16773:                            ;   in Loop: Header=BB6_16537 Depth=3
	v_mov_b32_e32 v3, 0
	v_cmp_ne_u32_e32 vcc, 0, v1
	s_and_saveexec_b64 s[36:37], vcc
	s_cbranch_execz .LBB6_16781
; %bb.16774:                            ;   in Loop: Header=BB6_16537 Depth=3
	v_and_b32_e32 v3, 0x7fffff, v1
	v_bfe_u32 v1, v1, 23, 8
	v_cmp_gt_u32_e64 s[28:29], s97, v1
	v_sub_u32_e32 v2, 0x79, v1
	v_cmp_eq_u32_e32 vcc, 0, v1
	v_cndmask_b32_e64 v2, 0, v2, s[28:29]
	v_mov_b32_e32 v7, 0x78
	v_or_b32_e32 v6, 0x800000, v3
	v_cndmask_b32_e32 v2, v2, v7, vcc
	v_cndmask_b32_e32 v6, v6, v3, vcc
	v_add_u32_e32 v3, 20, v2
	v_lshlrev_b64 v[8:9], v3, -1
	v_add_u32_e32 v3, 19, v2
	v_lshlrev_b64 v[12:13], v3, 1
	v_mov_b32_e32 v7, v51
	v_bfi_b32 v9, v9, 0, 0
	v_bfi_b32 v8, v8, 0, v6
	v_cmp_eq_u64_e64 s[28:29], v[8:9], v[12:13]
	v_lshrrev_b64 v[8:9], v2, v[6:7]
	v_mov_b32_e32 v13, v9
	v_mov_b32_e32 v12, v8
	s_and_saveexec_b64 s[38:39], s[28:29]
; %bb.16775:                            ;   in Loop: Header=BB6_16537 Depth=3
	v_bfe_u32 v3, v8, 20, 1
	v_add_co_u32_e64 v3, s[28:29], v8, v3
	v_add_co_u32_e64 v12, s[28:29], -1, v3
; %bb.16776:                            ;   in Loop: Header=BB6_16537 Depth=3
	s_or_b64 exec, exec, s[38:39]
	v_add_u32_e32 v1, 0xffffff81, v1
	v_mov_b32_e32 v3, 0xffffff82
	v_cndmask_b32_e32 v1, v1, v3, vcc
	v_lshrrev_b32_e32 v3, 23, v8
	v_add3_u32 v3, v2, v1, v3
	v_add_u32_e32 v2, 6, v3
	v_and_b32_e32 v1, 0xfffff, v12
	v_add_u32_e32 v8, v1, v8
	v_mov_b32_e32 v9, v51
	v_cmp_ne_u32_e32 vcc, 0, v2
                                        ; implicit-def: $vgpr1
	s_and_saveexec_b64 s[28:29], vcc
	s_xor_b64 s[28:29], exec, s[28:29]
; %bb.16777:                            ;   in Loop: Header=BB6_16537 Depth=3
	v_cmp_lt_u64_e32 vcc, s[88:89], v[8:9]
	v_add_u32_e32 v1, 7, v3
	v_cndmask_b32_e32 v1, v2, v1, vcc
	v_cndmask_b32_e64 v2, 0, 1, vcc
	v_lshrrev_b64 v[8:9], v2, v[8:9]
; %bb.16778:                            ;   in Loop: Header=BB6_16537 Depth=3
	s_andn2_saveexec_b64 s[28:29], s[28:29]
; %bb.16779:                            ;   in Loop: Header=BB6_16537 Depth=3
	v_bfe_u32 v1, v8, 23, 1
; %bb.16780:                            ;   in Loop: Header=BB6_16537 Depth=3
	s_or_b64 exec, exec, s[28:29]
	v_lshrrev_b64 v[2:3], 20, v[8:9]
	v_cmp_gt_i32_e32 vcc, 16, v1
	v_cndmask_b32_e32 v3, 0, v3, vcc
	v_cndmask_b32_e32 v2, 7, v2, vcc
	v_cmp_eq_u32_e32 vcc, 0, v1
	v_min_i32_e32 v1, 15, v1
	v_cmp_eq_u64_e64 s[28:29], 0, v[2:3]
	v_lshlrev_b32_e32 v1, 3, v1
	v_and_b32_e32 v1, 0xf8, v1
	v_and_or_b32 v1, v2, 7, v1
	s_and_b64 s[28:29], vcc, s[28:29]
	v_cndmask_b32_e64 v1, v1, 0, s[28:29]
	v_or_b32_e32 v3, v1, v0
.LBB6_16781:                            ;   in Loop: Header=BB6_16537 Depth=3
	s_or_b64 exec, exec, s[36:37]
                                        ; implicit-def: $vgpr0
.LBB6_16782:                            ;   in Loop: Header=BB6_16537 Depth=3
	s_andn2_saveexec_b64 s[28:29], s[34:35]
; %bb.16783:                            ;   in Loop: Header=BB6_16537 Depth=3
	v_or_b32_e32 v3, 0x7e, v0
; %bb.16784:                            ;   in Loop: Header=BB6_16537 Depth=3
	s_or_b64 exec, exec, s[28:29]
                                        ; implicit-def: $vgpr1
.LBB6_16785:                            ;   in Loop: Header=BB6_16537 Depth=3
	s_andn2_saveexec_b64 s[28:29], s[30:31]
; %bb.16786:                            ;   in Loop: Header=BB6_16537 Depth=3
	v_or_b32_sdwa v3, v1, s86 dst_sel:DWORD dst_unused:UNUSED_PAD src0_sel:BYTE_3 src1_sel:DWORD
; %bb.16787:                            ;   in Loop: Header=BB6_16537 Depth=3
	s_or_b64 exec, exec, s[28:29]
	v_cmp_lt_u32_e32 vcc, s57, v10
	v_mov_b32_e32 v0, 0
	s_and_saveexec_b64 s[28:29], vcc
	s_cbranch_execz .LBB6_16793
; %bb.16788:                            ;   in Loop: Header=BB6_16537 Depth=3
	v_lshrrev_b32_e32 v8, 24, v10
	v_cmp_ne_u32_e32 vcc, s96, v8
	v_bfrev_b32_e32 v0, 1
	s_and_saveexec_b64 s[30:31], vcc
	s_cbranch_execz .LBB6_16792
; %bb.16789:                            ;   in Loop: Header=BB6_16537 Depth=3
	v_bfe_u32 v1, v10, 24, 7
	v_cmp_ne_u32_e32 vcc, s86, v1
	v_mov_b32_e32 v0, 0x7f800001
	s_and_saveexec_b64 s[34:35], vcc
	s_cbranch_execz .LBB6_16791
; %bb.16790:                            ;   in Loop: Header=BB6_16537 Depth=3
	v_and_b32_e32 v2, 7, v8
	v_ffbh_u32_e32 v0, v2
	v_min_u32_e32 v7, 32, v0
	v_subrev_u32_e32 v0, 28, v7
	v_lshrrev_b32_e32 v6, 3, v1
	v_cmp_gt_u32_e32 vcc, 8, v1
	v_lshlrev_b64 v[0:1], v0, v[8:9]
	v_sub_u32_e32 v1, 29, v7
	v_and_b32_e32 v0, 7, v0
	v_cndmask_b32_e32 v1, v6, v1, vcc
	v_cndmask_b32_e32 v0, v2, v0, vcc
	v_lshlrev_b32_e32 v2, 24, v8
	v_bfrev_b32_e32 v6, 60
	v_lshlrev_b32_e32 v0, 20, v0
	v_and_b32_e32 v2, 0x80000000, v2
	v_lshl_add_u32 v1, v1, 23, v6
	v_or3_b32 v0, v2, v1, v0
.LBB6_16791:                            ;   in Loop: Header=BB6_16537 Depth=3
	s_or_b64 exec, exec, s[34:35]
.LBB6_16792:                            ;   in Loop: Header=BB6_16537 Depth=3
	s_or_b64 exec, exec, s[30:31]
.LBB6_16793:                            ;   in Loop: Header=BB6_16537 Depth=3
	s_or_b64 exec, exec, s[28:29]
	v_mul_f32_e32 v1, v16, v0
	v_and_b32_e32 v6, 0x7f800000, v1
	v_mov_b32_e32 v7, v51
	v_cmp_ne_u64_e32 vcc, s[76:77], v[6:7]
                                        ; implicit-def: $vgpr37
	s_and_saveexec_b64 s[28:29], vcc
	s_xor_b64 s[30:31], exec, s[28:29]
	s_cbranch_execz .LBB6_16807
; %bb.16794:                            ;   in Loop: Header=BB6_16537 Depth=3
	v_and_b32_e32 v6, 0x7fffffff, v1
	v_mov_b32_e32 v7, v51
	v_cmp_gt_u64_e32 vcc, s[78:79], v[6:7]
	v_and_b32_sdwa v0, v1, s96 dst_sel:DWORD dst_unused:UNUSED_PAD src0_sel:BYTE_3 src1_sel:DWORD
                                        ; implicit-def: $vgpr37
	s_and_saveexec_b64 s[28:29], vcc
	s_xor_b64 s[34:35], exec, s[28:29]
	s_cbranch_execz .LBB6_16804
; %bb.16795:                            ;   in Loop: Header=BB6_16537 Depth=3
	v_mov_b32_e32 v37, 0
	v_cmp_ne_u32_e32 vcc, 0, v1
	s_and_saveexec_b64 s[36:37], vcc
	s_cbranch_execz .LBB6_16803
; %bb.16796:                            ;   in Loop: Header=BB6_16537 Depth=3
	v_and_b32_e32 v6, 0x7fffff, v1
	v_bfe_u32 v1, v1, 23, 8
	v_cmp_gt_u32_e64 s[28:29], s97, v1
	v_sub_u32_e32 v2, 0x79, v1
	v_cmp_eq_u32_e32 vcc, 0, v1
	v_cndmask_b32_e64 v2, 0, v2, s[28:29]
	v_mov_b32_e32 v8, 0x78
	v_cndmask_b32_e32 v2, v2, v8, vcc
	v_add_u32_e32 v8, 20, v2
	v_or_b32_e32 v7, 0x800000, v6
	v_lshlrev_b64 v[8:9], v8, -1
	v_add_u32_e32 v12, 19, v2
	v_cndmask_b32_e32 v6, v7, v6, vcc
	v_lshlrev_b64 v[12:13], v12, 1
	v_mov_b32_e32 v7, v51
	v_bfi_b32 v9, v9, 0, 0
	v_bfi_b32 v8, v8, 0, v6
	v_cmp_eq_u64_e64 s[28:29], v[8:9], v[12:13]
	v_lshrrev_b64 v[8:9], v2, v[6:7]
	v_mov_b32_e32 v13, v9
	v_mov_b32_e32 v12, v8
	s_and_saveexec_b64 s[38:39], s[28:29]
; %bb.16797:                            ;   in Loop: Header=BB6_16537 Depth=3
	v_bfe_u32 v6, v8, 20, 1
	v_add_co_u32_e64 v6, s[28:29], v8, v6
	v_add_co_u32_e64 v12, s[28:29], -1, v6
; %bb.16798:                            ;   in Loop: Header=BB6_16537 Depth=3
	s_or_b64 exec, exec, s[38:39]
	v_add_u32_e32 v1, 0xffffff81, v1
	v_mov_b32_e32 v6, 0xffffff82
	v_cndmask_b32_e32 v1, v1, v6, vcc
	v_lshrrev_b32_e32 v6, 23, v8
	v_add3_u32 v6, v2, v1, v6
	v_add_u32_e32 v2, 6, v6
	v_and_b32_e32 v1, 0xfffff, v12
	v_add_u32_e32 v8, v1, v8
	v_mov_b32_e32 v9, v51
	v_cmp_ne_u32_e32 vcc, 0, v2
                                        ; implicit-def: $vgpr1
	s_and_saveexec_b64 s[28:29], vcc
	s_xor_b64 s[28:29], exec, s[28:29]
; %bb.16799:                            ;   in Loop: Header=BB6_16537 Depth=3
	v_cmp_lt_u64_e32 vcc, s[88:89], v[8:9]
	v_add_u32_e32 v1, 7, v6
	v_cndmask_b32_e32 v1, v2, v1, vcc
	v_cndmask_b32_e64 v2, 0, 1, vcc
	v_lshrrev_b64 v[8:9], v2, v[8:9]
; %bb.16800:                            ;   in Loop: Header=BB6_16537 Depth=3
	s_andn2_saveexec_b64 s[28:29], s[28:29]
; %bb.16801:                            ;   in Loop: Header=BB6_16537 Depth=3
	v_bfe_u32 v1, v8, 23, 1
; %bb.16802:                            ;   in Loop: Header=BB6_16537 Depth=3
	s_or_b64 exec, exec, s[28:29]
	v_lshrrev_b64 v[6:7], 20, v[8:9]
	v_cmp_gt_i32_e32 vcc, 16, v1
	v_cndmask_b32_e32 v7, 0, v7, vcc
	v_cndmask_b32_e32 v6, 7, v6, vcc
	v_cmp_eq_u32_e32 vcc, 0, v1
	v_min_i32_e32 v1, 15, v1
	v_cmp_eq_u64_e64 s[28:29], 0, v[6:7]
	v_lshlrev_b32_e32 v1, 3, v1
	v_and_b32_e32 v1, 0xf8, v1
	v_and_or_b32 v1, v6, 7, v1
	s_and_b64 s[28:29], vcc, s[28:29]
	v_cndmask_b32_e64 v1, v1, 0, s[28:29]
	v_or_b32_e32 v37, v1, v0
.LBB6_16803:                            ;   in Loop: Header=BB6_16537 Depth=3
	s_or_b64 exec, exec, s[36:37]
                                        ; implicit-def: $vgpr0
.LBB6_16804:                            ;   in Loop: Header=BB6_16537 Depth=3
	s_andn2_saveexec_b64 s[28:29], s[34:35]
; %bb.16805:                            ;   in Loop: Header=BB6_16537 Depth=3
	v_or_b32_e32 v37, 0x7e, v0
; %bb.16806:                            ;   in Loop: Header=BB6_16537 Depth=3
	s_or_b64 exec, exec, s[28:29]
                                        ; implicit-def: $vgpr1
.LBB6_16807:                            ;   in Loop: Header=BB6_16537 Depth=3
	s_andn2_saveexec_b64 s[28:29], s[30:31]
; %bb.16808:                            ;   in Loop: Header=BB6_16537 Depth=3
	v_or_b32_sdwa v37, v1, s86 dst_sel:DWORD dst_unused:UNUSED_PAD src0_sel:BYTE_3 src1_sel:DWORD
; %bb.16809:                            ;   in Loop: Header=BB6_16537 Depth=3
	s_or_b64 exec, exec, s[28:29]
	v_mov_b32_e32 v8, v11
	v_mov_b32_e32 v9, v51
	v_cmp_ne_u16_sdwa vcc, v11, v51 src0_sel:BYTE_0 src1_sel:DWORD
	v_mov_b32_e32 v0, 0
	s_and_saveexec_b64 s[28:29], vcc
	s_cbranch_execz .LBB6_16815
; %bb.16810:                            ;   in Loop: Header=BB6_16537 Depth=3
	v_cmp_ne_u16_sdwa vcc, v11, s96 src0_sel:BYTE_0 src1_sel:DWORD
	v_bfrev_b32_e32 v0, 1
	s_and_saveexec_b64 s[30:31], vcc
	s_cbranch_execz .LBB6_16814
; %bb.16811:                            ;   in Loop: Header=BB6_16537 Depth=3
	v_and_b32_e32 v1, 0x7f, v11
	v_cmp_ne_u32_e32 vcc, s86, v1
	v_mov_b32_e32 v0, 0x7f800001
	s_and_saveexec_b64 s[34:35], vcc
	s_cbranch_execz .LBB6_16813
; %bb.16812:                            ;   in Loop: Header=BB6_16537 Depth=3
	v_and_b32_e32 v0, 7, v11
	v_ffbh_u32_e32 v0, v0
	v_min_u32_e32 v0, 32, v0
	v_lshrrev_b32_e32 v2, 3, v1
	v_cmp_gt_u32_e32 vcc, 8, v1
	v_subrev_u32_e32 v1, 28, v0
	v_sub_u32_e32 v0, 29, v0
	v_cndmask_b32_e32 v2, v2, v0, vcc
	v_cndmask_b32_e32 v0, 0, v1, vcc
	v_lshlrev_b64 v[0:1], v0, v[8:9]
	v_lshlrev_b32_e32 v1, 24, v8
	v_lshlrev_b32_e32 v0, 20, v0
	v_bfrev_b32_e32 v6, 60
	v_and_b32_e32 v0, 0x700000, v0
	v_and_b32_e32 v1, 0x80000000, v1
	v_lshl_add_u32 v2, v2, 23, v6
	v_or3_b32 v0, v1, v2, v0
.LBB6_16813:                            ;   in Loop: Header=BB6_16537 Depth=3
	s_or_b64 exec, exec, s[34:35]
.LBB6_16814:                            ;   in Loop: Header=BB6_16537 Depth=3
	s_or_b64 exec, exec, s[30:31]
.LBB6_16815:                            ;   in Loop: Header=BB6_16537 Depth=3
	s_or_b64 exec, exec, s[28:29]
	v_mul_f32_e32 v2, v16, v0
	v_and_b32_e32 v0, 0x7f800000, v2
	v_mov_b32_e32 v1, v51
	v_cmp_ne_u64_e32 vcc, s[76:77], v[0:1]
                                        ; implicit-def: $vgpr0
	s_and_saveexec_b64 s[28:29], vcc
	s_xor_b64 s[30:31], exec, s[28:29]
	s_cbranch_execz .LBB6_16829
; %bb.16816:                            ;   in Loop: Header=BB6_16537 Depth=3
	v_and_b32_e32 v0, 0x7fffffff, v2
	v_mov_b32_e32 v1, v51
	v_cmp_gt_u64_e32 vcc, s[78:79], v[0:1]
	v_and_b32_sdwa v1, v2, s96 dst_sel:DWORD dst_unused:UNUSED_PAD src0_sel:BYTE_3 src1_sel:DWORD
                                        ; implicit-def: $vgpr0
	s_and_saveexec_b64 s[28:29], vcc
	s_xor_b64 s[34:35], exec, s[28:29]
	s_cbranch_execz .LBB6_16826
; %bb.16817:                            ;   in Loop: Header=BB6_16537 Depth=3
	v_mov_b32_e32 v0, 0
	v_cmp_ne_u32_e32 vcc, 0, v2
	s_and_saveexec_b64 s[36:37], vcc
	s_cbranch_execz .LBB6_16825
; %bb.16818:                            ;   in Loop: Header=BB6_16537 Depth=3
	v_bfe_u32 v0, v2, 23, 8
	v_and_b32_e32 v6, 0x7fffff, v2
	v_cmp_gt_u32_e64 s[28:29], s97, v0
	v_sub_u32_e32 v2, 0x79, v0
	v_cmp_eq_u32_e32 vcc, 0, v0
	v_cndmask_b32_e64 v2, 0, v2, s[28:29]
	v_mov_b32_e32 v9, 0x78
	v_cndmask_b32_e32 v2, v2, v9, vcc
	v_add_u32_e32 v9, 20, v2
	v_or_b32_e32 v7, 0x800000, v6
	v_lshlrev_b64 v[12:13], v9, -1
	v_add_u32_e32 v9, 19, v2
	v_cndmask_b32_e32 v6, v7, v6, vcc
	v_lshlrev_b64 v[14:15], v9, 1
	v_mov_b32_e32 v7, v51
	v_bfi_b32 v13, v13, 0, 0
	v_bfi_b32 v12, v12, 0, v6
	v_cmp_eq_u64_e64 s[28:29], v[12:13], v[14:15]
	v_lshrrev_b64 v[12:13], v2, v[6:7]
	v_mov_b32_e32 v14, v13
	v_mov_b32_e32 v13, v12
	s_and_saveexec_b64 s[38:39], s[28:29]
; %bb.16819:                            ;   in Loop: Header=BB6_16537 Depth=3
	v_bfe_u32 v6, v12, 20, 1
	v_add_co_u32_e64 v6, s[28:29], v12, v6
	v_add_co_u32_e64 v13, s[28:29], -1, v6
; %bb.16820:                            ;   in Loop: Header=BB6_16537 Depth=3
	s_or_b64 exec, exec, s[38:39]
	v_add_u32_e32 v0, 0xffffff81, v0
	v_mov_b32_e32 v6, 0xffffff82
	v_cndmask_b32_e32 v0, v0, v6, vcc
	v_lshrrev_b32_e32 v6, 23, v12
	v_add3_u32 v6, v2, v0, v6
	v_add_u32_e32 v2, 6, v6
	v_and_b32_e32 v0, 0xfffff, v13
	v_add_u32_e32 v12, v0, v12
	v_mov_b32_e32 v13, v51
	v_cmp_ne_u32_e32 vcc, 0, v2
                                        ; implicit-def: $vgpr0
	s_and_saveexec_b64 s[28:29], vcc
	s_xor_b64 s[28:29], exec, s[28:29]
; %bb.16821:                            ;   in Loop: Header=BB6_16537 Depth=3
	v_cmp_lt_u64_e32 vcc, s[88:89], v[12:13]
	v_add_u32_e32 v0, 7, v6
	v_cndmask_b32_e32 v0, v2, v0, vcc
	v_cndmask_b32_e64 v2, 0, 1, vcc
	v_lshrrev_b64 v[12:13], v2, v[12:13]
; %bb.16822:                            ;   in Loop: Header=BB6_16537 Depth=3
	s_andn2_saveexec_b64 s[28:29], s[28:29]
; %bb.16823:                            ;   in Loop: Header=BB6_16537 Depth=3
	v_bfe_u32 v0, v12, 23, 1
; %bb.16824:                            ;   in Loop: Header=BB6_16537 Depth=3
	s_or_b64 exec, exec, s[28:29]
	v_lshrrev_b64 v[6:7], 20, v[12:13]
	v_cmp_gt_i32_e32 vcc, 16, v0
	v_cndmask_b32_e32 v7, 0, v7, vcc
	v_cndmask_b32_e32 v6, 7, v6, vcc
	v_cmp_eq_u32_e32 vcc, 0, v0
	v_min_i32_e32 v0, 15, v0
	v_cmp_eq_u64_e64 s[28:29], 0, v[6:7]
	v_lshlrev_b32_e32 v0, 3, v0
	v_and_b32_e32 v0, 0xf8, v0
	v_and_or_b32 v0, v6, 7, v0
	s_and_b64 s[28:29], vcc, s[28:29]
	v_cndmask_b32_e64 v0, v0, 0, s[28:29]
	v_or_b32_e32 v0, v0, v1
.LBB6_16825:                            ;   in Loop: Header=BB6_16537 Depth=3
	s_or_b64 exec, exec, s[36:37]
                                        ; implicit-def: $vgpr1
.LBB6_16826:                            ;   in Loop: Header=BB6_16537 Depth=3
	s_andn2_saveexec_b64 s[28:29], s[34:35]
; %bb.16827:                            ;   in Loop: Header=BB6_16537 Depth=3
	v_or_b32_e32 v0, 0x7e, v1
; %bb.16828:                            ;   in Loop: Header=BB6_16537 Depth=3
	s_or_b64 exec, exec, s[28:29]
                                        ; implicit-def: $vgpr2
.LBB6_16829:                            ;   in Loop: Header=BB6_16537 Depth=3
	s_andn2_saveexec_b64 s[28:29], s[30:31]
; %bb.16830:                            ;   in Loop: Header=BB6_16537 Depth=3
	v_or_b32_sdwa v0, v2, s86 dst_sel:DWORD dst_unused:UNUSED_PAD src0_sel:BYTE_3 src1_sel:DWORD
; %bb.16831:                            ;   in Loop: Header=BB6_16537 Depth=3
	s_or_b64 exec, exec, s[28:29]
	v_lshrrev_b16_e32 v9, 8, v8
	v_cmp_ne_u16_e32 vcc, 0, v9
	v_mov_b32_e32 v1, 0
	s_and_saveexec_b64 s[28:29], vcc
	s_cbranch_execz .LBB6_16837
; %bb.16832:                            ;   in Loop: Header=BB6_16537 Depth=3
	v_cmp_ne_u16_e32 vcc, s96, v9
	v_bfrev_b32_e32 v1, 1
	s_and_saveexec_b64 s[30:31], vcc
	s_cbranch_execz .LBB6_16836
; %bb.16833:                            ;   in Loop: Header=BB6_16537 Depth=3
	v_and_b32_e32 v2, 0x7f, v9
	v_cmp_ne_u32_e32 vcc, s86, v2
	v_mov_b32_e32 v1, 0x7f800001
	s_and_saveexec_b64 s[34:35], vcc
	s_cbranch_execz .LBB6_16835
; %bb.16834:                            ;   in Loop: Header=BB6_16537 Depth=3
	v_and_b32_e32 v6, 7, v9
	v_ffbh_u32_e32 v1, v6
	v_min_u32_e32 v12, 32, v1
	v_subrev_u32_e32 v1, 28, v12
	v_lshrrev_b32_e32 v7, 3, v2
	v_cmp_gt_u32_e32 vcc, 8, v2
	v_lshlrev_b64 v[1:2], v1, v[9:10]
	v_sub_u32_e32 v2, 29, v12
	v_and_b32_e32 v1, 7, v1
	v_cndmask_b32_e32 v2, v7, v2, vcc
	v_cndmask_b32_e32 v1, v6, v1, vcc
	v_lshlrev_b32_e32 v6, 16, v8
	v_bfrev_b32_e32 v7, 60
	v_lshlrev_b32_e32 v1, 20, v1
	v_and_b32_e32 v6, 0x80000000, v6
	v_lshl_add_u32 v2, v2, 23, v7
	v_or3_b32 v1, v6, v2, v1
.LBB6_16835:                            ;   in Loop: Header=BB6_16537 Depth=3
	s_or_b64 exec, exec, s[34:35]
.LBB6_16836:                            ;   in Loop: Header=BB6_16537 Depth=3
	s_or_b64 exec, exec, s[30:31]
.LBB6_16837:                            ;   in Loop: Header=BB6_16537 Depth=3
	s_or_b64 exec, exec, s[28:29]
	v_mul_f32_e32 v2, v16, v1
	v_and_b32_e32 v6, 0x7f800000, v2
	v_mov_b32_e32 v7, v51
	v_cmp_ne_u64_e32 vcc, s[76:77], v[6:7]
                                        ; implicit-def: $vgpr1
                                        ; kill: killed $vgpr1
	s_and_saveexec_b64 s[28:29], vcc
	s_xor_b64 s[30:31], exec, s[28:29]
	s_cbranch_execz .LBB6_16851
; %bb.16838:                            ;   in Loop: Header=BB6_16537 Depth=3
	v_and_b32_e32 v6, 0x7fffffff, v2
	v_mov_b32_e32 v7, v51
	v_cmp_gt_u64_e32 vcc, s[78:79], v[6:7]
	v_and_b32_sdwa v1, v2, s96 dst_sel:DWORD dst_unused:UNUSED_PAD src0_sel:BYTE_3 src1_sel:DWORD
                                        ; implicit-def: $vgpr6
                                        ; kill: killed $vgpr6
	s_and_saveexec_b64 s[28:29], vcc
	s_xor_b64 s[34:35], exec, s[28:29]
	s_cbranch_execz .LBB6_16848
; %bb.16839:                            ;   in Loop: Header=BB6_16537 Depth=3
	v_mov_b32_e32 v6, 0
	v_cmp_ne_u32_e32 vcc, 0, v2
	buffer_store_dword v6, off, s[0:3], s33 offset:264 ; 4-byte Folded Spill
	s_and_saveexec_b64 s[36:37], vcc
	s_cbranch_execz .LBB6_16847
; %bb.16840:                            ;   in Loop: Header=BB6_16537 Depth=3
	v_and_b32_e32 v7, 0x7fffff, v2
	v_bfe_u32 v2, v2, 23, 8
	v_cmp_gt_u32_e64 s[28:29], s97, v2
	v_sub_u32_e32 v6, 0x79, v2
	v_cmp_eq_u32_e32 vcc, 0, v2
	v_cndmask_b32_e64 v6, 0, v6, s[28:29]
	v_mov_b32_e32 v9, 0x78
	v_cndmask_b32_e32 v6, v6, v9, vcc
	v_or_b32_e32 v8, 0x800000, v7
	v_add_u32_e32 v9, 20, v6
	v_cndmask_b32_e32 v7, v8, v7, vcc
	v_mov_b32_e32 v8, v51
	v_lshlrev_b64 v[12:13], v9, -1
	v_add_u32_e32 v9, 19, v6
	v_lshlrev_b64 v[14:15], v9, 1
	v_lshrrev_b64 v[8:9], v6, v[7:8]
	v_bfi_b32 v13, v13, 0, 0
	v_bfi_b32 v12, v12, 0, v7
	v_cmp_eq_u64_e64 s[28:29], v[12:13], v[14:15]
	v_mov_b32_e32 v13, v9
	v_mov_b32_e32 v12, v8
	s_and_saveexec_b64 s[38:39], s[28:29]
; %bb.16841:                            ;   in Loop: Header=BB6_16537 Depth=3
	v_bfe_u32 v7, v8, 20, 1
	v_add_co_u32_e64 v7, s[28:29], v8, v7
	v_add_co_u32_e64 v12, s[28:29], -1, v7
; %bb.16842:                            ;   in Loop: Header=BB6_16537 Depth=3
	s_or_b64 exec, exec, s[38:39]
	v_add_u32_e32 v2, 0xffffff81, v2
	v_mov_b32_e32 v7, 0xffffff82
	v_cndmask_b32_e32 v2, v2, v7, vcc
	v_lshrrev_b32_e32 v7, 23, v8
	v_add3_u32 v7, v6, v2, v7
	v_add_u32_e32 v6, 6, v7
	v_and_b32_e32 v2, 0xfffff, v12
	v_add_u32_e32 v8, v2, v8
	v_mov_b32_e32 v9, v51
	v_cmp_ne_u32_e32 vcc, 0, v6
                                        ; implicit-def: $vgpr2
	s_and_saveexec_b64 s[28:29], vcc
	s_xor_b64 s[28:29], exec, s[28:29]
; %bb.16843:                            ;   in Loop: Header=BB6_16537 Depth=3
	v_cmp_lt_u64_e32 vcc, s[88:89], v[8:9]
	v_add_u32_e32 v2, 7, v7
	v_cndmask_b32_e32 v2, v6, v2, vcc
	v_cndmask_b32_e64 v6, 0, 1, vcc
	v_lshrrev_b64 v[8:9], v6, v[8:9]
; %bb.16844:                            ;   in Loop: Header=BB6_16537 Depth=3
	s_andn2_saveexec_b64 s[28:29], s[28:29]
; %bb.16845:                            ;   in Loop: Header=BB6_16537 Depth=3
	v_bfe_u32 v2, v8, 23, 1
; %bb.16846:                            ;   in Loop: Header=BB6_16537 Depth=3
	s_or_b64 exec, exec, s[28:29]
	v_lshrrev_b64 v[6:7], 20, v[8:9]
	v_cmp_gt_i32_e32 vcc, 16, v2
	v_cndmask_b32_e32 v7, 0, v7, vcc
	v_cndmask_b32_e32 v6, 7, v6, vcc
	v_cmp_eq_u32_e32 vcc, 0, v2
	v_min_i32_e32 v2, 15, v2
	v_cmp_eq_u64_e64 s[28:29], 0, v[6:7]
	v_lshlrev_b32_e32 v2, 3, v2
	v_and_b32_e32 v2, 0xf8, v2
	v_and_or_b32 v2, v6, 7, v2
	s_and_b64 s[28:29], vcc, s[28:29]
	v_cndmask_b32_e64 v2, v2, 0, s[28:29]
	v_or_b32_e32 v1, v2, v1
	buffer_store_dword v1, off, s[0:3], s33 offset:264 ; 4-byte Folded Spill
.LBB6_16847:                            ;   in Loop: Header=BB6_16537 Depth=3
	s_or_b64 exec, exec, s[36:37]
                                        ; implicit-def: $vgpr1
.LBB6_16848:                            ;   in Loop: Header=BB6_16537 Depth=3
	s_andn2_saveexec_b64 s[28:29], s[34:35]
	s_cbranch_execz .LBB6_16850
; %bb.16849:                            ;   in Loop: Header=BB6_16537 Depth=3
	v_or_b32_e32 v1, 0x7e, v1
	buffer_store_dword v1, off, s[0:3], s33 offset:264 ; 4-byte Folded Spill
.LBB6_16850:                            ;   in Loop: Header=BB6_16537 Depth=3
	s_or_b64 exec, exec, s[28:29]
                                        ; implicit-def: $vgpr2
.LBB6_16851:                            ;   in Loop: Header=BB6_16537 Depth=3
	s_andn2_saveexec_b64 s[28:29], s[30:31]
	s_cbranch_execz .LBB6_16853
; %bb.16852:                            ;   in Loop: Header=BB6_16537 Depth=3
	v_or_b32_sdwa v1, v2, s86 dst_sel:DWORD dst_unused:UNUSED_PAD src0_sel:BYTE_3 src1_sel:DWORD
	buffer_store_dword v1, off, s[0:3], s33 offset:264 ; 4-byte Folded Spill
.LBB6_16853:                            ;   in Loop: Header=BB6_16537 Depth=3
	s_or_b64 exec, exec, s[28:29]
	v_lshrrev_b32_e32 v8, 16, v11
	v_cmp_ne_u16_sdwa vcc, v8, v51 src0_sel:BYTE_0 src1_sel:DWORD
	v_mov_b32_e32 v1, 0
	s_and_saveexec_b64 s[28:29], vcc
	s_cbranch_execz .LBB6_16859
; %bb.16854:                            ;   in Loop: Header=BB6_16537 Depth=3
	v_cmp_ne_u16_sdwa vcc, v8, s96 src0_sel:BYTE_0 src1_sel:DWORD
	v_bfrev_b32_e32 v1, 1
	s_and_saveexec_b64 s[30:31], vcc
	s_cbranch_execz .LBB6_16858
; %bb.16855:                            ;   in Loop: Header=BB6_16537 Depth=3
	v_bfe_u32 v2, v11, 16, 7
	v_cmp_ne_u32_e32 vcc, s86, v2
	v_mov_b32_e32 v1, 0x7f800001
	s_and_saveexec_b64 s[34:35], vcc
	s_cbranch_execz .LBB6_16857
; %bb.16856:                            ;   in Loop: Header=BB6_16537 Depth=3
	v_and_b32_e32 v6, 7, v8
	v_ffbh_u32_e32 v1, v6
	v_min_u32_e32 v9, 32, v1
	v_subrev_u32_e32 v1, 28, v9
	v_lshrrev_b32_e32 v7, 3, v2
	v_cmp_gt_u32_e32 vcc, 8, v2
	v_lshlrev_b64 v[1:2], v1, v[8:9]
	v_sub_u32_e32 v2, 29, v9
	v_and_b32_e32 v1, 7, v1
	v_cndmask_b32_e32 v2, v7, v2, vcc
	v_cndmask_b32_e32 v1, v6, v1, vcc
	v_lshlrev_b32_e32 v6, 24, v8
	v_bfrev_b32_e32 v7, 60
	v_lshlrev_b32_e32 v1, 20, v1
	v_and_b32_e32 v6, 0x80000000, v6
	v_lshl_add_u32 v2, v2, 23, v7
	v_or3_b32 v1, v6, v2, v1
.LBB6_16857:                            ;   in Loop: Header=BB6_16537 Depth=3
	s_or_b64 exec, exec, s[34:35]
.LBB6_16858:                            ;   in Loop: Header=BB6_16537 Depth=3
	s_or_b64 exec, exec, s[30:31]
.LBB6_16859:                            ;   in Loop: Header=BB6_16537 Depth=3
	s_or_b64 exec, exec, s[28:29]
	v_mul_f32_e32 v2, v16, v1
	v_and_b32_e32 v6, 0x7f800000, v2
	v_mov_b32_e32 v7, v51
	v_cmp_ne_u64_e32 vcc, s[76:77], v[6:7]
                                        ; implicit-def: $vgpr45
	s_and_saveexec_b64 s[28:29], vcc
	s_xor_b64 s[30:31], exec, s[28:29]
	s_cbranch_execz .LBB6_16873
; %bb.16860:                            ;   in Loop: Header=BB6_16537 Depth=3
	v_and_b32_e32 v6, 0x7fffffff, v2
	v_mov_b32_e32 v7, v51
	v_cmp_gt_u64_e32 vcc, s[78:79], v[6:7]
	v_and_b32_sdwa v1, v2, s96 dst_sel:DWORD dst_unused:UNUSED_PAD src0_sel:BYTE_3 src1_sel:DWORD
                                        ; implicit-def: $vgpr45
	s_and_saveexec_b64 s[28:29], vcc
	s_xor_b64 s[34:35], exec, s[28:29]
	s_cbranch_execz .LBB6_16870
; %bb.16861:                            ;   in Loop: Header=BB6_16537 Depth=3
	v_mov_b32_e32 v45, 0
	v_cmp_ne_u32_e32 vcc, 0, v2
	s_and_saveexec_b64 s[36:37], vcc
	s_cbranch_execz .LBB6_16869
; %bb.16862:                            ;   in Loop: Header=BB6_16537 Depth=3
	v_and_b32_e32 v7, 0x7fffff, v2
	v_bfe_u32 v2, v2, 23, 8
	v_cmp_gt_u32_e64 s[28:29], s97, v2
	v_sub_u32_e32 v6, 0x79, v2
	v_cmp_eq_u32_e32 vcc, 0, v2
	v_cndmask_b32_e64 v6, 0, v6, s[28:29]
	v_mov_b32_e32 v9, 0x78
	v_cndmask_b32_e32 v6, v6, v9, vcc
	v_or_b32_e32 v8, 0x800000, v7
	v_add_u32_e32 v9, 20, v6
	v_cndmask_b32_e32 v7, v8, v7, vcc
	v_mov_b32_e32 v8, v51
	v_lshlrev_b64 v[12:13], v9, -1
	v_add_u32_e32 v9, 19, v6
	v_lshlrev_b64 v[14:15], v9, 1
	v_lshrrev_b64 v[8:9], v6, v[7:8]
	v_bfi_b32 v13, v13, 0, 0
	v_bfi_b32 v12, v12, 0, v7
	v_cmp_eq_u64_e64 s[28:29], v[12:13], v[14:15]
	v_mov_b32_e32 v13, v9
	v_mov_b32_e32 v12, v8
	s_and_saveexec_b64 s[38:39], s[28:29]
; %bb.16863:                            ;   in Loop: Header=BB6_16537 Depth=3
	v_bfe_u32 v7, v8, 20, 1
	v_add_co_u32_e64 v7, s[28:29], v8, v7
	v_add_co_u32_e64 v12, s[28:29], -1, v7
; %bb.16864:                            ;   in Loop: Header=BB6_16537 Depth=3
	s_or_b64 exec, exec, s[38:39]
	v_add_u32_e32 v2, 0xffffff81, v2
	v_mov_b32_e32 v7, 0xffffff82
	v_cndmask_b32_e32 v2, v2, v7, vcc
	v_lshrrev_b32_e32 v7, 23, v8
	v_add3_u32 v7, v6, v2, v7
	v_add_u32_e32 v6, 6, v7
	v_and_b32_e32 v2, 0xfffff, v12
	v_add_u32_e32 v8, v2, v8
	v_mov_b32_e32 v9, v51
	v_cmp_ne_u32_e32 vcc, 0, v6
                                        ; implicit-def: $vgpr2
	s_and_saveexec_b64 s[28:29], vcc
	s_xor_b64 s[28:29], exec, s[28:29]
; %bb.16865:                            ;   in Loop: Header=BB6_16537 Depth=3
	v_cmp_lt_u64_e32 vcc, s[88:89], v[8:9]
	v_add_u32_e32 v2, 7, v7
	v_cndmask_b32_e32 v2, v6, v2, vcc
	v_cndmask_b32_e64 v6, 0, 1, vcc
	v_lshrrev_b64 v[8:9], v6, v[8:9]
; %bb.16866:                            ;   in Loop: Header=BB6_16537 Depth=3
	s_andn2_saveexec_b64 s[28:29], s[28:29]
; %bb.16867:                            ;   in Loop: Header=BB6_16537 Depth=3
	v_bfe_u32 v2, v8, 23, 1
; %bb.16868:                            ;   in Loop: Header=BB6_16537 Depth=3
	s_or_b64 exec, exec, s[28:29]
	v_lshrrev_b64 v[6:7], 20, v[8:9]
	v_cmp_gt_i32_e32 vcc, 16, v2
	v_cndmask_b32_e32 v7, 0, v7, vcc
	v_cndmask_b32_e32 v6, 7, v6, vcc
	v_cmp_eq_u32_e32 vcc, 0, v2
	v_min_i32_e32 v2, 15, v2
	v_cmp_eq_u64_e64 s[28:29], 0, v[6:7]
	v_lshlrev_b32_e32 v2, 3, v2
	v_and_b32_e32 v2, 0xf8, v2
	v_and_or_b32 v2, v6, 7, v2
	s_and_b64 s[28:29], vcc, s[28:29]
	v_cndmask_b32_e64 v2, v2, 0, s[28:29]
	v_or_b32_e32 v45, v2, v1
.LBB6_16869:                            ;   in Loop: Header=BB6_16537 Depth=3
	s_or_b64 exec, exec, s[36:37]
                                        ; implicit-def: $vgpr1
.LBB6_16870:                            ;   in Loop: Header=BB6_16537 Depth=3
	s_andn2_saveexec_b64 s[28:29], s[34:35]
; %bb.16871:                            ;   in Loop: Header=BB6_16537 Depth=3
	v_or_b32_e32 v45, 0x7e, v1
; %bb.16872:                            ;   in Loop: Header=BB6_16537 Depth=3
	s_or_b64 exec, exec, s[28:29]
                                        ; implicit-def: $vgpr2
.LBB6_16873:                            ;   in Loop: Header=BB6_16537 Depth=3
	s_andn2_saveexec_b64 s[28:29], s[30:31]
; %bb.16874:                            ;   in Loop: Header=BB6_16537 Depth=3
	v_or_b32_sdwa v45, v2, s86 dst_sel:DWORD dst_unused:UNUSED_PAD src0_sel:BYTE_3 src1_sel:DWORD
; %bb.16875:                            ;   in Loop: Header=BB6_16537 Depth=3
	s_or_b64 exec, exec, s[28:29]
	v_cmp_lt_u64_e32 vcc, s[56:57], v[10:11]
	v_mov_b32_e32 v1, 0
	s_and_saveexec_b64 s[28:29], vcc
	s_cbranch_execz .LBB6_16881
; %bb.16876:                            ;   in Loop: Header=BB6_16537 Depth=3
	v_lshrrev_b32_e32 v8, 24, v11
	v_cmp_ne_u32_e32 vcc, s96, v8
	v_bfrev_b32_e32 v1, 1
	s_and_saveexec_b64 s[30:31], vcc
	s_cbranch_execz .LBB6_16880
; %bb.16877:                            ;   in Loop: Header=BB6_16537 Depth=3
	v_bfe_u32 v2, v11, 24, 7
	v_cmp_ne_u32_e32 vcc, s86, v2
	v_mov_b32_e32 v1, 0x7f800001
	s_and_saveexec_b64 s[34:35], vcc
	s_cbranch_execz .LBB6_16879
; %bb.16878:                            ;   in Loop: Header=BB6_16537 Depth=3
	v_and_b32_e32 v6, 7, v8
	v_ffbh_u32_e32 v1, v6
	v_min_u32_e32 v9, 32, v1
	v_subrev_u32_e32 v1, 28, v9
	v_lshrrev_b32_e32 v7, 3, v2
	v_cmp_gt_u32_e32 vcc, 8, v2
	v_lshlrev_b64 v[1:2], v1, v[8:9]
	v_sub_u32_e32 v2, 29, v9
	v_and_b32_e32 v1, 7, v1
	v_cndmask_b32_e32 v2, v7, v2, vcc
	v_cndmask_b32_e32 v1, v6, v1, vcc
	v_lshlrev_b32_e32 v6, 24, v8
	v_bfrev_b32_e32 v7, 60
	v_lshlrev_b32_e32 v1, 20, v1
	v_and_b32_e32 v6, 0x80000000, v6
	v_lshl_add_u32 v2, v2, 23, v7
	v_or3_b32 v1, v6, v2, v1
.LBB6_16879:                            ;   in Loop: Header=BB6_16537 Depth=3
	s_or_b64 exec, exec, s[34:35]
.LBB6_16880:                            ;   in Loop: Header=BB6_16537 Depth=3
	s_or_b64 exec, exec, s[30:31]
.LBB6_16881:                            ;   in Loop: Header=BB6_16537 Depth=3
	s_or_b64 exec, exec, s[28:29]
	v_mul_f32_e32 v2, v16, v1
	v_and_b32_e32 v6, 0x7f800000, v2
	v_mov_b32_e32 v7, v51
	v_cmp_ne_u64_e32 vcc, s[76:77], v[6:7]
                                        ; implicit-def: $vgpr50
	s_and_saveexec_b64 s[28:29], vcc
	s_xor_b64 s[30:31], exec, s[28:29]
	s_cbranch_execz .LBB6_16895
; %bb.16882:                            ;   in Loop: Header=BB6_16537 Depth=3
	v_and_b32_e32 v6, 0x7fffffff, v2
	v_mov_b32_e32 v7, v51
	v_cmp_gt_u64_e32 vcc, s[78:79], v[6:7]
	v_and_b32_sdwa v1, v2, s96 dst_sel:DWORD dst_unused:UNUSED_PAD src0_sel:BYTE_3 src1_sel:DWORD
                                        ; implicit-def: $vgpr50
	s_and_saveexec_b64 s[28:29], vcc
	s_xor_b64 s[34:35], exec, s[28:29]
	s_cbranch_execz .LBB6_16892
; %bb.16883:                            ;   in Loop: Header=BB6_16537 Depth=3
	v_mov_b32_e32 v50, 0
	v_cmp_ne_u32_e32 vcc, 0, v2
	s_and_saveexec_b64 s[36:37], vcc
	s_cbranch_execz .LBB6_16891
; %bb.16884:                            ;   in Loop: Header=BB6_16537 Depth=3
	v_and_b32_e32 v7, 0x7fffff, v2
	v_bfe_u32 v2, v2, 23, 8
	v_cmp_gt_u32_e64 s[28:29], s97, v2
	v_sub_u32_e32 v6, 0x79, v2
	v_cmp_eq_u32_e32 vcc, 0, v2
	v_cndmask_b32_e64 v6, 0, v6, s[28:29]
	v_mov_b32_e32 v9, 0x78
	v_cndmask_b32_e32 v6, v6, v9, vcc
	v_add_u32_e32 v9, 20, v6
	v_or_b32_e32 v8, 0x800000, v7
	v_lshlrev_b64 v[9:10], v9, -1
	v_add_u32_e32 v11, 19, v6
	v_cndmask_b32_e32 v7, v8, v7, vcc
	v_lshlrev_b64 v[11:12], v11, 1
	v_mov_b32_e32 v8, v51
	v_bfi_b32 v10, v10, 0, 0
	v_bfi_b32 v9, v9, 0, v7
	v_cmp_eq_u64_e64 s[28:29], v[9:10], v[11:12]
	v_lshrrev_b64 v[8:9], v6, v[7:8]
	v_mov_b32_e32 v10, v9
	v_mov_b32_e32 v9, v8
	s_and_saveexec_b64 s[38:39], s[28:29]
; %bb.16885:                            ;   in Loop: Header=BB6_16537 Depth=3
	v_bfe_u32 v7, v8, 20, 1
	v_add_co_u32_e64 v7, s[28:29], v8, v7
	v_add_co_u32_e64 v9, s[28:29], -1, v7
; %bb.16886:                            ;   in Loop: Header=BB6_16537 Depth=3
	s_or_b64 exec, exec, s[38:39]
	v_add_u32_e32 v2, 0xffffff81, v2
	v_mov_b32_e32 v7, 0xffffff82
	v_cndmask_b32_e32 v2, v2, v7, vcc
	v_lshrrev_b32_e32 v7, 23, v8
	v_add3_u32 v7, v6, v2, v7
	v_add_u32_e32 v6, 6, v7
	v_and_b32_e32 v2, 0xfffff, v9
	v_add_u32_e32 v8, v2, v8
	v_mov_b32_e32 v9, v51
	v_cmp_ne_u32_e32 vcc, 0, v6
                                        ; implicit-def: $vgpr2
	s_and_saveexec_b64 s[28:29], vcc
	s_xor_b64 s[28:29], exec, s[28:29]
; %bb.16887:                            ;   in Loop: Header=BB6_16537 Depth=3
	v_cmp_lt_u64_e32 vcc, s[88:89], v[8:9]
	v_add_u32_e32 v2, 7, v7
	v_cndmask_b32_e32 v2, v6, v2, vcc
	v_cndmask_b32_e64 v6, 0, 1, vcc
	v_lshrrev_b64 v[8:9], v6, v[8:9]
; %bb.16888:                            ;   in Loop: Header=BB6_16537 Depth=3
	s_andn2_saveexec_b64 s[28:29], s[28:29]
; %bb.16889:                            ;   in Loop: Header=BB6_16537 Depth=3
	v_bfe_u32 v2, v8, 23, 1
; %bb.16890:                            ;   in Loop: Header=BB6_16537 Depth=3
	s_or_b64 exec, exec, s[28:29]
	v_lshrrev_b64 v[6:7], 20, v[8:9]
	v_cmp_gt_i32_e32 vcc, 16, v2
	v_cndmask_b32_e32 v7, 0, v7, vcc
	v_cndmask_b32_e32 v6, 7, v6, vcc
	v_cmp_eq_u32_e32 vcc, 0, v2
	v_min_i32_e32 v2, 15, v2
	v_cmp_eq_u64_e64 s[28:29], 0, v[6:7]
	v_lshlrev_b32_e32 v2, 3, v2
	v_and_b32_e32 v2, 0xf8, v2
	v_and_or_b32 v2, v6, 7, v2
	s_and_b64 s[28:29], vcc, s[28:29]
	v_cndmask_b32_e64 v2, v2, 0, s[28:29]
	v_or_b32_e32 v50, v2, v1
.LBB6_16891:                            ;   in Loop: Header=BB6_16537 Depth=3
	s_or_b64 exec, exec, s[36:37]
                                        ; implicit-def: $vgpr1
.LBB6_16892:                            ;   in Loop: Header=BB6_16537 Depth=3
	s_andn2_saveexec_b64 s[28:29], s[34:35]
; %bb.16893:                            ;   in Loop: Header=BB6_16537 Depth=3
	v_or_b32_e32 v50, 0x7e, v1
; %bb.16894:                            ;   in Loop: Header=BB6_16537 Depth=3
	s_or_b64 exec, exec, s[28:29]
                                        ; implicit-def: $vgpr2
.LBB6_16895:                            ;   in Loop: Header=BB6_16537 Depth=3
	s_andn2_saveexec_b64 s[28:29], s[30:31]
; %bb.16896:                            ;   in Loop: Header=BB6_16537 Depth=3
	v_or_b32_sdwa v50, v2, s86 dst_sel:DWORD dst_unused:UNUSED_PAD src0_sel:BYTE_3 src1_sel:DWORD
; %bb.16897:                            ;   in Loop: Header=BB6_16537 Depth=3
	s_or_b64 exec, exec, s[28:29]
	global_load_dwordx4 v[8:11], v[26:27], off offset:1024 glc slc
	v_mov_b32_e32 v1, 0
	s_waitcnt vmcnt(0)
	v_cmp_ne_u16_sdwa vcc, v8, v51 src0_sel:BYTE_0 src1_sel:DWORD
	s_and_saveexec_b64 s[28:29], vcc
	s_cbranch_execz .LBB6_16903
; %bb.16898:                            ;   in Loop: Header=BB6_16537 Depth=3
	v_cmp_ne_u16_sdwa vcc, v8, s96 src0_sel:BYTE_0 src1_sel:DWORD
	v_bfrev_b32_e32 v1, 1
	s_and_saveexec_b64 s[30:31], vcc
	s_cbranch_execz .LBB6_16902
; %bb.16899:                            ;   in Loop: Header=BB6_16537 Depth=3
	v_and_b32_e32 v2, 0x7f, v8
	v_cmp_ne_u32_e32 vcc, s86, v2
	v_mov_b32_e32 v1, 0x7f800001
	s_and_saveexec_b64 s[34:35], vcc
	s_cbranch_execz .LBB6_16901
; %bb.16900:                            ;   in Loop: Header=BB6_16537 Depth=3
	v_and_b32_e32 v1, 7, v8
	v_ffbh_u32_e32 v1, v1
	v_min_u32_e32 v1, 32, v1
	v_lshrrev_b32_e32 v6, 3, v2
	v_cmp_gt_u32_e32 vcc, 8, v2
	v_subrev_u32_e32 v2, 28, v1
	v_sub_u32_e32 v1, 29, v1
	v_cndmask_b32_e32 v6, v6, v1, vcc
	v_cndmask_b32_e32 v1, 0, v2, vcc
	v_lshlrev_b64 v[1:2], v1, v[8:9]
	v_lshlrev_b32_e32 v2, 24, v8
	v_lshlrev_b32_e32 v1, 20, v1
	v_bfrev_b32_e32 v7, 60
	v_and_b32_e32 v1, 0x700000, v1
	v_and_b32_e32 v2, 0x80000000, v2
	v_lshl_add_u32 v6, v6, 23, v7
	v_or3_b32 v1, v2, v6, v1
.LBB6_16901:                            ;   in Loop: Header=BB6_16537 Depth=3
	s_or_b64 exec, exec, s[34:35]
.LBB6_16902:                            ;   in Loop: Header=BB6_16537 Depth=3
	s_or_b64 exec, exec, s[30:31]
.LBB6_16903:                            ;   in Loop: Header=BB6_16537 Depth=3
	s_or_b64 exec, exec, s[28:29]
	v_mul_f32_e32 v2, v16, v1
	v_and_b32_e32 v6, 0x7f800000, v2
	v_mov_b32_e32 v7, v51
	v_cmp_ne_u64_e32 vcc, s[76:77], v[6:7]
                                        ; implicit-def: $vgpr47
	s_and_saveexec_b64 s[28:29], vcc
	s_xor_b64 s[30:31], exec, s[28:29]
	s_cbranch_execz .LBB6_16917
; %bb.16904:                            ;   in Loop: Header=BB6_16537 Depth=3
	v_and_b32_e32 v6, 0x7fffffff, v2
	v_mov_b32_e32 v7, v51
	v_cmp_gt_u64_e32 vcc, s[78:79], v[6:7]
	v_and_b32_sdwa v1, v2, s96 dst_sel:DWORD dst_unused:UNUSED_PAD src0_sel:BYTE_3 src1_sel:DWORD
                                        ; implicit-def: $vgpr47
	s_and_saveexec_b64 s[28:29], vcc
	s_xor_b64 s[34:35], exec, s[28:29]
	s_cbranch_execz .LBB6_16914
; %bb.16905:                            ;   in Loop: Header=BB6_16537 Depth=3
	v_mov_b32_e32 v47, 0
	v_cmp_ne_u32_e32 vcc, 0, v2
	s_and_saveexec_b64 s[36:37], vcc
	s_cbranch_execz .LBB6_16913
; %bb.16906:                            ;   in Loop: Header=BB6_16537 Depth=3
	v_and_b32_e32 v7, 0x7fffff, v2
	v_bfe_u32 v2, v2, 23, 8
	v_cmp_gt_u32_e64 s[28:29], s97, v2
	v_sub_u32_e32 v6, 0x79, v2
	v_cmp_eq_u32_e32 vcc, 0, v2
	v_cndmask_b32_e64 v6, 0, v6, s[28:29]
	v_mov_b32_e32 v13, 0x78
	v_or_b32_e32 v12, 0x800000, v7
	v_cndmask_b32_e32 v6, v6, v13, vcc
	v_cndmask_b32_e32 v12, v12, v7, vcc
	v_add_u32_e32 v7, 20, v6
	v_lshlrev_b64 v[14:15], v7, -1
	v_mov_b32_e32 v13, v51
	v_add_u32_e32 v7, 19, v6
	v_bfi_b32 v14, v14, 0, v12
	v_lshlrev_b64 v[17:18], v7, 1
	v_lshrrev_b64 v[12:13], v6, v[12:13]
	v_bfi_b32 v15, v15, 0, 0
	v_cmp_eq_u64_e64 s[28:29], v[14:15], v[17:18]
	v_mov_b32_e32 v14, v13
	v_mov_b32_e32 v13, v12
	s_and_saveexec_b64 s[38:39], s[28:29]
; %bb.16907:                            ;   in Loop: Header=BB6_16537 Depth=3
	v_bfe_u32 v7, v12, 20, 1
	v_add_co_u32_e64 v7, s[28:29], v12, v7
	v_add_co_u32_e64 v13, s[28:29], -1, v7
; %bb.16908:                            ;   in Loop: Header=BB6_16537 Depth=3
	s_or_b64 exec, exec, s[38:39]
	v_add_u32_e32 v2, 0xffffff81, v2
	v_mov_b32_e32 v7, 0xffffff82
	v_cndmask_b32_e32 v2, v2, v7, vcc
	v_lshrrev_b32_e32 v7, 23, v12
	v_add3_u32 v7, v6, v2, v7
	v_add_u32_e32 v6, 6, v7
	v_and_b32_e32 v2, 0xfffff, v13
	v_add_u32_e32 v12, v2, v12
	v_mov_b32_e32 v13, v51
	v_cmp_ne_u32_e32 vcc, 0, v6
                                        ; implicit-def: $vgpr2
	s_and_saveexec_b64 s[28:29], vcc
	s_xor_b64 s[28:29], exec, s[28:29]
; %bb.16909:                            ;   in Loop: Header=BB6_16537 Depth=3
	v_cmp_lt_u64_e32 vcc, s[88:89], v[12:13]
	v_add_u32_e32 v2, 7, v7
	v_cndmask_b32_e32 v2, v6, v2, vcc
	v_cndmask_b32_e64 v6, 0, 1, vcc
	v_lshrrev_b64 v[12:13], v6, v[12:13]
; %bb.16910:                            ;   in Loop: Header=BB6_16537 Depth=3
	s_andn2_saveexec_b64 s[28:29], s[28:29]
; %bb.16911:                            ;   in Loop: Header=BB6_16537 Depth=3
	v_bfe_u32 v2, v12, 23, 1
; %bb.16912:                            ;   in Loop: Header=BB6_16537 Depth=3
	s_or_b64 exec, exec, s[28:29]
	v_lshrrev_b64 v[6:7], 20, v[12:13]
	v_cmp_gt_i32_e32 vcc, 16, v2
	v_cndmask_b32_e32 v7, 0, v7, vcc
	v_cndmask_b32_e32 v6, 7, v6, vcc
	v_cmp_eq_u32_e32 vcc, 0, v2
	v_min_i32_e32 v2, 15, v2
	v_cmp_eq_u64_e64 s[28:29], 0, v[6:7]
	v_lshlrev_b32_e32 v2, 3, v2
	v_and_b32_e32 v2, 0xf8, v2
	v_and_or_b32 v2, v6, 7, v2
	s_and_b64 s[28:29], vcc, s[28:29]
	v_cndmask_b32_e64 v2, v2, 0, s[28:29]
	v_or_b32_e32 v47, v2, v1
.LBB6_16913:                            ;   in Loop: Header=BB6_16537 Depth=3
	s_or_b64 exec, exec, s[36:37]
                                        ; implicit-def: $vgpr1
.LBB6_16914:                            ;   in Loop: Header=BB6_16537 Depth=3
	s_andn2_saveexec_b64 s[28:29], s[34:35]
; %bb.16915:                            ;   in Loop: Header=BB6_16537 Depth=3
	v_or_b32_e32 v47, 0x7e, v1
; %bb.16916:                            ;   in Loop: Header=BB6_16537 Depth=3
	s_or_b64 exec, exec, s[28:29]
                                        ; implicit-def: $vgpr2
.LBB6_16917:                            ;   in Loop: Header=BB6_16537 Depth=3
	s_andn2_saveexec_b64 s[28:29], s[30:31]
; %bb.16918:                            ;   in Loop: Header=BB6_16537 Depth=3
	v_or_b32_sdwa v47, v2, s86 dst_sel:DWORD dst_unused:UNUSED_PAD src0_sel:BYTE_3 src1_sel:DWORD
; %bb.16919:                            ;   in Loop: Header=BB6_16537 Depth=3
	s_or_b64 exec, exec, s[28:29]
	v_lshrrev_b16_e32 v12, 8, v8
	v_cmp_ne_u16_e32 vcc, 0, v12
	v_mov_b32_e32 v1, 0
	s_and_saveexec_b64 s[28:29], vcc
	s_cbranch_execz .LBB6_16925
; %bb.16920:                            ;   in Loop: Header=BB6_16537 Depth=3
	v_cmp_ne_u16_e32 vcc, s96, v12
	v_bfrev_b32_e32 v1, 1
	s_and_saveexec_b64 s[30:31], vcc
	s_cbranch_execz .LBB6_16924
; %bb.16921:                            ;   in Loop: Header=BB6_16537 Depth=3
	v_and_b32_e32 v2, 0x7f, v12
	v_cmp_ne_u32_e32 vcc, s86, v2
	v_mov_b32_e32 v1, 0x7f800001
	s_and_saveexec_b64 s[34:35], vcc
	s_cbranch_execz .LBB6_16923
; %bb.16922:                            ;   in Loop: Header=BB6_16537 Depth=3
	v_and_b32_e32 v6, 7, v12
	v_ffbh_u32_e32 v1, v6
	v_min_u32_e32 v13, 32, v1
	v_subrev_u32_e32 v1, 28, v13
	v_lshrrev_b32_e32 v7, 3, v2
	v_cmp_gt_u32_e32 vcc, 8, v2
	v_lshlrev_b64 v[1:2], v1, v[12:13]
	v_sub_u32_e32 v2, 29, v13
	v_and_b32_e32 v1, 7, v1
	v_cndmask_b32_e32 v2, v7, v2, vcc
	v_cndmask_b32_e32 v1, v6, v1, vcc
	v_lshlrev_b32_e32 v6, 16, v8
	v_bfrev_b32_e32 v7, 60
	v_lshlrev_b32_e32 v1, 20, v1
	v_and_b32_e32 v6, 0x80000000, v6
	v_lshl_add_u32 v2, v2, 23, v7
	v_or3_b32 v1, v6, v2, v1
.LBB6_16923:                            ;   in Loop: Header=BB6_16537 Depth=3
	s_or_b64 exec, exec, s[34:35]
.LBB6_16924:                            ;   in Loop: Header=BB6_16537 Depth=3
	s_or_b64 exec, exec, s[30:31]
.LBB6_16925:                            ;   in Loop: Header=BB6_16537 Depth=3
	s_or_b64 exec, exec, s[28:29]
	v_mul_f32_e32 v2, v16, v1
	v_and_b32_e32 v6, 0x7f800000, v2
	v_mov_b32_e32 v7, v51
	v_cmp_ne_u64_e32 vcc, s[76:77], v[6:7]
                                        ; implicit-def: $vgpr1
                                        ; kill: killed $vgpr1
	s_and_saveexec_b64 s[28:29], vcc
	s_xor_b64 s[30:31], exec, s[28:29]
	s_cbranch_execz .LBB6_16939
; %bb.16926:                            ;   in Loop: Header=BB6_16537 Depth=3
	v_and_b32_e32 v6, 0x7fffffff, v2
	v_mov_b32_e32 v7, v51
	v_cmp_gt_u64_e32 vcc, s[78:79], v[6:7]
	v_and_b32_sdwa v1, v2, s96 dst_sel:DWORD dst_unused:UNUSED_PAD src0_sel:BYTE_3 src1_sel:DWORD
                                        ; implicit-def: $vgpr6
                                        ; kill: killed $vgpr6
	s_and_saveexec_b64 s[28:29], vcc
	s_xor_b64 s[34:35], exec, s[28:29]
	s_cbranch_execz .LBB6_16936
; %bb.16927:                            ;   in Loop: Header=BB6_16537 Depth=3
	v_mov_b32_e32 v6, 0
	v_cmp_ne_u32_e32 vcc, 0, v2
	buffer_store_dword v6, off, s[0:3], s33 offset:248 ; 4-byte Folded Spill
	s_and_saveexec_b64 s[36:37], vcc
	s_cbranch_execz .LBB6_16935
; %bb.16928:                            ;   in Loop: Header=BB6_16537 Depth=3
	v_and_b32_e32 v7, 0x7fffff, v2
	v_bfe_u32 v2, v2, 23, 8
	v_cmp_gt_u32_e64 s[28:29], s97, v2
	v_sub_u32_e32 v6, 0x79, v2
	v_cmp_eq_u32_e32 vcc, 0, v2
	v_cndmask_b32_e64 v6, 0, v6, s[28:29]
	v_mov_b32_e32 v13, 0x78
	v_or_b32_e32 v12, 0x800000, v7
	v_cndmask_b32_e32 v6, v6, v13, vcc
	v_cndmask_b32_e32 v12, v12, v7, vcc
	v_add_u32_e32 v7, 20, v6
	v_lshlrev_b64 v[14:15], v7, -1
	v_mov_b32_e32 v13, v51
	v_add_u32_e32 v7, 19, v6
	v_bfi_b32 v14, v14, 0, v12
	v_lshlrev_b64 v[17:18], v7, 1
	v_lshrrev_b64 v[12:13], v6, v[12:13]
	v_bfi_b32 v15, v15, 0, 0
	v_cmp_eq_u64_e64 s[28:29], v[14:15], v[17:18]
	v_mov_b32_e32 v14, v13
	v_mov_b32_e32 v13, v12
	s_and_saveexec_b64 s[38:39], s[28:29]
; %bb.16929:                            ;   in Loop: Header=BB6_16537 Depth=3
	v_bfe_u32 v7, v12, 20, 1
	v_add_co_u32_e64 v7, s[28:29], v12, v7
	v_add_co_u32_e64 v13, s[28:29], -1, v7
; %bb.16930:                            ;   in Loop: Header=BB6_16537 Depth=3
	s_or_b64 exec, exec, s[38:39]
	v_add_u32_e32 v2, 0xffffff81, v2
	v_mov_b32_e32 v7, 0xffffff82
	v_cndmask_b32_e32 v2, v2, v7, vcc
	v_lshrrev_b32_e32 v7, 23, v12
	v_add3_u32 v7, v6, v2, v7
	v_add_u32_e32 v6, 6, v7
	v_and_b32_e32 v2, 0xfffff, v13
	v_add_u32_e32 v12, v2, v12
	v_mov_b32_e32 v13, v51
	v_cmp_ne_u32_e32 vcc, 0, v6
                                        ; implicit-def: $vgpr2
	s_and_saveexec_b64 s[28:29], vcc
	s_xor_b64 s[28:29], exec, s[28:29]
; %bb.16931:                            ;   in Loop: Header=BB6_16537 Depth=3
	v_cmp_lt_u64_e32 vcc, s[88:89], v[12:13]
	v_add_u32_e32 v2, 7, v7
	v_cndmask_b32_e32 v2, v6, v2, vcc
	v_cndmask_b32_e64 v6, 0, 1, vcc
	v_lshrrev_b64 v[12:13], v6, v[12:13]
; %bb.16932:                            ;   in Loop: Header=BB6_16537 Depth=3
	s_andn2_saveexec_b64 s[28:29], s[28:29]
; %bb.16933:                            ;   in Loop: Header=BB6_16537 Depth=3
	v_bfe_u32 v2, v12, 23, 1
; %bb.16934:                            ;   in Loop: Header=BB6_16537 Depth=3
	s_or_b64 exec, exec, s[28:29]
	v_lshrrev_b64 v[6:7], 20, v[12:13]
	v_cmp_gt_i32_e32 vcc, 16, v2
	v_cndmask_b32_e32 v7, 0, v7, vcc
	v_cndmask_b32_e32 v6, 7, v6, vcc
	v_cmp_eq_u32_e32 vcc, 0, v2
	v_min_i32_e32 v2, 15, v2
	v_cmp_eq_u64_e64 s[28:29], 0, v[6:7]
	v_lshlrev_b32_e32 v2, 3, v2
	v_and_b32_e32 v2, 0xf8, v2
	v_and_or_b32 v2, v6, 7, v2
	s_and_b64 s[28:29], vcc, s[28:29]
	v_cndmask_b32_e64 v2, v2, 0, s[28:29]
	v_or_b32_e32 v1, v2, v1
	buffer_store_dword v1, off, s[0:3], s33 offset:248 ; 4-byte Folded Spill
.LBB6_16935:                            ;   in Loop: Header=BB6_16537 Depth=3
	s_or_b64 exec, exec, s[36:37]
                                        ; implicit-def: $vgpr1
.LBB6_16936:                            ;   in Loop: Header=BB6_16537 Depth=3
	s_andn2_saveexec_b64 s[28:29], s[34:35]
	s_cbranch_execz .LBB6_16938
; %bb.16937:                            ;   in Loop: Header=BB6_16537 Depth=3
	v_or_b32_e32 v1, 0x7e, v1
	buffer_store_dword v1, off, s[0:3], s33 offset:248 ; 4-byte Folded Spill
.LBB6_16938:                            ;   in Loop: Header=BB6_16537 Depth=3
	s_or_b64 exec, exec, s[28:29]
                                        ; implicit-def: $vgpr2
.LBB6_16939:                            ;   in Loop: Header=BB6_16537 Depth=3
	s_andn2_saveexec_b64 s[28:29], s[30:31]
	s_cbranch_execz .LBB6_16941
; %bb.16940:                            ;   in Loop: Header=BB6_16537 Depth=3
	v_or_b32_sdwa v1, v2, s86 dst_sel:DWORD dst_unused:UNUSED_PAD src0_sel:BYTE_3 src1_sel:DWORD
	buffer_store_dword v1, off, s[0:3], s33 offset:248 ; 4-byte Folded Spill
.LBB6_16941:                            ;   in Loop: Header=BB6_16537 Depth=3
	s_or_b64 exec, exec, s[28:29]
	v_lshrrev_b32_e32 v12, 16, v8
	v_cmp_ne_u16_sdwa vcc, v12, v51 src0_sel:BYTE_0 src1_sel:DWORD
	v_mov_b32_e32 v1, 0
	s_and_saveexec_b64 s[28:29], vcc
	s_cbranch_execz .LBB6_16947
; %bb.16942:                            ;   in Loop: Header=BB6_16537 Depth=3
	v_cmp_ne_u16_sdwa vcc, v12, s96 src0_sel:BYTE_0 src1_sel:DWORD
	v_bfrev_b32_e32 v1, 1
	s_and_saveexec_b64 s[30:31], vcc
	s_cbranch_execz .LBB6_16946
; %bb.16943:                            ;   in Loop: Header=BB6_16537 Depth=3
	v_bfe_u32 v2, v8, 16, 7
	v_cmp_ne_u32_e32 vcc, s86, v2
	v_mov_b32_e32 v1, 0x7f800001
	s_and_saveexec_b64 s[34:35], vcc
	s_cbranch_execz .LBB6_16945
; %bb.16944:                            ;   in Loop: Header=BB6_16537 Depth=3
	v_and_b32_e32 v6, 7, v12
	v_ffbh_u32_e32 v1, v6
	v_min_u32_e32 v13, 32, v1
	v_subrev_u32_e32 v1, 28, v13
	v_lshrrev_b32_e32 v7, 3, v2
	v_cmp_gt_u32_e32 vcc, 8, v2
	v_lshlrev_b64 v[1:2], v1, v[12:13]
	v_sub_u32_e32 v2, 29, v13
	v_and_b32_e32 v1, 7, v1
	v_cndmask_b32_e32 v2, v7, v2, vcc
	v_cndmask_b32_e32 v1, v6, v1, vcc
	v_lshlrev_b32_e32 v6, 24, v12
	v_bfrev_b32_e32 v7, 60
	v_lshlrev_b32_e32 v1, 20, v1
	v_and_b32_e32 v6, 0x80000000, v6
	v_lshl_add_u32 v2, v2, 23, v7
	v_or3_b32 v1, v6, v2, v1
.LBB6_16945:                            ;   in Loop: Header=BB6_16537 Depth=3
	s_or_b64 exec, exec, s[34:35]
.LBB6_16946:                            ;   in Loop: Header=BB6_16537 Depth=3
	s_or_b64 exec, exec, s[30:31]
.LBB6_16947:                            ;   in Loop: Header=BB6_16537 Depth=3
	s_or_b64 exec, exec, s[28:29]
	v_mul_f32_e32 v2, v16, v1
	v_and_b32_e32 v6, 0x7f800000, v2
	v_mov_b32_e32 v7, v51
	v_cmp_ne_u64_e32 vcc, s[76:77], v[6:7]
                                        ; implicit-def: $vgpr1
                                        ; kill: killed $vgpr1
	s_and_saveexec_b64 s[28:29], vcc
	s_xor_b64 s[30:31], exec, s[28:29]
	s_cbranch_execz .LBB6_16961
; %bb.16948:                            ;   in Loop: Header=BB6_16537 Depth=3
	v_and_b32_e32 v6, 0x7fffffff, v2
	v_mov_b32_e32 v7, v51
	v_cmp_gt_u64_e32 vcc, s[78:79], v[6:7]
	v_and_b32_sdwa v1, v2, s96 dst_sel:DWORD dst_unused:UNUSED_PAD src0_sel:BYTE_3 src1_sel:DWORD
                                        ; implicit-def: $vgpr6
                                        ; kill: killed $vgpr6
	s_and_saveexec_b64 s[28:29], vcc
	s_xor_b64 s[34:35], exec, s[28:29]
	s_cbranch_execz .LBB6_16958
; %bb.16949:                            ;   in Loop: Header=BB6_16537 Depth=3
	v_mov_b32_e32 v6, 0
	v_cmp_ne_u32_e32 vcc, 0, v2
	buffer_store_dword v6, off, s[0:3], s33 offset:268 ; 4-byte Folded Spill
	s_and_saveexec_b64 s[36:37], vcc
	s_cbranch_execz .LBB6_16957
; %bb.16950:                            ;   in Loop: Header=BB6_16537 Depth=3
	v_and_b32_e32 v7, 0x7fffff, v2
	v_bfe_u32 v2, v2, 23, 8
	v_cmp_gt_u32_e64 s[28:29], s97, v2
	v_sub_u32_e32 v6, 0x79, v2
	v_cmp_eq_u32_e32 vcc, 0, v2
	v_cndmask_b32_e64 v6, 0, v6, s[28:29]
	v_mov_b32_e32 v13, 0x78
	v_or_b32_e32 v12, 0x800000, v7
	v_cndmask_b32_e32 v6, v6, v13, vcc
	v_cndmask_b32_e32 v12, v12, v7, vcc
	v_add_u32_e32 v7, 20, v6
	v_lshlrev_b64 v[14:15], v7, -1
	v_mov_b32_e32 v13, v51
	v_add_u32_e32 v7, 19, v6
	v_bfi_b32 v14, v14, 0, v12
	v_lshlrev_b64 v[17:18], v7, 1
	v_lshrrev_b64 v[12:13], v6, v[12:13]
	v_bfi_b32 v15, v15, 0, 0
	v_cmp_eq_u64_e64 s[28:29], v[14:15], v[17:18]
	v_mov_b32_e32 v14, v13
	v_mov_b32_e32 v13, v12
	s_and_saveexec_b64 s[38:39], s[28:29]
; %bb.16951:                            ;   in Loop: Header=BB6_16537 Depth=3
	v_bfe_u32 v7, v12, 20, 1
	v_add_co_u32_e64 v7, s[28:29], v12, v7
	v_add_co_u32_e64 v13, s[28:29], -1, v7
; %bb.16952:                            ;   in Loop: Header=BB6_16537 Depth=3
	s_or_b64 exec, exec, s[38:39]
	v_add_u32_e32 v2, 0xffffff81, v2
	v_mov_b32_e32 v7, 0xffffff82
	v_cndmask_b32_e32 v2, v2, v7, vcc
	v_lshrrev_b32_e32 v7, 23, v12
	v_add3_u32 v7, v6, v2, v7
	v_add_u32_e32 v6, 6, v7
	v_and_b32_e32 v2, 0xfffff, v13
	v_add_u32_e32 v12, v2, v12
	v_mov_b32_e32 v13, v51
	v_cmp_ne_u32_e32 vcc, 0, v6
                                        ; implicit-def: $vgpr2
	s_and_saveexec_b64 s[28:29], vcc
	s_xor_b64 s[28:29], exec, s[28:29]
; %bb.16953:                            ;   in Loop: Header=BB6_16537 Depth=3
	v_cmp_lt_u64_e32 vcc, s[88:89], v[12:13]
	v_add_u32_e32 v2, 7, v7
	v_cndmask_b32_e32 v2, v6, v2, vcc
	v_cndmask_b32_e64 v6, 0, 1, vcc
	v_lshrrev_b64 v[12:13], v6, v[12:13]
; %bb.16954:                            ;   in Loop: Header=BB6_16537 Depth=3
	s_andn2_saveexec_b64 s[28:29], s[28:29]
; %bb.16955:                            ;   in Loop: Header=BB6_16537 Depth=3
	v_bfe_u32 v2, v12, 23, 1
; %bb.16956:                            ;   in Loop: Header=BB6_16537 Depth=3
	s_or_b64 exec, exec, s[28:29]
	v_lshrrev_b64 v[6:7], 20, v[12:13]
	v_cmp_gt_i32_e32 vcc, 16, v2
	v_cndmask_b32_e32 v7, 0, v7, vcc
	v_cndmask_b32_e32 v6, 7, v6, vcc
	v_cmp_eq_u32_e32 vcc, 0, v2
	v_min_i32_e32 v2, 15, v2
	v_cmp_eq_u64_e64 s[28:29], 0, v[6:7]
	v_lshlrev_b32_e32 v2, 3, v2
	v_and_b32_e32 v2, 0xf8, v2
	v_and_or_b32 v2, v6, 7, v2
	s_and_b64 s[28:29], vcc, s[28:29]
	v_cndmask_b32_e64 v2, v2, 0, s[28:29]
	v_or_b32_e32 v1, v2, v1
	buffer_store_dword v1, off, s[0:3], s33 offset:268 ; 4-byte Folded Spill
.LBB6_16957:                            ;   in Loop: Header=BB6_16537 Depth=3
	s_or_b64 exec, exec, s[36:37]
                                        ; implicit-def: $vgpr1
.LBB6_16958:                            ;   in Loop: Header=BB6_16537 Depth=3
	s_andn2_saveexec_b64 s[28:29], s[34:35]
	s_cbranch_execz .LBB6_16960
; %bb.16959:                            ;   in Loop: Header=BB6_16537 Depth=3
	v_or_b32_e32 v1, 0x7e, v1
	buffer_store_dword v1, off, s[0:3], s33 offset:268 ; 4-byte Folded Spill
.LBB6_16960:                            ;   in Loop: Header=BB6_16537 Depth=3
	s_or_b64 exec, exec, s[28:29]
                                        ; implicit-def: $vgpr2
.LBB6_16961:                            ;   in Loop: Header=BB6_16537 Depth=3
	s_andn2_saveexec_b64 s[28:29], s[30:31]
	s_cbranch_execz .LBB6_16963
; %bb.16962:                            ;   in Loop: Header=BB6_16537 Depth=3
	v_or_b32_sdwa v1, v2, s86 dst_sel:DWORD dst_unused:UNUSED_PAD src0_sel:BYTE_3 src1_sel:DWORD
	buffer_store_dword v1, off, s[0:3], s33 offset:268 ; 4-byte Folded Spill
.LBB6_16963:                            ;   in Loop: Header=BB6_16537 Depth=3
	s_or_b64 exec, exec, s[28:29]
	v_cmp_lt_u32_e32 vcc, s57, v8
	v_mov_b32_e32 v1, 0
	s_and_saveexec_b64 s[28:29], vcc
	s_cbranch_execz .LBB6_16969
; %bb.16964:                            ;   in Loop: Header=BB6_16537 Depth=3
	v_lshrrev_b32_e32 v12, 24, v8
	v_cmp_ne_u32_e32 vcc, s96, v12
	v_bfrev_b32_e32 v1, 1
	s_and_saveexec_b64 s[30:31], vcc
	s_cbranch_execz .LBB6_16968
; %bb.16965:                            ;   in Loop: Header=BB6_16537 Depth=3
	v_bfe_u32 v2, v8, 24, 7
	v_cmp_ne_u32_e32 vcc, s86, v2
	v_mov_b32_e32 v1, 0x7f800001
	s_and_saveexec_b64 s[34:35], vcc
	s_cbranch_execz .LBB6_16967
; %bb.16966:                            ;   in Loop: Header=BB6_16537 Depth=3
	v_and_b32_e32 v6, 7, v12
	v_ffbh_u32_e32 v1, v6
	v_min_u32_e32 v13, 32, v1
	v_subrev_u32_e32 v1, 28, v13
	v_lshrrev_b32_e32 v7, 3, v2
	v_cmp_gt_u32_e32 vcc, 8, v2
	v_lshlrev_b64 v[1:2], v1, v[12:13]
	v_sub_u32_e32 v2, 29, v13
	v_and_b32_e32 v1, 7, v1
	v_cndmask_b32_e32 v2, v7, v2, vcc
	v_cndmask_b32_e32 v1, v6, v1, vcc
	v_lshlrev_b32_e32 v6, 24, v12
	v_bfrev_b32_e32 v7, 60
	v_lshlrev_b32_e32 v1, 20, v1
	v_and_b32_e32 v6, 0x80000000, v6
	v_lshl_add_u32 v2, v2, 23, v7
	v_or3_b32 v1, v6, v2, v1
.LBB6_16967:                            ;   in Loop: Header=BB6_16537 Depth=3
	s_or_b64 exec, exec, s[34:35]
.LBB6_16968:                            ;   in Loop: Header=BB6_16537 Depth=3
	s_or_b64 exec, exec, s[30:31]
.LBB6_16969:                            ;   in Loop: Header=BB6_16537 Depth=3
	s_or_b64 exec, exec, s[28:29]
	v_mul_f32_e32 v2, v16, v1
	v_and_b32_e32 v6, 0x7f800000, v2
	v_mov_b32_e32 v7, v51
	v_cmp_ne_u64_e32 vcc, s[76:77], v[6:7]
                                        ; implicit-def: $vgpr55
	s_and_saveexec_b64 s[28:29], vcc
	s_xor_b64 s[30:31], exec, s[28:29]
	s_cbranch_execz .LBB6_16983
; %bb.16970:                            ;   in Loop: Header=BB6_16537 Depth=3
	v_and_b32_e32 v6, 0x7fffffff, v2
	v_mov_b32_e32 v7, v51
	v_cmp_gt_u64_e32 vcc, s[78:79], v[6:7]
	v_and_b32_sdwa v1, v2, s96 dst_sel:DWORD dst_unused:UNUSED_PAD src0_sel:BYTE_3 src1_sel:DWORD
                                        ; implicit-def: $vgpr55
	s_and_saveexec_b64 s[28:29], vcc
	s_xor_b64 s[34:35], exec, s[28:29]
	s_cbranch_execz .LBB6_16980
; %bb.16971:                            ;   in Loop: Header=BB6_16537 Depth=3
	v_mov_b32_e32 v55, 0
	v_cmp_ne_u32_e32 vcc, 0, v2
	s_and_saveexec_b64 s[36:37], vcc
	s_cbranch_execz .LBB6_16979
; %bb.16972:                            ;   in Loop: Header=BB6_16537 Depth=3
	v_and_b32_e32 v7, 0x7fffff, v2
	v_bfe_u32 v2, v2, 23, 8
	v_cmp_gt_u32_e64 s[28:29], s97, v2
	v_sub_u32_e32 v6, 0x79, v2
	v_cmp_eq_u32_e32 vcc, 0, v2
	v_cndmask_b32_e64 v6, 0, v6, s[28:29]
	v_mov_b32_e32 v13, 0x78
	v_or_b32_e32 v12, 0x800000, v7
	v_cndmask_b32_e32 v6, v6, v13, vcc
	v_cndmask_b32_e32 v12, v12, v7, vcc
	v_add_u32_e32 v7, 20, v6
	v_lshlrev_b64 v[14:15], v7, -1
	v_mov_b32_e32 v13, v51
	v_add_u32_e32 v7, 19, v6
	v_bfi_b32 v14, v14, 0, v12
	v_lshlrev_b64 v[17:18], v7, 1
	v_lshrrev_b64 v[12:13], v6, v[12:13]
	v_bfi_b32 v15, v15, 0, 0
	v_cmp_eq_u64_e64 s[28:29], v[14:15], v[17:18]
	v_mov_b32_e32 v14, v13
	v_mov_b32_e32 v13, v12
	s_and_saveexec_b64 s[38:39], s[28:29]
; %bb.16973:                            ;   in Loop: Header=BB6_16537 Depth=3
	v_bfe_u32 v7, v12, 20, 1
	v_add_co_u32_e64 v7, s[28:29], v12, v7
	v_add_co_u32_e64 v13, s[28:29], -1, v7
; %bb.16974:                            ;   in Loop: Header=BB6_16537 Depth=3
	s_or_b64 exec, exec, s[38:39]
	v_add_u32_e32 v2, 0xffffff81, v2
	v_mov_b32_e32 v7, 0xffffff82
	v_cndmask_b32_e32 v2, v2, v7, vcc
	v_lshrrev_b32_e32 v7, 23, v12
	v_add3_u32 v7, v6, v2, v7
	v_add_u32_e32 v6, 6, v7
	v_and_b32_e32 v2, 0xfffff, v13
	v_add_u32_e32 v12, v2, v12
	v_mov_b32_e32 v13, v51
	v_cmp_ne_u32_e32 vcc, 0, v6
                                        ; implicit-def: $vgpr2
	s_and_saveexec_b64 s[28:29], vcc
	s_xor_b64 s[28:29], exec, s[28:29]
; %bb.16975:                            ;   in Loop: Header=BB6_16537 Depth=3
	v_cmp_lt_u64_e32 vcc, s[88:89], v[12:13]
	v_add_u32_e32 v2, 7, v7
	v_cndmask_b32_e32 v2, v6, v2, vcc
	v_cndmask_b32_e64 v6, 0, 1, vcc
	v_lshrrev_b64 v[12:13], v6, v[12:13]
; %bb.16976:                            ;   in Loop: Header=BB6_16537 Depth=3
	s_andn2_saveexec_b64 s[28:29], s[28:29]
; %bb.16977:                            ;   in Loop: Header=BB6_16537 Depth=3
	v_bfe_u32 v2, v12, 23, 1
; %bb.16978:                            ;   in Loop: Header=BB6_16537 Depth=3
	s_or_b64 exec, exec, s[28:29]
	v_lshrrev_b64 v[6:7], 20, v[12:13]
	v_cmp_gt_i32_e32 vcc, 16, v2
	v_cndmask_b32_e32 v7, 0, v7, vcc
	v_cndmask_b32_e32 v6, 7, v6, vcc
	v_cmp_eq_u32_e32 vcc, 0, v2
	v_min_i32_e32 v2, 15, v2
	v_cmp_eq_u64_e64 s[28:29], 0, v[6:7]
	v_lshlrev_b32_e32 v2, 3, v2
	v_and_b32_e32 v2, 0xf8, v2
	v_and_or_b32 v2, v6, 7, v2
	s_and_b64 s[28:29], vcc, s[28:29]
	v_cndmask_b32_e64 v2, v2, 0, s[28:29]
	v_or_b32_e32 v55, v2, v1
.LBB6_16979:                            ;   in Loop: Header=BB6_16537 Depth=3
	s_or_b64 exec, exec, s[36:37]
                                        ; implicit-def: $vgpr1
.LBB6_16980:                            ;   in Loop: Header=BB6_16537 Depth=3
	s_andn2_saveexec_b64 s[28:29], s[34:35]
; %bb.16981:                            ;   in Loop: Header=BB6_16537 Depth=3
	v_or_b32_e32 v55, 0x7e, v1
; %bb.16982:                            ;   in Loop: Header=BB6_16537 Depth=3
	s_or_b64 exec, exec, s[28:29]
                                        ; implicit-def: $vgpr2
.LBB6_16983:                            ;   in Loop: Header=BB6_16537 Depth=3
	s_andn2_saveexec_b64 s[28:29], s[30:31]
; %bb.16984:                            ;   in Loop: Header=BB6_16537 Depth=3
	v_or_b32_sdwa v55, v2, s86 dst_sel:DWORD dst_unused:UNUSED_PAD src0_sel:BYTE_3 src1_sel:DWORD
; %bb.16985:                            ;   in Loop: Header=BB6_16537 Depth=3
	s_or_b64 exec, exec, s[28:29]
	v_mov_b32_e32 v12, v9
	v_mov_b32_e32 v13, v51
	v_cmp_ne_u16_sdwa vcc, v9, v51 src0_sel:BYTE_0 src1_sel:DWORD
	v_mov_b32_e32 v1, 0
	s_and_saveexec_b64 s[28:29], vcc
	s_cbranch_execz .LBB6_16991
; %bb.16986:                            ;   in Loop: Header=BB6_16537 Depth=3
	v_cmp_ne_u16_sdwa vcc, v9, s96 src0_sel:BYTE_0 src1_sel:DWORD
	v_bfrev_b32_e32 v1, 1
	s_and_saveexec_b64 s[30:31], vcc
	s_cbranch_execz .LBB6_16990
; %bb.16987:                            ;   in Loop: Header=BB6_16537 Depth=3
	v_and_b32_e32 v2, 0x7f, v9
	v_cmp_ne_u32_e32 vcc, s86, v2
	v_mov_b32_e32 v1, 0x7f800001
	s_and_saveexec_b64 s[34:35], vcc
	s_cbranch_execz .LBB6_16989
; %bb.16988:                            ;   in Loop: Header=BB6_16537 Depth=3
	v_and_b32_e32 v1, 7, v9
	v_ffbh_u32_e32 v1, v1
	v_min_u32_e32 v1, 32, v1
	v_lshrrev_b32_e32 v6, 3, v2
	v_cmp_gt_u32_e32 vcc, 8, v2
	v_subrev_u32_e32 v2, 28, v1
	v_sub_u32_e32 v1, 29, v1
	v_cndmask_b32_e32 v6, v6, v1, vcc
	v_cndmask_b32_e32 v1, 0, v2, vcc
	v_lshlrev_b64 v[1:2], v1, v[12:13]
	v_lshlrev_b32_e32 v2, 24, v12
	v_lshlrev_b32_e32 v1, 20, v1
	v_bfrev_b32_e32 v7, 60
	v_and_b32_e32 v1, 0x700000, v1
	v_and_b32_e32 v2, 0x80000000, v2
	v_lshl_add_u32 v6, v6, 23, v7
	v_or3_b32 v1, v2, v6, v1
.LBB6_16989:                            ;   in Loop: Header=BB6_16537 Depth=3
	s_or_b64 exec, exec, s[34:35]
.LBB6_16990:                            ;   in Loop: Header=BB6_16537 Depth=3
	s_or_b64 exec, exec, s[30:31]
.LBB6_16991:                            ;   in Loop: Header=BB6_16537 Depth=3
	s_or_b64 exec, exec, s[28:29]
	v_mul_f32_e32 v2, v16, v1
	v_and_b32_e32 v6, 0x7f800000, v2
	v_mov_b32_e32 v7, v51
	v_cmp_ne_u64_e32 vcc, s[76:77], v[6:7]
                                        ; implicit-def: $vgpr56
	s_and_saveexec_b64 s[28:29], vcc
	s_xor_b64 s[30:31], exec, s[28:29]
	s_cbranch_execz .LBB6_17005
; %bb.16992:                            ;   in Loop: Header=BB6_16537 Depth=3
	v_and_b32_e32 v6, 0x7fffffff, v2
	v_mov_b32_e32 v7, v51
	v_cmp_gt_u64_e32 vcc, s[78:79], v[6:7]
	v_and_b32_sdwa v1, v2, s96 dst_sel:DWORD dst_unused:UNUSED_PAD src0_sel:BYTE_3 src1_sel:DWORD
                                        ; implicit-def: $vgpr56
	s_and_saveexec_b64 s[28:29], vcc
	s_xor_b64 s[34:35], exec, s[28:29]
	s_cbranch_execz .LBB6_17002
; %bb.16993:                            ;   in Loop: Header=BB6_16537 Depth=3
	v_mov_b32_e32 v56, 0
	v_cmp_ne_u32_e32 vcc, 0, v2
	s_and_saveexec_b64 s[36:37], vcc
	s_cbranch_execz .LBB6_17001
; %bb.16994:                            ;   in Loop: Header=BB6_16537 Depth=3
	v_and_b32_e32 v7, 0x7fffff, v2
	v_bfe_u32 v2, v2, 23, 8
	v_cmp_gt_u32_e64 s[28:29], s97, v2
	v_sub_u32_e32 v6, 0x79, v2
	v_cmp_eq_u32_e32 vcc, 0, v2
	v_cndmask_b32_e64 v6, 0, v6, s[28:29]
	v_mov_b32_e32 v14, 0x78
	v_or_b32_e32 v13, 0x800000, v7
	v_cndmask_b32_e32 v6, v6, v14, vcc
	v_cndmask_b32_e32 v13, v13, v7, vcc
	v_add_u32_e32 v7, 20, v6
	v_lshlrev_b64 v[17:18], v7, -1
	v_mov_b32_e32 v14, v51
	v_add_u32_e32 v7, 19, v6
	v_bfi_b32 v17, v17, 0, v13
	v_lshlrev_b64 v[19:20], v7, 1
	v_lshrrev_b64 v[13:14], v6, v[13:14]
	v_bfi_b32 v18, v18, 0, 0
	v_cmp_eq_u64_e64 s[28:29], v[17:18], v[19:20]
	v_mov_b32_e32 v15, v14
	v_mov_b32_e32 v14, v13
	s_and_saveexec_b64 s[38:39], s[28:29]
; %bb.16995:                            ;   in Loop: Header=BB6_16537 Depth=3
	v_bfe_u32 v7, v13, 20, 1
	v_add_co_u32_e64 v7, s[28:29], v13, v7
	v_add_co_u32_e64 v14, s[28:29], -1, v7
; %bb.16996:                            ;   in Loop: Header=BB6_16537 Depth=3
	s_or_b64 exec, exec, s[38:39]
	v_add_u32_e32 v2, 0xffffff81, v2
	v_mov_b32_e32 v7, 0xffffff82
	v_cndmask_b32_e32 v2, v2, v7, vcc
	v_lshrrev_b32_e32 v7, 23, v13
	v_add3_u32 v7, v6, v2, v7
	v_add_u32_e32 v6, 6, v7
	v_and_b32_e32 v2, 0xfffff, v14
	v_add_u32_e32 v13, v2, v13
	v_mov_b32_e32 v14, v51
	v_cmp_ne_u32_e32 vcc, 0, v6
                                        ; implicit-def: $vgpr2
	s_and_saveexec_b64 s[28:29], vcc
	s_xor_b64 s[28:29], exec, s[28:29]
; %bb.16997:                            ;   in Loop: Header=BB6_16537 Depth=3
	v_cmp_lt_u64_e32 vcc, s[88:89], v[13:14]
	v_add_u32_e32 v2, 7, v7
	v_cndmask_b32_e32 v2, v6, v2, vcc
	v_cndmask_b32_e64 v6, 0, 1, vcc
	v_lshrrev_b64 v[13:14], v6, v[13:14]
; %bb.16998:                            ;   in Loop: Header=BB6_16537 Depth=3
	s_andn2_saveexec_b64 s[28:29], s[28:29]
; %bb.16999:                            ;   in Loop: Header=BB6_16537 Depth=3
	v_bfe_u32 v2, v13, 23, 1
; %bb.17000:                            ;   in Loop: Header=BB6_16537 Depth=3
	s_or_b64 exec, exec, s[28:29]
	v_lshrrev_b64 v[6:7], 20, v[13:14]
	v_cmp_gt_i32_e32 vcc, 16, v2
	v_cndmask_b32_e32 v7, 0, v7, vcc
	v_cndmask_b32_e32 v6, 7, v6, vcc
	v_cmp_eq_u32_e32 vcc, 0, v2
	v_min_i32_e32 v2, 15, v2
	v_cmp_eq_u64_e64 s[28:29], 0, v[6:7]
	v_lshlrev_b32_e32 v2, 3, v2
	v_and_b32_e32 v2, 0xf8, v2
	v_and_or_b32 v2, v6, 7, v2
	s_and_b64 s[28:29], vcc, s[28:29]
	v_cndmask_b32_e64 v2, v2, 0, s[28:29]
	v_or_b32_e32 v56, v2, v1
.LBB6_17001:                            ;   in Loop: Header=BB6_16537 Depth=3
	s_or_b64 exec, exec, s[36:37]
                                        ; implicit-def: $vgpr1
.LBB6_17002:                            ;   in Loop: Header=BB6_16537 Depth=3
	s_andn2_saveexec_b64 s[28:29], s[34:35]
; %bb.17003:                            ;   in Loop: Header=BB6_16537 Depth=3
	v_or_b32_e32 v56, 0x7e, v1
; %bb.17004:                            ;   in Loop: Header=BB6_16537 Depth=3
	s_or_b64 exec, exec, s[28:29]
                                        ; implicit-def: $vgpr2
.LBB6_17005:                            ;   in Loop: Header=BB6_16537 Depth=3
	s_andn2_saveexec_b64 s[28:29], s[30:31]
; %bb.17006:                            ;   in Loop: Header=BB6_16537 Depth=3
	v_or_b32_sdwa v56, v2, s86 dst_sel:DWORD dst_unused:UNUSED_PAD src0_sel:BYTE_3 src1_sel:DWORD
; %bb.17007:                            ;   in Loop: Header=BB6_16537 Depth=3
	s_or_b64 exec, exec, s[28:29]
	v_lshrrev_b16_e32 v13, 8, v12
	v_cmp_ne_u16_e32 vcc, 0, v13
	v_mov_b32_e32 v1, 0
	s_and_saveexec_b64 s[28:29], vcc
	s_cbranch_execz .LBB6_17013
; %bb.17008:                            ;   in Loop: Header=BB6_16537 Depth=3
	v_cmp_ne_u16_e32 vcc, s96, v13
	v_bfrev_b32_e32 v1, 1
	s_and_saveexec_b64 s[30:31], vcc
	s_cbranch_execz .LBB6_17012
; %bb.17009:                            ;   in Loop: Header=BB6_16537 Depth=3
	v_and_b32_e32 v2, 0x7f, v13
	v_cmp_ne_u32_e32 vcc, s86, v2
	v_mov_b32_e32 v1, 0x7f800001
	s_and_saveexec_b64 s[34:35], vcc
	s_cbranch_execz .LBB6_17011
; %bb.17010:                            ;   in Loop: Header=BB6_16537 Depth=3
	v_and_b32_e32 v6, 7, v13
	v_ffbh_u32_e32 v1, v6
	v_min_u32_e32 v14, 32, v1
	v_subrev_u32_e32 v1, 28, v14
	v_lshrrev_b32_e32 v7, 3, v2
	v_cmp_gt_u32_e32 vcc, 8, v2
	v_lshlrev_b64 v[1:2], v1, v[13:14]
	v_sub_u32_e32 v2, 29, v14
	v_and_b32_e32 v1, 7, v1
	v_cndmask_b32_e32 v2, v7, v2, vcc
	v_cndmask_b32_e32 v1, v6, v1, vcc
	v_lshlrev_b32_e32 v6, 16, v12
	v_bfrev_b32_e32 v7, 60
	v_lshlrev_b32_e32 v1, 20, v1
	v_and_b32_e32 v6, 0x80000000, v6
	v_lshl_add_u32 v2, v2, 23, v7
	v_or3_b32 v1, v6, v2, v1
.LBB6_17011:                            ;   in Loop: Header=BB6_16537 Depth=3
	s_or_b64 exec, exec, s[34:35]
.LBB6_17012:                            ;   in Loop: Header=BB6_16537 Depth=3
	s_or_b64 exec, exec, s[30:31]
.LBB6_17013:                            ;   in Loop: Header=BB6_16537 Depth=3
	s_or_b64 exec, exec, s[28:29]
	v_mul_f32_e32 v2, v16, v1
	v_and_b32_e32 v6, 0x7f800000, v2
	v_mov_b32_e32 v7, v51
	v_cmp_ne_u64_e32 vcc, s[76:77], v[6:7]
                                        ; implicit-def: $vgpr1
                                        ; kill: killed $vgpr1
	s_and_saveexec_b64 s[28:29], vcc
	s_xor_b64 s[30:31], exec, s[28:29]
	s_cbranch_execz .LBB6_17027
; %bb.17014:                            ;   in Loop: Header=BB6_16537 Depth=3
	v_and_b32_e32 v6, 0x7fffffff, v2
	v_mov_b32_e32 v7, v51
	v_cmp_gt_u64_e32 vcc, s[78:79], v[6:7]
	v_and_b32_sdwa v1, v2, s96 dst_sel:DWORD dst_unused:UNUSED_PAD src0_sel:BYTE_3 src1_sel:DWORD
                                        ; implicit-def: $vgpr6
                                        ; kill: killed $vgpr6
	s_and_saveexec_b64 s[28:29], vcc
	s_xor_b64 s[34:35], exec, s[28:29]
	s_cbranch_execz .LBB6_17024
; %bb.17015:                            ;   in Loop: Header=BB6_16537 Depth=3
	v_mov_b32_e32 v6, 0
	v_cmp_ne_u32_e32 vcc, 0, v2
	buffer_store_dword v6, off, s[0:3], s33 offset:232 ; 4-byte Folded Spill
	s_and_saveexec_b64 s[36:37], vcc
	s_cbranch_execz .LBB6_17023
; %bb.17016:                            ;   in Loop: Header=BB6_16537 Depth=3
	v_and_b32_e32 v7, 0x7fffff, v2
	v_bfe_u32 v2, v2, 23, 8
	v_cmp_gt_u32_e64 s[28:29], s97, v2
	v_sub_u32_e32 v6, 0x79, v2
	v_cmp_eq_u32_e32 vcc, 0, v2
	v_cndmask_b32_e64 v6, 0, v6, s[28:29]
	v_mov_b32_e32 v13, 0x78
	v_or_b32_e32 v12, 0x800000, v7
	v_cndmask_b32_e32 v6, v6, v13, vcc
	v_cndmask_b32_e32 v12, v12, v7, vcc
	v_add_u32_e32 v7, 20, v6
	v_lshlrev_b64 v[14:15], v7, -1
	v_mov_b32_e32 v13, v51
	v_add_u32_e32 v7, 19, v6
	v_bfi_b32 v14, v14, 0, v12
	v_lshlrev_b64 v[17:18], v7, 1
	v_lshrrev_b64 v[12:13], v6, v[12:13]
	v_bfi_b32 v15, v15, 0, 0
	v_cmp_eq_u64_e64 s[28:29], v[14:15], v[17:18]
	v_mov_b32_e32 v14, v13
	v_mov_b32_e32 v13, v12
	s_and_saveexec_b64 s[38:39], s[28:29]
; %bb.17017:                            ;   in Loop: Header=BB6_16537 Depth=3
	v_bfe_u32 v7, v12, 20, 1
	v_add_co_u32_e64 v7, s[28:29], v12, v7
	v_add_co_u32_e64 v13, s[28:29], -1, v7
; %bb.17018:                            ;   in Loop: Header=BB6_16537 Depth=3
	s_or_b64 exec, exec, s[38:39]
	v_add_u32_e32 v2, 0xffffff81, v2
	v_mov_b32_e32 v7, 0xffffff82
	v_cndmask_b32_e32 v2, v2, v7, vcc
	v_lshrrev_b32_e32 v7, 23, v12
	v_add3_u32 v7, v6, v2, v7
	v_add_u32_e32 v6, 6, v7
	v_and_b32_e32 v2, 0xfffff, v13
	v_add_u32_e32 v12, v2, v12
	v_mov_b32_e32 v13, v51
	v_cmp_ne_u32_e32 vcc, 0, v6
                                        ; implicit-def: $vgpr2
	s_and_saveexec_b64 s[28:29], vcc
	s_xor_b64 s[28:29], exec, s[28:29]
; %bb.17019:                            ;   in Loop: Header=BB6_16537 Depth=3
	v_cmp_lt_u64_e32 vcc, s[88:89], v[12:13]
	v_add_u32_e32 v2, 7, v7
	v_cndmask_b32_e32 v2, v6, v2, vcc
	v_cndmask_b32_e64 v6, 0, 1, vcc
	v_lshrrev_b64 v[12:13], v6, v[12:13]
; %bb.17020:                            ;   in Loop: Header=BB6_16537 Depth=3
	s_andn2_saveexec_b64 s[28:29], s[28:29]
; %bb.17021:                            ;   in Loop: Header=BB6_16537 Depth=3
	v_bfe_u32 v2, v12, 23, 1
; %bb.17022:                            ;   in Loop: Header=BB6_16537 Depth=3
	s_or_b64 exec, exec, s[28:29]
	v_lshrrev_b64 v[6:7], 20, v[12:13]
	v_cmp_gt_i32_e32 vcc, 16, v2
	v_cndmask_b32_e32 v7, 0, v7, vcc
	v_cndmask_b32_e32 v6, 7, v6, vcc
	v_cmp_eq_u32_e32 vcc, 0, v2
	v_min_i32_e32 v2, 15, v2
	v_cmp_eq_u64_e64 s[28:29], 0, v[6:7]
	v_lshlrev_b32_e32 v2, 3, v2
	v_and_b32_e32 v2, 0xf8, v2
	v_and_or_b32 v2, v6, 7, v2
	s_and_b64 s[28:29], vcc, s[28:29]
	v_cndmask_b32_e64 v2, v2, 0, s[28:29]
	v_or_b32_e32 v1, v2, v1
	buffer_store_dword v1, off, s[0:3], s33 offset:232 ; 4-byte Folded Spill
.LBB6_17023:                            ;   in Loop: Header=BB6_16537 Depth=3
	s_or_b64 exec, exec, s[36:37]
                                        ; implicit-def: $vgpr1
.LBB6_17024:                            ;   in Loop: Header=BB6_16537 Depth=3
	s_andn2_saveexec_b64 s[28:29], s[34:35]
	s_cbranch_execz .LBB6_17026
; %bb.17025:                            ;   in Loop: Header=BB6_16537 Depth=3
	v_or_b32_e32 v1, 0x7e, v1
	buffer_store_dword v1, off, s[0:3], s33 offset:232 ; 4-byte Folded Spill
.LBB6_17026:                            ;   in Loop: Header=BB6_16537 Depth=3
	s_or_b64 exec, exec, s[28:29]
                                        ; implicit-def: $vgpr2
.LBB6_17027:                            ;   in Loop: Header=BB6_16537 Depth=3
	s_andn2_saveexec_b64 s[28:29], s[30:31]
	s_cbranch_execz .LBB6_17029
; %bb.17028:                            ;   in Loop: Header=BB6_16537 Depth=3
	v_or_b32_sdwa v1, v2, s86 dst_sel:DWORD dst_unused:UNUSED_PAD src0_sel:BYTE_3 src1_sel:DWORD
	buffer_store_dword v1, off, s[0:3], s33 offset:232 ; 4-byte Folded Spill
.LBB6_17029:                            ;   in Loop: Header=BB6_16537 Depth=3
	s_or_b64 exec, exec, s[28:29]
	v_lshrrev_b32_e32 v12, 16, v9
	v_cmp_ne_u16_sdwa vcc, v12, v51 src0_sel:BYTE_0 src1_sel:DWORD
	v_mov_b32_e32 v1, 0
	s_and_saveexec_b64 s[28:29], vcc
	s_cbranch_execz .LBB6_17035
; %bb.17030:                            ;   in Loop: Header=BB6_16537 Depth=3
	v_cmp_ne_u16_sdwa vcc, v12, s96 src0_sel:BYTE_0 src1_sel:DWORD
	v_bfrev_b32_e32 v1, 1
	s_and_saveexec_b64 s[30:31], vcc
	s_cbranch_execz .LBB6_17034
; %bb.17031:                            ;   in Loop: Header=BB6_16537 Depth=3
	v_bfe_u32 v2, v9, 16, 7
	v_cmp_ne_u32_e32 vcc, s86, v2
	v_mov_b32_e32 v1, 0x7f800001
	s_and_saveexec_b64 s[34:35], vcc
	s_cbranch_execz .LBB6_17033
; %bb.17032:                            ;   in Loop: Header=BB6_16537 Depth=3
	v_and_b32_e32 v6, 7, v12
	v_ffbh_u32_e32 v1, v6
	v_min_u32_e32 v13, 32, v1
	v_subrev_u32_e32 v1, 28, v13
	v_lshrrev_b32_e32 v7, 3, v2
	v_cmp_gt_u32_e32 vcc, 8, v2
	v_lshlrev_b64 v[1:2], v1, v[12:13]
	v_sub_u32_e32 v2, 29, v13
	v_and_b32_e32 v1, 7, v1
	v_cndmask_b32_e32 v2, v7, v2, vcc
	v_cndmask_b32_e32 v1, v6, v1, vcc
	v_lshlrev_b32_e32 v6, 24, v12
	v_bfrev_b32_e32 v7, 60
	v_lshlrev_b32_e32 v1, 20, v1
	v_and_b32_e32 v6, 0x80000000, v6
	v_lshl_add_u32 v2, v2, 23, v7
	v_or3_b32 v1, v6, v2, v1
.LBB6_17033:                            ;   in Loop: Header=BB6_16537 Depth=3
	s_or_b64 exec, exec, s[34:35]
.LBB6_17034:                            ;   in Loop: Header=BB6_16537 Depth=3
	s_or_b64 exec, exec, s[30:31]
.LBB6_17035:                            ;   in Loop: Header=BB6_16537 Depth=3
	s_or_b64 exec, exec, s[28:29]
	v_mul_f32_e32 v2, v16, v1
	v_and_b32_e32 v6, 0x7f800000, v2
	v_mov_b32_e32 v7, v51
	v_cmp_ne_u64_e32 vcc, s[76:77], v[6:7]
                                        ; implicit-def: $vgpr1
                                        ; kill: killed $vgpr1
	s_and_saveexec_b64 s[28:29], vcc
	s_xor_b64 s[30:31], exec, s[28:29]
	s_cbranch_execz .LBB6_17049
; %bb.17036:                            ;   in Loop: Header=BB6_16537 Depth=3
	v_and_b32_e32 v6, 0x7fffffff, v2
	v_mov_b32_e32 v7, v51
	v_cmp_gt_u64_e32 vcc, s[78:79], v[6:7]
	v_and_b32_sdwa v1, v2, s96 dst_sel:DWORD dst_unused:UNUSED_PAD src0_sel:BYTE_3 src1_sel:DWORD
                                        ; implicit-def: $vgpr6
                                        ; kill: killed $vgpr6
	s_and_saveexec_b64 s[28:29], vcc
	s_xor_b64 s[34:35], exec, s[28:29]
	s_cbranch_execz .LBB6_17046
; %bb.17037:                            ;   in Loop: Header=BB6_16537 Depth=3
	v_mov_b32_e32 v6, 0
	v_cmp_ne_u32_e32 vcc, 0, v2
	buffer_store_dword v6, off, s[0:3], s33 offset:252 ; 4-byte Folded Spill
	s_and_saveexec_b64 s[36:37], vcc
	s_cbranch_execz .LBB6_17045
; %bb.17038:                            ;   in Loop: Header=BB6_16537 Depth=3
	v_and_b32_e32 v7, 0x7fffff, v2
	v_bfe_u32 v2, v2, 23, 8
	v_cmp_gt_u32_e64 s[28:29], s97, v2
	v_sub_u32_e32 v6, 0x79, v2
	v_cmp_eq_u32_e32 vcc, 0, v2
	v_cndmask_b32_e64 v6, 0, v6, s[28:29]
	v_mov_b32_e32 v13, 0x78
	v_or_b32_e32 v12, 0x800000, v7
	v_cndmask_b32_e32 v6, v6, v13, vcc
	v_cndmask_b32_e32 v12, v12, v7, vcc
	v_add_u32_e32 v7, 20, v6
	v_lshlrev_b64 v[14:15], v7, -1
	v_mov_b32_e32 v13, v51
	v_add_u32_e32 v7, 19, v6
	v_bfi_b32 v14, v14, 0, v12
	v_lshlrev_b64 v[17:18], v7, 1
	v_lshrrev_b64 v[12:13], v6, v[12:13]
	v_bfi_b32 v15, v15, 0, 0
	v_cmp_eq_u64_e64 s[28:29], v[14:15], v[17:18]
	v_mov_b32_e32 v14, v13
	v_mov_b32_e32 v13, v12
	s_and_saveexec_b64 s[38:39], s[28:29]
; %bb.17039:                            ;   in Loop: Header=BB6_16537 Depth=3
	v_bfe_u32 v7, v12, 20, 1
	v_add_co_u32_e64 v7, s[28:29], v12, v7
	v_add_co_u32_e64 v13, s[28:29], -1, v7
; %bb.17040:                            ;   in Loop: Header=BB6_16537 Depth=3
	s_or_b64 exec, exec, s[38:39]
	v_add_u32_e32 v2, 0xffffff81, v2
	v_mov_b32_e32 v7, 0xffffff82
	v_cndmask_b32_e32 v2, v2, v7, vcc
	v_lshrrev_b32_e32 v7, 23, v12
	v_add3_u32 v7, v6, v2, v7
	v_add_u32_e32 v6, 6, v7
	v_and_b32_e32 v2, 0xfffff, v13
	v_add_u32_e32 v12, v2, v12
	v_mov_b32_e32 v13, v51
	v_cmp_ne_u32_e32 vcc, 0, v6
                                        ; implicit-def: $vgpr2
	s_and_saveexec_b64 s[28:29], vcc
	s_xor_b64 s[28:29], exec, s[28:29]
; %bb.17041:                            ;   in Loop: Header=BB6_16537 Depth=3
	v_cmp_lt_u64_e32 vcc, s[88:89], v[12:13]
	v_add_u32_e32 v2, 7, v7
	v_cndmask_b32_e32 v2, v6, v2, vcc
	v_cndmask_b32_e64 v6, 0, 1, vcc
	v_lshrrev_b64 v[12:13], v6, v[12:13]
; %bb.17042:                            ;   in Loop: Header=BB6_16537 Depth=3
	s_andn2_saveexec_b64 s[28:29], s[28:29]
; %bb.17043:                            ;   in Loop: Header=BB6_16537 Depth=3
	v_bfe_u32 v2, v12, 23, 1
; %bb.17044:                            ;   in Loop: Header=BB6_16537 Depth=3
	s_or_b64 exec, exec, s[28:29]
	v_lshrrev_b64 v[6:7], 20, v[12:13]
	v_cmp_gt_i32_e32 vcc, 16, v2
	v_cndmask_b32_e32 v7, 0, v7, vcc
	v_cndmask_b32_e32 v6, 7, v6, vcc
	v_cmp_eq_u32_e32 vcc, 0, v2
	v_min_i32_e32 v2, 15, v2
	v_cmp_eq_u64_e64 s[28:29], 0, v[6:7]
	v_lshlrev_b32_e32 v2, 3, v2
	v_and_b32_e32 v2, 0xf8, v2
	v_and_or_b32 v2, v6, 7, v2
	s_and_b64 s[28:29], vcc, s[28:29]
	v_cndmask_b32_e64 v2, v2, 0, s[28:29]
	v_or_b32_e32 v1, v2, v1
	buffer_store_dword v1, off, s[0:3], s33 offset:252 ; 4-byte Folded Spill
.LBB6_17045:                            ;   in Loop: Header=BB6_16537 Depth=3
	s_or_b64 exec, exec, s[36:37]
                                        ; implicit-def: $vgpr1
.LBB6_17046:                            ;   in Loop: Header=BB6_16537 Depth=3
	s_andn2_saveexec_b64 s[28:29], s[34:35]
	s_cbranch_execz .LBB6_17048
; %bb.17047:                            ;   in Loop: Header=BB6_16537 Depth=3
	v_or_b32_e32 v1, 0x7e, v1
	buffer_store_dword v1, off, s[0:3], s33 offset:252 ; 4-byte Folded Spill
.LBB6_17048:                            ;   in Loop: Header=BB6_16537 Depth=3
	s_or_b64 exec, exec, s[28:29]
                                        ; implicit-def: $vgpr2
.LBB6_17049:                            ;   in Loop: Header=BB6_16537 Depth=3
	s_andn2_saveexec_b64 s[28:29], s[30:31]
	s_cbranch_execz .LBB6_17051
; %bb.17050:                            ;   in Loop: Header=BB6_16537 Depth=3
	v_or_b32_sdwa v1, v2, s86 dst_sel:DWORD dst_unused:UNUSED_PAD src0_sel:BYTE_3 src1_sel:DWORD
	buffer_store_dword v1, off, s[0:3], s33 offset:252 ; 4-byte Folded Spill
.LBB6_17051:                            ;   in Loop: Header=BB6_16537 Depth=3
	s_or_b64 exec, exec, s[28:29]
	v_cmp_lt_u64_e32 vcc, s[56:57], v[8:9]
	v_mov_b32_e32 v1, 0
	s_and_saveexec_b64 s[28:29], vcc
	s_cbranch_execz .LBB6_17057
; %bb.17052:                            ;   in Loop: Header=BB6_16537 Depth=3
	v_lshrrev_b32_e32 v8, 24, v9
	v_cmp_ne_u32_e32 vcc, s96, v8
	v_bfrev_b32_e32 v1, 1
	s_and_saveexec_b64 s[30:31], vcc
	s_cbranch_execz .LBB6_17056
; %bb.17053:                            ;   in Loop: Header=BB6_16537 Depth=3
	v_bfe_u32 v2, v9, 24, 7
	v_cmp_ne_u32_e32 vcc, s86, v2
	v_mov_b32_e32 v1, 0x7f800001
	s_and_saveexec_b64 s[34:35], vcc
	s_cbranch_execz .LBB6_17055
; %bb.17054:                            ;   in Loop: Header=BB6_16537 Depth=3
	v_and_b32_e32 v6, 7, v8
	v_ffbh_u32_e32 v1, v6
	v_min_u32_e32 v9, 32, v1
	v_subrev_u32_e32 v1, 28, v9
	v_lshrrev_b32_e32 v7, 3, v2
	v_cmp_gt_u32_e32 vcc, 8, v2
	v_lshlrev_b64 v[1:2], v1, v[8:9]
	v_sub_u32_e32 v2, 29, v9
	v_and_b32_e32 v1, 7, v1
	v_cndmask_b32_e32 v2, v7, v2, vcc
	v_cndmask_b32_e32 v1, v6, v1, vcc
	v_lshlrev_b32_e32 v6, 24, v8
	v_bfrev_b32_e32 v7, 60
	v_lshlrev_b32_e32 v1, 20, v1
	v_and_b32_e32 v6, 0x80000000, v6
	v_lshl_add_u32 v2, v2, 23, v7
	v_or3_b32 v1, v6, v2, v1
.LBB6_17055:                            ;   in Loop: Header=BB6_16537 Depth=3
	s_or_b64 exec, exec, s[34:35]
.LBB6_17056:                            ;   in Loop: Header=BB6_16537 Depth=3
	s_or_b64 exec, exec, s[30:31]
.LBB6_17057:                            ;   in Loop: Header=BB6_16537 Depth=3
	s_or_b64 exec, exec, s[28:29]
	v_mul_f32_e32 v6, v16, v1
	v_and_b32_e32 v1, 0x7f800000, v6
	v_mov_b32_e32 v2, v51
	v_cmp_ne_u64_e32 vcc, s[76:77], v[1:2]
                                        ; implicit-def: $vgpr1
	s_and_saveexec_b64 s[28:29], vcc
	s_xor_b64 s[30:31], exec, s[28:29]
	s_cbranch_execz .LBB6_17071
; %bb.17058:                            ;   in Loop: Header=BB6_16537 Depth=3
	v_and_b32_e32 v1, 0x7fffffff, v6
	v_mov_b32_e32 v2, v51
	v_cmp_gt_u64_e32 vcc, s[78:79], v[1:2]
	v_and_b32_sdwa v2, v6, s96 dst_sel:DWORD dst_unused:UNUSED_PAD src0_sel:BYTE_3 src1_sel:DWORD
                                        ; implicit-def: $vgpr1
	s_and_saveexec_b64 s[28:29], vcc
	s_xor_b64 s[34:35], exec, s[28:29]
	s_cbranch_execz .LBB6_17068
; %bb.17059:                            ;   in Loop: Header=BB6_16537 Depth=3
	v_mov_b32_e32 v1, 0
	v_cmp_ne_u32_e32 vcc, 0, v6
	s_and_saveexec_b64 s[36:37], vcc
	s_cbranch_execz .LBB6_17067
; %bb.17060:                            ;   in Loop: Header=BB6_16537 Depth=3
	v_bfe_u32 v1, v6, 23, 8
	v_and_b32_e32 v7, 0x7fffff, v6
	v_cmp_gt_u32_e64 s[28:29], s97, v1
	v_sub_u32_e32 v6, 0x79, v1
	v_cmp_eq_u32_e32 vcc, 0, v1
	v_cndmask_b32_e64 v6, 0, v6, s[28:29]
	v_mov_b32_e32 v9, 0x78
	v_cndmask_b32_e32 v6, v6, v9, vcc
	v_or_b32_e32 v8, 0x800000, v7
	v_add_u32_e32 v9, 20, v6
	v_cndmask_b32_e32 v7, v8, v7, vcc
	v_mov_b32_e32 v8, v51
	v_lshlrev_b64 v[12:13], v9, -1
	v_add_u32_e32 v9, 19, v6
	v_lshlrev_b64 v[14:15], v9, 1
	v_lshrrev_b64 v[8:9], v6, v[7:8]
	v_bfi_b32 v13, v13, 0, 0
	v_bfi_b32 v12, v12, 0, v7
	v_cmp_eq_u64_e64 s[28:29], v[12:13], v[14:15]
	v_mov_b32_e32 v13, v9
	v_mov_b32_e32 v12, v8
	s_and_saveexec_b64 s[38:39], s[28:29]
; %bb.17061:                            ;   in Loop: Header=BB6_16537 Depth=3
	v_bfe_u32 v7, v8, 20, 1
	v_add_co_u32_e64 v7, s[28:29], v8, v7
	v_add_co_u32_e64 v12, s[28:29], -1, v7
; %bb.17062:                            ;   in Loop: Header=BB6_16537 Depth=3
	s_or_b64 exec, exec, s[38:39]
	v_add_u32_e32 v1, 0xffffff81, v1
	v_mov_b32_e32 v7, 0xffffff82
	v_cndmask_b32_e32 v1, v1, v7, vcc
	v_lshrrev_b32_e32 v7, 23, v8
	v_add3_u32 v7, v6, v1, v7
	v_add_u32_e32 v6, 6, v7
	v_and_b32_e32 v1, 0xfffff, v12
	v_add_u32_e32 v8, v1, v8
	v_mov_b32_e32 v9, v51
	v_cmp_ne_u32_e32 vcc, 0, v6
                                        ; implicit-def: $vgpr1
	s_and_saveexec_b64 s[28:29], vcc
	s_xor_b64 s[28:29], exec, s[28:29]
; %bb.17063:                            ;   in Loop: Header=BB6_16537 Depth=3
	v_cmp_lt_u64_e32 vcc, s[88:89], v[8:9]
	v_add_u32_e32 v1, 7, v7
	v_cndmask_b32_e32 v1, v6, v1, vcc
	v_cndmask_b32_e64 v6, 0, 1, vcc
	v_lshrrev_b64 v[8:9], v6, v[8:9]
; %bb.17064:                            ;   in Loop: Header=BB6_16537 Depth=3
	s_andn2_saveexec_b64 s[28:29], s[28:29]
; %bb.17065:                            ;   in Loop: Header=BB6_16537 Depth=3
	v_bfe_u32 v1, v8, 23, 1
; %bb.17066:                            ;   in Loop: Header=BB6_16537 Depth=3
	s_or_b64 exec, exec, s[28:29]
	v_lshrrev_b64 v[6:7], 20, v[8:9]
	v_cmp_gt_i32_e32 vcc, 16, v1
	v_cndmask_b32_e32 v7, 0, v7, vcc
	v_cndmask_b32_e32 v6, 7, v6, vcc
	v_cmp_eq_u32_e32 vcc, 0, v1
	v_min_i32_e32 v1, 15, v1
	v_cmp_eq_u64_e64 s[28:29], 0, v[6:7]
	v_lshlrev_b32_e32 v1, 3, v1
	v_and_b32_e32 v1, 0xf8, v1
	v_and_or_b32 v1, v6, 7, v1
	s_and_b64 s[28:29], vcc, s[28:29]
	v_cndmask_b32_e64 v1, v1, 0, s[28:29]
	v_or_b32_e32 v1, v1, v2
.LBB6_17067:                            ;   in Loop: Header=BB6_16537 Depth=3
	s_or_b64 exec, exec, s[36:37]
                                        ; implicit-def: $vgpr2
.LBB6_17068:                            ;   in Loop: Header=BB6_16537 Depth=3
	s_andn2_saveexec_b64 s[28:29], s[34:35]
; %bb.17069:                            ;   in Loop: Header=BB6_16537 Depth=3
	v_or_b32_e32 v1, 0x7e, v2
; %bb.17070:                            ;   in Loop: Header=BB6_16537 Depth=3
	s_or_b64 exec, exec, s[28:29]
                                        ; implicit-def: $vgpr6
.LBB6_17071:                            ;   in Loop: Header=BB6_16537 Depth=3
	s_andn2_saveexec_b64 s[28:29], s[30:31]
; %bb.17072:                            ;   in Loop: Header=BB6_16537 Depth=3
	v_or_b32_sdwa v1, v6, s86 dst_sel:DWORD dst_unused:UNUSED_PAD src0_sel:BYTE_3 src1_sel:DWORD
; %bb.17073:                            ;   in Loop: Header=BB6_16537 Depth=3
	s_or_b64 exec, exec, s[28:29]
	v_cmp_ne_u16_sdwa vcc, v10, v51 src0_sel:BYTE_0 src1_sel:DWORD
	v_mov_b32_e32 v2, 0
	s_and_saveexec_b64 s[28:29], vcc
	s_cbranch_execz .LBB6_17079
; %bb.17074:                            ;   in Loop: Header=BB6_16537 Depth=3
	v_cmp_ne_u16_sdwa vcc, v10, s96 src0_sel:BYTE_0 src1_sel:DWORD
	v_bfrev_b32_e32 v2, 1
	s_and_saveexec_b64 s[30:31], vcc
	s_cbranch_execz .LBB6_17078
; %bb.17075:                            ;   in Loop: Header=BB6_16537 Depth=3
	v_and_b32_e32 v6, 0x7f, v10
	v_cmp_ne_u32_e32 vcc, s86, v6
	v_mov_b32_e32 v2, 0x7f800001
	s_and_saveexec_b64 s[34:35], vcc
	s_cbranch_execz .LBB6_17077
; %bb.17076:                            ;   in Loop: Header=BB6_16537 Depth=3
	v_and_b32_e32 v2, 7, v10
	v_ffbh_u32_e32 v2, v2
	v_min_u32_e32 v2, 32, v2
	v_lshrrev_b32_e32 v7, 3, v6
	v_cmp_gt_u32_e32 vcc, 8, v6
	v_subrev_u32_e32 v6, 28, v2
	v_sub_u32_e32 v2, 29, v2
	v_cndmask_b32_e32 v6, 0, v6, vcc
	v_cndmask_b32_e32 v2, v7, v2, vcc
	v_lshlrev_b64 v[6:7], v6, v[10:11]
	v_lshlrev_b32_e32 v7, 24, v10
	v_lshlrev_b32_e32 v6, 20, v6
	v_bfrev_b32_e32 v8, 60
	v_and_b32_e32 v6, 0x700000, v6
	v_and_b32_e32 v7, 0x80000000, v7
	v_lshl_add_u32 v2, v2, 23, v8
	v_or3_b32 v2, v7, v2, v6
.LBB6_17077:                            ;   in Loop: Header=BB6_16537 Depth=3
	s_or_b64 exec, exec, s[34:35]
.LBB6_17078:                            ;   in Loop: Header=BB6_16537 Depth=3
	s_or_b64 exec, exec, s[30:31]
.LBB6_17079:                            ;   in Loop: Header=BB6_16537 Depth=3
	s_or_b64 exec, exec, s[28:29]
	v_mul_f32_e32 v6, v16, v2
	v_and_b32_e32 v7, 0x7f800000, v6
	v_mov_b32_e32 v8, v51
	v_cmp_ne_u64_e32 vcc, s[76:77], v[7:8]
                                        ; implicit-def: $vgpr46
	s_and_saveexec_b64 s[28:29], vcc
	s_xor_b64 s[30:31], exec, s[28:29]
	s_cbranch_execz .LBB6_17093
; %bb.17080:                            ;   in Loop: Header=BB6_16537 Depth=3
	v_and_b32_e32 v7, 0x7fffffff, v6
	v_mov_b32_e32 v8, v51
	v_cmp_gt_u64_e32 vcc, s[78:79], v[7:8]
	v_and_b32_sdwa v2, v6, s96 dst_sel:DWORD dst_unused:UNUSED_PAD src0_sel:BYTE_3 src1_sel:DWORD
                                        ; implicit-def: $vgpr46
	s_and_saveexec_b64 s[28:29], vcc
	s_xor_b64 s[34:35], exec, s[28:29]
	s_cbranch_execz .LBB6_17090
; %bb.17081:                            ;   in Loop: Header=BB6_16537 Depth=3
	v_mov_b32_e32 v46, 0
	v_cmp_ne_u32_e32 vcc, 0, v6
	s_and_saveexec_b64 s[36:37], vcc
	s_cbranch_execz .LBB6_17089
; %bb.17082:                            ;   in Loop: Header=BB6_16537 Depth=3
	v_and_b32_e32 v8, 0x7fffff, v6
	v_bfe_u32 v6, v6, 23, 8
	v_cmp_gt_u32_e64 s[28:29], s97, v6
	v_sub_u32_e32 v7, 0x79, v6
	v_cmp_eq_u32_e32 vcc, 0, v6
	v_cndmask_b32_e64 v7, 0, v7, s[28:29]
	v_mov_b32_e32 v12, 0x78
	v_cndmask_b32_e32 v7, v7, v12, vcc
	v_add_u32_e32 v12, 20, v7
	v_or_b32_e32 v9, 0x800000, v8
	v_lshlrev_b64 v[12:13], v12, -1
	v_cndmask_b32_e32 v8, v9, v8, vcc
	v_mov_b32_e32 v9, v51
	v_add_u32_e32 v14, 19, v7
	v_bfi_b32 v12, v12, 0, v8
	v_lshlrev_b64 v[14:15], v14, 1
	v_lshrrev_b64 v[8:9], v7, v[8:9]
	v_bfi_b32 v13, v13, 0, 0
	v_cmp_eq_u64_e64 s[28:29], v[12:13], v[14:15]
	v_mov_b32_e32 v13, v9
	v_mov_b32_e32 v12, v8
	s_and_saveexec_b64 s[38:39], s[28:29]
; %bb.17083:                            ;   in Loop: Header=BB6_16537 Depth=3
	v_bfe_u32 v9, v8, 20, 1
	v_add_co_u32_e64 v9, s[28:29], v8, v9
	v_add_co_u32_e64 v12, s[28:29], -1, v9
; %bb.17084:                            ;   in Loop: Header=BB6_16537 Depth=3
	s_or_b64 exec, exec, s[38:39]
	v_add_u32_e32 v6, 0xffffff81, v6
	v_mov_b32_e32 v9, 0xffffff82
	v_cndmask_b32_e32 v6, v6, v9, vcc
	v_lshrrev_b32_e32 v9, 23, v8
	v_add3_u32 v13, v7, v6, v9
	v_add_u32_e32 v7, 6, v13
	v_and_b32_e32 v6, 0xfffff, v12
	v_add_u32_e32 v8, v6, v8
	v_mov_b32_e32 v9, v51
	v_cmp_ne_u32_e32 vcc, 0, v7
                                        ; implicit-def: $vgpr6
	s_and_saveexec_b64 s[28:29], vcc
	s_xor_b64 s[28:29], exec, s[28:29]
; %bb.17085:                            ;   in Loop: Header=BB6_16537 Depth=3
	v_cmp_lt_u64_e32 vcc, s[88:89], v[8:9]
	v_add_u32_e32 v6, 7, v13
	v_cndmask_b32_e32 v6, v7, v6, vcc
	v_cndmask_b32_e64 v7, 0, 1, vcc
	v_lshrrev_b64 v[8:9], v7, v[8:9]
; %bb.17086:                            ;   in Loop: Header=BB6_16537 Depth=3
	s_andn2_saveexec_b64 s[28:29], s[28:29]
; %bb.17087:                            ;   in Loop: Header=BB6_16537 Depth=3
	v_bfe_u32 v6, v8, 23, 1
; %bb.17088:                            ;   in Loop: Header=BB6_16537 Depth=3
	s_or_b64 exec, exec, s[28:29]
	v_lshrrev_b64 v[7:8], 20, v[8:9]
	v_cmp_gt_i32_e32 vcc, 16, v6
	v_cndmask_b32_e32 v8, 0, v8, vcc
	v_cndmask_b32_e32 v7, 7, v7, vcc
	v_cmp_eq_u32_e32 vcc, 0, v6
	v_min_i32_e32 v6, 15, v6
	v_cmp_eq_u64_e64 s[28:29], 0, v[7:8]
	v_lshlrev_b32_e32 v6, 3, v6
	v_and_b32_e32 v6, 0xf8, v6
	v_and_or_b32 v6, v7, 7, v6
	s_and_b64 s[28:29], vcc, s[28:29]
	v_cndmask_b32_e64 v6, v6, 0, s[28:29]
	v_or_b32_e32 v46, v6, v2
.LBB6_17089:                            ;   in Loop: Header=BB6_16537 Depth=3
	s_or_b64 exec, exec, s[36:37]
                                        ; implicit-def: $vgpr2
.LBB6_17090:                            ;   in Loop: Header=BB6_16537 Depth=3
	s_andn2_saveexec_b64 s[28:29], s[34:35]
; %bb.17091:                            ;   in Loop: Header=BB6_16537 Depth=3
	v_or_b32_e32 v46, 0x7e, v2
; %bb.17092:                            ;   in Loop: Header=BB6_16537 Depth=3
	s_or_b64 exec, exec, s[28:29]
                                        ; implicit-def: $vgpr6
.LBB6_17093:                            ;   in Loop: Header=BB6_16537 Depth=3
	s_andn2_saveexec_b64 s[28:29], s[30:31]
; %bb.17094:                            ;   in Loop: Header=BB6_16537 Depth=3
	v_or_b32_sdwa v46, v6, s86 dst_sel:DWORD dst_unused:UNUSED_PAD src0_sel:BYTE_3 src1_sel:DWORD
; %bb.17095:                            ;   in Loop: Header=BB6_16537 Depth=3
	s_or_b64 exec, exec, s[28:29]
	v_lshrrev_b16_e32 v8, 8, v10
	v_cmp_ne_u16_e32 vcc, 0, v8
	v_mov_b32_e32 v2, 0
	s_and_saveexec_b64 s[28:29], vcc
	s_cbranch_execz .LBB6_17101
; %bb.17096:                            ;   in Loop: Header=BB6_16537 Depth=3
	v_cmp_ne_u16_e32 vcc, s96, v8
	v_bfrev_b32_e32 v2, 1
	s_and_saveexec_b64 s[30:31], vcc
	s_cbranch_execz .LBB6_17100
; %bb.17097:                            ;   in Loop: Header=BB6_16537 Depth=3
	v_and_b32_e32 v6, 0x7f, v8
	v_cmp_ne_u32_e32 vcc, s86, v6
	v_mov_b32_e32 v2, 0x7f800001
	s_and_saveexec_b64 s[34:35], vcc
	s_cbranch_execz .LBB6_17099
; %bb.17098:                            ;   in Loop: Header=BB6_16537 Depth=3
	v_and_b32_e32 v2, 7, v8
	v_lshrrev_b32_e32 v9, 3, v6
	v_cmp_gt_u32_e32 vcc, 8, v6
	v_ffbh_u32_e32 v6, v2
	v_min_u32_e32 v12, 32, v6
	v_subrev_u32_e32 v6, 28, v12
	v_lshlrev_b64 v[6:7], v6, v[8:9]
	v_sub_u32_e32 v7, 29, v12
	v_and_b32_e32 v6, 7, v6
	v_cndmask_b32_e32 v7, v9, v7, vcc
	v_cndmask_b32_e32 v2, v2, v6, vcc
	v_lshlrev_b32_e32 v6, 16, v10
	v_bfrev_b32_e32 v8, 60
	v_lshlrev_b32_e32 v2, 20, v2
	v_and_b32_e32 v6, 0x80000000, v6
	v_lshl_add_u32 v7, v7, 23, v8
	v_or3_b32 v2, v6, v7, v2
.LBB6_17099:                            ;   in Loop: Header=BB6_16537 Depth=3
	s_or_b64 exec, exec, s[34:35]
.LBB6_17100:                            ;   in Loop: Header=BB6_16537 Depth=3
	s_or_b64 exec, exec, s[30:31]
.LBB6_17101:                            ;   in Loop: Header=BB6_16537 Depth=3
	s_or_b64 exec, exec, s[28:29]
	v_mul_f32_e32 v6, v16, v2
	v_and_b32_e32 v7, 0x7f800000, v6
	v_mov_b32_e32 v8, v51
	v_cmp_ne_u64_e32 vcc, s[76:77], v[7:8]
                                        ; implicit-def: $vgpr2
                                        ; kill: killed $vgpr2
	s_and_saveexec_b64 s[28:29], vcc
	s_xor_b64 s[30:31], exec, s[28:29]
	s_cbranch_execz .LBB6_17115
; %bb.17102:                            ;   in Loop: Header=BB6_16537 Depth=3
	v_and_b32_e32 v7, 0x7fffffff, v6
	v_mov_b32_e32 v8, v51
	v_cmp_gt_u64_e32 vcc, s[78:79], v[7:8]
	v_and_b32_sdwa v2, v6, s96 dst_sel:DWORD dst_unused:UNUSED_PAD src0_sel:BYTE_3 src1_sel:DWORD
                                        ; implicit-def: $vgpr7
                                        ; kill: killed $vgpr7
	s_and_saveexec_b64 s[28:29], vcc
	s_xor_b64 s[34:35], exec, s[28:29]
	s_cbranch_execz .LBB6_17112
; %bb.17103:                            ;   in Loop: Header=BB6_16537 Depth=3
	v_mov_b32_e32 v7, 0
	v_cmp_ne_u32_e32 vcc, 0, v6
	buffer_store_dword v7, off, s[0:3], s33 offset:220 ; 4-byte Folded Spill
	s_and_saveexec_b64 s[36:37], vcc
	s_cbranch_execz .LBB6_17111
; %bb.17104:                            ;   in Loop: Header=BB6_16537 Depth=3
	v_and_b32_e32 v8, 0x7fffff, v6
	v_bfe_u32 v6, v6, 23, 8
	v_cmp_gt_u32_e64 s[28:29], s97, v6
	v_sub_u32_e32 v7, 0x79, v6
	v_cmp_eq_u32_e32 vcc, 0, v6
	v_cndmask_b32_e64 v7, 0, v7, s[28:29]
	v_mov_b32_e32 v12, 0x78
	v_cndmask_b32_e32 v7, v7, v12, vcc
	v_add_u32_e32 v12, 20, v7
	v_or_b32_e32 v9, 0x800000, v8
	v_lshlrev_b64 v[12:13], v12, -1
	v_cndmask_b32_e32 v8, v9, v8, vcc
	v_mov_b32_e32 v9, v51
	v_add_u32_e32 v14, 19, v7
	v_bfi_b32 v12, v12, 0, v8
	v_lshlrev_b64 v[14:15], v14, 1
	v_lshrrev_b64 v[8:9], v7, v[8:9]
	v_bfi_b32 v13, v13, 0, 0
	v_cmp_eq_u64_e64 s[28:29], v[12:13], v[14:15]
	v_mov_b32_e32 v13, v9
	v_mov_b32_e32 v12, v8
	s_and_saveexec_b64 s[38:39], s[28:29]
; %bb.17105:                            ;   in Loop: Header=BB6_16537 Depth=3
	v_bfe_u32 v9, v8, 20, 1
	v_add_co_u32_e64 v9, s[28:29], v8, v9
	v_add_co_u32_e64 v12, s[28:29], -1, v9
; %bb.17106:                            ;   in Loop: Header=BB6_16537 Depth=3
	s_or_b64 exec, exec, s[38:39]
	v_add_u32_e32 v6, 0xffffff81, v6
	v_mov_b32_e32 v9, 0xffffff82
	v_cndmask_b32_e32 v6, v6, v9, vcc
	v_lshrrev_b32_e32 v9, 23, v8
	v_add3_u32 v13, v7, v6, v9
	v_add_u32_e32 v7, 6, v13
	v_and_b32_e32 v6, 0xfffff, v12
	v_add_u32_e32 v8, v6, v8
	v_mov_b32_e32 v9, v51
	v_cmp_ne_u32_e32 vcc, 0, v7
                                        ; implicit-def: $vgpr6
	s_and_saveexec_b64 s[28:29], vcc
	s_xor_b64 s[28:29], exec, s[28:29]
; %bb.17107:                            ;   in Loop: Header=BB6_16537 Depth=3
	v_cmp_lt_u64_e32 vcc, s[88:89], v[8:9]
	v_add_u32_e32 v6, 7, v13
	v_cndmask_b32_e32 v6, v7, v6, vcc
	v_cndmask_b32_e64 v7, 0, 1, vcc
	v_lshrrev_b64 v[8:9], v7, v[8:9]
; %bb.17108:                            ;   in Loop: Header=BB6_16537 Depth=3
	s_andn2_saveexec_b64 s[28:29], s[28:29]
; %bb.17109:                            ;   in Loop: Header=BB6_16537 Depth=3
	v_bfe_u32 v6, v8, 23, 1
; %bb.17110:                            ;   in Loop: Header=BB6_16537 Depth=3
	s_or_b64 exec, exec, s[28:29]
	v_lshrrev_b64 v[7:8], 20, v[8:9]
	v_cmp_gt_i32_e32 vcc, 16, v6
	v_cndmask_b32_e32 v8, 0, v8, vcc
	v_cndmask_b32_e32 v7, 7, v7, vcc
	v_cmp_eq_u32_e32 vcc, 0, v6
	v_min_i32_e32 v6, 15, v6
	v_cmp_eq_u64_e64 s[28:29], 0, v[7:8]
	v_lshlrev_b32_e32 v6, 3, v6
	v_and_b32_e32 v6, 0xf8, v6
	v_and_or_b32 v6, v7, 7, v6
	s_and_b64 s[28:29], vcc, s[28:29]
	v_cndmask_b32_e64 v6, v6, 0, s[28:29]
	v_or_b32_e32 v2, v6, v2
	buffer_store_dword v2, off, s[0:3], s33 offset:220 ; 4-byte Folded Spill
.LBB6_17111:                            ;   in Loop: Header=BB6_16537 Depth=3
	s_or_b64 exec, exec, s[36:37]
                                        ; implicit-def: $vgpr2
.LBB6_17112:                            ;   in Loop: Header=BB6_16537 Depth=3
	s_andn2_saveexec_b64 s[28:29], s[34:35]
	s_cbranch_execz .LBB6_17114
; %bb.17113:                            ;   in Loop: Header=BB6_16537 Depth=3
	v_or_b32_e32 v2, 0x7e, v2
	buffer_store_dword v2, off, s[0:3], s33 offset:220 ; 4-byte Folded Spill
.LBB6_17114:                            ;   in Loop: Header=BB6_16537 Depth=3
	s_or_b64 exec, exec, s[28:29]
                                        ; implicit-def: $vgpr6
.LBB6_17115:                            ;   in Loop: Header=BB6_16537 Depth=3
	s_andn2_saveexec_b64 s[28:29], s[30:31]
	s_cbranch_execz .LBB6_17117
; %bb.17116:                            ;   in Loop: Header=BB6_16537 Depth=3
	v_or_b32_sdwa v2, v6, s86 dst_sel:DWORD dst_unused:UNUSED_PAD src0_sel:BYTE_3 src1_sel:DWORD
	buffer_store_dword v2, off, s[0:3], s33 offset:220 ; 4-byte Folded Spill
.LBB6_17117:                            ;   in Loop: Header=BB6_16537 Depth=3
	s_or_b64 exec, exec, s[28:29]
	v_lshrrev_b32_e32 v8, 16, v10
	v_cmp_ne_u16_sdwa vcc, v8, v51 src0_sel:BYTE_0 src1_sel:DWORD
	v_mov_b32_e32 v2, 0
	s_and_saveexec_b64 s[28:29], vcc
	s_cbranch_execz .LBB6_17123
; %bb.17118:                            ;   in Loop: Header=BB6_16537 Depth=3
	v_cmp_ne_u16_sdwa vcc, v8, s96 src0_sel:BYTE_0 src1_sel:DWORD
	v_bfrev_b32_e32 v2, 1
	s_and_saveexec_b64 s[30:31], vcc
	s_cbranch_execz .LBB6_17122
; %bb.17119:                            ;   in Loop: Header=BB6_16537 Depth=3
	v_bfe_u32 v6, v10, 16, 7
	v_cmp_ne_u32_e32 vcc, s86, v6
	v_mov_b32_e32 v2, 0x7f800001
	s_and_saveexec_b64 s[34:35], vcc
	s_cbranch_execz .LBB6_17121
; %bb.17120:                            ;   in Loop: Header=BB6_16537 Depth=3
	v_and_b32_e32 v2, 7, v8
	v_lshrrev_b32_e32 v9, 3, v6
	v_cmp_gt_u32_e32 vcc, 8, v6
	v_ffbh_u32_e32 v6, v2
	v_min_u32_e32 v12, 32, v6
	v_subrev_u32_e32 v6, 28, v12
	v_lshlrev_b64 v[6:7], v6, v[8:9]
	v_sub_u32_e32 v7, 29, v12
	v_and_b32_e32 v6, 7, v6
	v_cndmask_b32_e32 v7, v9, v7, vcc
	v_cndmask_b32_e32 v2, v2, v6, vcc
	v_lshlrev_b32_e32 v6, 24, v8
	v_bfrev_b32_e32 v8, 60
	v_lshlrev_b32_e32 v2, 20, v2
	v_and_b32_e32 v6, 0x80000000, v6
	v_lshl_add_u32 v7, v7, 23, v8
	v_or3_b32 v2, v6, v7, v2
.LBB6_17121:                            ;   in Loop: Header=BB6_16537 Depth=3
	s_or_b64 exec, exec, s[34:35]
.LBB6_17122:                            ;   in Loop: Header=BB6_16537 Depth=3
	s_or_b64 exec, exec, s[30:31]
.LBB6_17123:                            ;   in Loop: Header=BB6_16537 Depth=3
	s_or_b64 exec, exec, s[28:29]
	v_mul_f32_e32 v6, v16, v2
	v_and_b32_e32 v7, 0x7f800000, v6
	v_mov_b32_e32 v8, v51
	v_cmp_ne_u64_e32 vcc, s[76:77], v[7:8]
                                        ; implicit-def: $vgpr2
                                        ; kill: killed $vgpr2
	s_and_saveexec_b64 s[28:29], vcc
	s_xor_b64 s[30:31], exec, s[28:29]
	s_cbranch_execz .LBB6_17137
; %bb.17124:                            ;   in Loop: Header=BB6_16537 Depth=3
	v_and_b32_e32 v7, 0x7fffffff, v6
	v_mov_b32_e32 v8, v51
	v_cmp_gt_u64_e32 vcc, s[78:79], v[7:8]
	v_and_b32_sdwa v2, v6, s96 dst_sel:DWORD dst_unused:UNUSED_PAD src0_sel:BYTE_3 src1_sel:DWORD
                                        ; implicit-def: $vgpr7
                                        ; kill: killed $vgpr7
	s_and_saveexec_b64 s[28:29], vcc
	s_xor_b64 s[34:35], exec, s[28:29]
	s_cbranch_execz .LBB6_17134
; %bb.17125:                            ;   in Loop: Header=BB6_16537 Depth=3
	v_mov_b32_e32 v7, 0
	v_cmp_ne_u32_e32 vcc, 0, v6
	buffer_store_dword v7, off, s[0:3], s33 offset:240 ; 4-byte Folded Spill
	s_and_saveexec_b64 s[36:37], vcc
	s_cbranch_execz .LBB6_17133
; %bb.17126:                            ;   in Loop: Header=BB6_16537 Depth=3
	v_and_b32_e32 v8, 0x7fffff, v6
	v_bfe_u32 v6, v6, 23, 8
	v_cmp_gt_u32_e64 s[28:29], s97, v6
	v_sub_u32_e32 v7, 0x79, v6
	v_cmp_eq_u32_e32 vcc, 0, v6
	v_cndmask_b32_e64 v7, 0, v7, s[28:29]
	v_mov_b32_e32 v12, 0x78
	v_cndmask_b32_e32 v7, v7, v12, vcc
	v_add_u32_e32 v12, 20, v7
	v_or_b32_e32 v9, 0x800000, v8
	v_lshlrev_b64 v[12:13], v12, -1
	v_cndmask_b32_e32 v8, v9, v8, vcc
	v_mov_b32_e32 v9, v51
	v_add_u32_e32 v14, 19, v7
	v_bfi_b32 v12, v12, 0, v8
	v_lshlrev_b64 v[14:15], v14, 1
	v_lshrrev_b64 v[8:9], v7, v[8:9]
	v_bfi_b32 v13, v13, 0, 0
	v_cmp_eq_u64_e64 s[28:29], v[12:13], v[14:15]
	v_mov_b32_e32 v13, v9
	v_mov_b32_e32 v12, v8
	s_and_saveexec_b64 s[38:39], s[28:29]
; %bb.17127:                            ;   in Loop: Header=BB6_16537 Depth=3
	v_bfe_u32 v9, v8, 20, 1
	v_add_co_u32_e64 v9, s[28:29], v8, v9
	v_add_co_u32_e64 v12, s[28:29], -1, v9
; %bb.17128:                            ;   in Loop: Header=BB6_16537 Depth=3
	s_or_b64 exec, exec, s[38:39]
	v_add_u32_e32 v6, 0xffffff81, v6
	v_mov_b32_e32 v9, 0xffffff82
	v_cndmask_b32_e32 v6, v6, v9, vcc
	v_lshrrev_b32_e32 v9, 23, v8
	v_add3_u32 v13, v7, v6, v9
	v_add_u32_e32 v7, 6, v13
	v_and_b32_e32 v6, 0xfffff, v12
	v_add_u32_e32 v8, v6, v8
	v_mov_b32_e32 v9, v51
	v_cmp_ne_u32_e32 vcc, 0, v7
                                        ; implicit-def: $vgpr6
	s_and_saveexec_b64 s[28:29], vcc
	s_xor_b64 s[28:29], exec, s[28:29]
; %bb.17129:                            ;   in Loop: Header=BB6_16537 Depth=3
	v_cmp_lt_u64_e32 vcc, s[88:89], v[8:9]
	v_add_u32_e32 v6, 7, v13
	v_cndmask_b32_e32 v6, v7, v6, vcc
	v_cndmask_b32_e64 v7, 0, 1, vcc
	v_lshrrev_b64 v[8:9], v7, v[8:9]
; %bb.17130:                            ;   in Loop: Header=BB6_16537 Depth=3
	s_andn2_saveexec_b64 s[28:29], s[28:29]
; %bb.17131:                            ;   in Loop: Header=BB6_16537 Depth=3
	v_bfe_u32 v6, v8, 23, 1
; %bb.17132:                            ;   in Loop: Header=BB6_16537 Depth=3
	s_or_b64 exec, exec, s[28:29]
	v_lshrrev_b64 v[7:8], 20, v[8:9]
	v_cmp_gt_i32_e32 vcc, 16, v6
	v_cndmask_b32_e32 v8, 0, v8, vcc
	v_cndmask_b32_e32 v7, 7, v7, vcc
	v_cmp_eq_u32_e32 vcc, 0, v6
	v_min_i32_e32 v6, 15, v6
	v_cmp_eq_u64_e64 s[28:29], 0, v[7:8]
	v_lshlrev_b32_e32 v6, 3, v6
	v_and_b32_e32 v6, 0xf8, v6
	v_and_or_b32 v6, v7, 7, v6
	s_and_b64 s[28:29], vcc, s[28:29]
	v_cndmask_b32_e64 v6, v6, 0, s[28:29]
	v_or_b32_e32 v2, v6, v2
	buffer_store_dword v2, off, s[0:3], s33 offset:240 ; 4-byte Folded Spill
.LBB6_17133:                            ;   in Loop: Header=BB6_16537 Depth=3
	s_or_b64 exec, exec, s[36:37]
                                        ; implicit-def: $vgpr2
.LBB6_17134:                            ;   in Loop: Header=BB6_16537 Depth=3
	s_andn2_saveexec_b64 s[28:29], s[34:35]
	s_cbranch_execz .LBB6_17136
; %bb.17135:                            ;   in Loop: Header=BB6_16537 Depth=3
	v_or_b32_e32 v2, 0x7e, v2
	buffer_store_dword v2, off, s[0:3], s33 offset:240 ; 4-byte Folded Spill
.LBB6_17136:                            ;   in Loop: Header=BB6_16537 Depth=3
	s_or_b64 exec, exec, s[28:29]
                                        ; implicit-def: $vgpr6
.LBB6_17137:                            ;   in Loop: Header=BB6_16537 Depth=3
	s_andn2_saveexec_b64 s[28:29], s[30:31]
	s_cbranch_execz .LBB6_17139
; %bb.17138:                            ;   in Loop: Header=BB6_16537 Depth=3
	v_or_b32_sdwa v2, v6, s86 dst_sel:DWORD dst_unused:UNUSED_PAD src0_sel:BYTE_3 src1_sel:DWORD
	buffer_store_dword v2, off, s[0:3], s33 offset:240 ; 4-byte Folded Spill
.LBB6_17139:                            ;   in Loop: Header=BB6_16537 Depth=3
	s_or_b64 exec, exec, s[28:29]
	v_cmp_lt_u32_e32 vcc, s57, v10
	v_mov_b32_e32 v2, 0
	s_and_saveexec_b64 s[28:29], vcc
	s_cbranch_execz .LBB6_17145
; %bb.17140:                            ;   in Loop: Header=BB6_16537 Depth=3
	v_lshrrev_b32_e32 v8, 24, v10
	v_cmp_ne_u32_e32 vcc, s96, v8
	v_bfrev_b32_e32 v2, 1
	s_and_saveexec_b64 s[30:31], vcc
	s_cbranch_execz .LBB6_17144
; %bb.17141:                            ;   in Loop: Header=BB6_16537 Depth=3
	v_bfe_u32 v6, v10, 24, 7
	v_cmp_ne_u32_e32 vcc, s86, v6
	v_mov_b32_e32 v2, 0x7f800001
	s_and_saveexec_b64 s[34:35], vcc
	s_cbranch_execz .LBB6_17143
; %bb.17142:                            ;   in Loop: Header=BB6_16537 Depth=3
	v_and_b32_e32 v2, 7, v8
	v_lshrrev_b32_e32 v9, 3, v6
	v_cmp_gt_u32_e32 vcc, 8, v6
	v_ffbh_u32_e32 v6, v2
	v_min_u32_e32 v12, 32, v6
	v_subrev_u32_e32 v6, 28, v12
	v_lshlrev_b64 v[6:7], v6, v[8:9]
	v_sub_u32_e32 v7, 29, v12
	v_and_b32_e32 v6, 7, v6
	v_cndmask_b32_e32 v7, v9, v7, vcc
	v_cndmask_b32_e32 v2, v2, v6, vcc
	v_lshlrev_b32_e32 v6, 24, v8
	v_bfrev_b32_e32 v8, 60
	v_lshlrev_b32_e32 v2, 20, v2
	v_and_b32_e32 v6, 0x80000000, v6
	v_lshl_add_u32 v7, v7, 23, v8
	v_or3_b32 v2, v6, v7, v2
.LBB6_17143:                            ;   in Loop: Header=BB6_16537 Depth=3
	s_or_b64 exec, exec, s[34:35]
.LBB6_17144:                            ;   in Loop: Header=BB6_16537 Depth=3
	s_or_b64 exec, exec, s[30:31]
.LBB6_17145:                            ;   in Loop: Header=BB6_16537 Depth=3
	s_or_b64 exec, exec, s[28:29]
	v_mul_f32_e32 v6, v16, v2
	v_and_b32_e32 v7, 0x7f800000, v6
	v_mov_b32_e32 v8, v51
	v_cmp_ne_u64_e32 vcc, s[76:77], v[7:8]
                                        ; implicit-def: $vgpr2
                                        ; kill: killed $vgpr2
	s_and_saveexec_b64 s[28:29], vcc
	s_xor_b64 s[30:31], exec, s[28:29]
	s_cbranch_execz .LBB6_17159
; %bb.17146:                            ;   in Loop: Header=BB6_16537 Depth=3
	v_and_b32_e32 v7, 0x7fffffff, v6
	v_mov_b32_e32 v8, v51
	v_cmp_gt_u64_e32 vcc, s[78:79], v[7:8]
	v_and_b32_sdwa v2, v6, s96 dst_sel:DWORD dst_unused:UNUSED_PAD src0_sel:BYTE_3 src1_sel:DWORD
                                        ; implicit-def: $vgpr7
                                        ; kill: killed $vgpr7
	s_and_saveexec_b64 s[28:29], vcc
	s_xor_b64 s[34:35], exec, s[28:29]
	s_cbranch_execz .LBB6_17156
; %bb.17147:                            ;   in Loop: Header=BB6_16537 Depth=3
	v_mov_b32_e32 v7, 0
	v_cmp_ne_u32_e32 vcc, 0, v6
	buffer_store_dword v7, off, s[0:3], s33 offset:256 ; 4-byte Folded Spill
	s_and_saveexec_b64 s[36:37], vcc
	s_cbranch_execz .LBB6_17155
; %bb.17148:                            ;   in Loop: Header=BB6_16537 Depth=3
	v_and_b32_e32 v8, 0x7fffff, v6
	v_bfe_u32 v6, v6, 23, 8
	v_cmp_gt_u32_e64 s[28:29], s97, v6
	v_sub_u32_e32 v7, 0x79, v6
	v_cmp_eq_u32_e32 vcc, 0, v6
	v_cndmask_b32_e64 v7, 0, v7, s[28:29]
	v_mov_b32_e32 v12, 0x78
	v_cndmask_b32_e32 v7, v7, v12, vcc
	v_add_u32_e32 v12, 20, v7
	v_or_b32_e32 v9, 0x800000, v8
	v_lshlrev_b64 v[12:13], v12, -1
	v_cndmask_b32_e32 v8, v9, v8, vcc
	v_mov_b32_e32 v9, v51
	v_add_u32_e32 v14, 19, v7
	v_bfi_b32 v12, v12, 0, v8
	v_lshlrev_b64 v[14:15], v14, 1
	v_lshrrev_b64 v[8:9], v7, v[8:9]
	v_bfi_b32 v13, v13, 0, 0
	v_cmp_eq_u64_e64 s[28:29], v[12:13], v[14:15]
	v_mov_b32_e32 v13, v9
	v_mov_b32_e32 v12, v8
	s_and_saveexec_b64 s[38:39], s[28:29]
; %bb.17149:                            ;   in Loop: Header=BB6_16537 Depth=3
	v_bfe_u32 v9, v8, 20, 1
	v_add_co_u32_e64 v9, s[28:29], v8, v9
	v_add_co_u32_e64 v12, s[28:29], -1, v9
; %bb.17150:                            ;   in Loop: Header=BB6_16537 Depth=3
	s_or_b64 exec, exec, s[38:39]
	v_add_u32_e32 v6, 0xffffff81, v6
	v_mov_b32_e32 v9, 0xffffff82
	v_cndmask_b32_e32 v6, v6, v9, vcc
	v_lshrrev_b32_e32 v9, 23, v8
	v_add3_u32 v13, v7, v6, v9
	v_add_u32_e32 v7, 6, v13
	v_and_b32_e32 v6, 0xfffff, v12
	v_add_u32_e32 v8, v6, v8
	v_mov_b32_e32 v9, v51
	v_cmp_ne_u32_e32 vcc, 0, v7
                                        ; implicit-def: $vgpr6
	s_and_saveexec_b64 s[28:29], vcc
	s_xor_b64 s[28:29], exec, s[28:29]
; %bb.17151:                            ;   in Loop: Header=BB6_16537 Depth=3
	v_cmp_lt_u64_e32 vcc, s[88:89], v[8:9]
	v_add_u32_e32 v6, 7, v13
	v_cndmask_b32_e32 v6, v7, v6, vcc
	v_cndmask_b32_e64 v7, 0, 1, vcc
	v_lshrrev_b64 v[8:9], v7, v[8:9]
; %bb.17152:                            ;   in Loop: Header=BB6_16537 Depth=3
	s_andn2_saveexec_b64 s[28:29], s[28:29]
; %bb.17153:                            ;   in Loop: Header=BB6_16537 Depth=3
	v_bfe_u32 v6, v8, 23, 1
; %bb.17154:                            ;   in Loop: Header=BB6_16537 Depth=3
	s_or_b64 exec, exec, s[28:29]
	v_lshrrev_b64 v[7:8], 20, v[8:9]
	v_cmp_gt_i32_e32 vcc, 16, v6
	v_cndmask_b32_e32 v8, 0, v8, vcc
	v_cndmask_b32_e32 v7, 7, v7, vcc
	v_cmp_eq_u32_e32 vcc, 0, v6
	v_min_i32_e32 v6, 15, v6
	v_cmp_eq_u64_e64 s[28:29], 0, v[7:8]
	v_lshlrev_b32_e32 v6, 3, v6
	v_and_b32_e32 v6, 0xf8, v6
	v_and_or_b32 v6, v7, 7, v6
	s_and_b64 s[28:29], vcc, s[28:29]
	v_cndmask_b32_e64 v6, v6, 0, s[28:29]
	v_or_b32_e32 v2, v6, v2
	buffer_store_dword v2, off, s[0:3], s33 offset:256 ; 4-byte Folded Spill
.LBB6_17155:                            ;   in Loop: Header=BB6_16537 Depth=3
	s_or_b64 exec, exec, s[36:37]
                                        ; implicit-def: $vgpr2
.LBB6_17156:                            ;   in Loop: Header=BB6_16537 Depth=3
	s_andn2_saveexec_b64 s[28:29], s[34:35]
	s_cbranch_execz .LBB6_17158
; %bb.17157:                            ;   in Loop: Header=BB6_16537 Depth=3
	v_or_b32_e32 v2, 0x7e, v2
	buffer_store_dword v2, off, s[0:3], s33 offset:256 ; 4-byte Folded Spill
.LBB6_17158:                            ;   in Loop: Header=BB6_16537 Depth=3
	s_or_b64 exec, exec, s[28:29]
                                        ; implicit-def: $vgpr6
.LBB6_17159:                            ;   in Loop: Header=BB6_16537 Depth=3
	s_andn2_saveexec_b64 s[28:29], s[30:31]
	s_cbranch_execz .LBB6_17161
; %bb.17160:                            ;   in Loop: Header=BB6_16537 Depth=3
	v_or_b32_sdwa v2, v6, s86 dst_sel:DWORD dst_unused:UNUSED_PAD src0_sel:BYTE_3 src1_sel:DWORD
	buffer_store_dword v2, off, s[0:3], s33 offset:256 ; 4-byte Folded Spill
.LBB6_17161:                            ;   in Loop: Header=BB6_16537 Depth=3
	s_or_b64 exec, exec, s[28:29]
	v_mov_b32_e32 v8, v11
	v_mov_b32_e32 v9, v51
	v_cmp_ne_u16_sdwa vcc, v11, v51 src0_sel:BYTE_0 src1_sel:DWORD
	v_mov_b32_e32 v2, 0
	s_and_saveexec_b64 s[28:29], vcc
	s_cbranch_execz .LBB6_17167
; %bb.17162:                            ;   in Loop: Header=BB6_16537 Depth=3
	v_cmp_ne_u16_sdwa vcc, v11, s96 src0_sel:BYTE_0 src1_sel:DWORD
	v_bfrev_b32_e32 v2, 1
	s_and_saveexec_b64 s[30:31], vcc
	s_cbranch_execz .LBB6_17166
; %bb.17163:                            ;   in Loop: Header=BB6_16537 Depth=3
	v_and_b32_e32 v6, 0x7f, v11
	v_cmp_ne_u32_e32 vcc, s86, v6
	v_mov_b32_e32 v2, 0x7f800001
	s_and_saveexec_b64 s[34:35], vcc
	s_cbranch_execz .LBB6_17165
; %bb.17164:                            ;   in Loop: Header=BB6_16537 Depth=3
	v_and_b32_e32 v2, 7, v11
	v_ffbh_u32_e32 v2, v2
	v_min_u32_e32 v2, 32, v2
	v_lshrrev_b32_e32 v7, 3, v6
	v_cmp_gt_u32_e32 vcc, 8, v6
	v_subrev_u32_e32 v6, 28, v2
	v_sub_u32_e32 v2, 29, v2
	v_cndmask_b32_e32 v6, 0, v6, vcc
	v_cndmask_b32_e32 v2, v7, v2, vcc
	v_lshlrev_b64 v[6:7], v6, v[8:9]
	v_lshlrev_b32_e32 v7, 24, v8
	v_lshlrev_b32_e32 v6, 20, v6
	v_bfrev_b32_e32 v9, 60
	v_and_b32_e32 v6, 0x700000, v6
	v_and_b32_e32 v7, 0x80000000, v7
	v_lshl_add_u32 v2, v2, 23, v9
	v_or3_b32 v2, v7, v2, v6
.LBB6_17165:                            ;   in Loop: Header=BB6_16537 Depth=3
	s_or_b64 exec, exec, s[34:35]
.LBB6_17166:                            ;   in Loop: Header=BB6_16537 Depth=3
	s_or_b64 exec, exec, s[30:31]
.LBB6_17167:                            ;   in Loop: Header=BB6_16537 Depth=3
	s_or_b64 exec, exec, s[28:29]
	v_mul_f32_e32 v6, v16, v2
	v_and_b32_e32 v12, 0x7f800000, v6
	v_mov_b32_e32 v13, v51
	v_cmp_ne_u64_e32 vcc, s[76:77], v[12:13]
                                        ; implicit-def: $vgpr34
	s_and_saveexec_b64 s[28:29], vcc
	s_xor_b64 s[30:31], exec, s[28:29]
	s_cbranch_execz .LBB6_17181
; %bb.17168:                            ;   in Loop: Header=BB6_16537 Depth=3
	v_and_b32_e32 v12, 0x7fffffff, v6
	v_mov_b32_e32 v13, v51
	v_cmp_gt_u64_e32 vcc, s[78:79], v[12:13]
	v_and_b32_sdwa v2, v6, s96 dst_sel:DWORD dst_unused:UNUSED_PAD src0_sel:BYTE_3 src1_sel:DWORD
                                        ; implicit-def: $vgpr34
	s_and_saveexec_b64 s[28:29], vcc
	s_xor_b64 s[34:35], exec, s[28:29]
	s_cbranch_execz .LBB6_17178
; %bb.17169:                            ;   in Loop: Header=BB6_16537 Depth=3
	v_mov_b32_e32 v34, 0
	v_cmp_ne_u32_e32 vcc, 0, v6
	s_and_saveexec_b64 s[36:37], vcc
	s_cbranch_execz .LBB6_17177
; %bb.17170:                            ;   in Loop: Header=BB6_16537 Depth=3
	v_and_b32_e32 v9, 0x7fffff, v6
	v_bfe_u32 v6, v6, 23, 8
	v_cmp_gt_u32_e64 s[28:29], s97, v6
	v_sub_u32_e32 v7, 0x79, v6
	v_cmp_eq_u32_e32 vcc, 0, v6
	v_cndmask_b32_e64 v7, 0, v7, s[28:29]
	v_mov_b32_e32 v13, 0x78
	v_or_b32_e32 v12, 0x800000, v9
	v_cndmask_b32_e32 v7, v7, v13, vcc
	v_cndmask_b32_e32 v12, v12, v9, vcc
	v_add_u32_e32 v9, 20, v7
	v_lshlrev_b64 v[14:15], v9, -1
	v_mov_b32_e32 v13, v51
	v_add_u32_e32 v9, 19, v7
	v_bfi_b32 v14, v14, 0, v12
	v_lshlrev_b64 v[17:18], v9, 1
	v_lshrrev_b64 v[12:13], v7, v[12:13]
	v_bfi_b32 v15, v15, 0, 0
	v_cmp_eq_u64_e64 s[28:29], v[14:15], v[17:18]
	v_mov_b32_e32 v14, v13
	v_mov_b32_e32 v13, v12
	s_and_saveexec_b64 s[38:39], s[28:29]
; %bb.17171:                            ;   in Loop: Header=BB6_16537 Depth=3
	v_bfe_u32 v9, v12, 20, 1
	v_add_co_u32_e64 v9, s[28:29], v12, v9
	v_add_co_u32_e64 v13, s[28:29], -1, v9
; %bb.17172:                            ;   in Loop: Header=BB6_16537 Depth=3
	s_or_b64 exec, exec, s[38:39]
	v_add_u32_e32 v6, 0xffffff81, v6
	v_mov_b32_e32 v9, 0xffffff82
	v_cndmask_b32_e32 v6, v6, v9, vcc
	v_lshrrev_b32_e32 v9, 23, v12
	v_add3_u32 v9, v7, v6, v9
	v_add_u32_e32 v7, 6, v9
	v_and_b32_e32 v6, 0xfffff, v13
	v_add_u32_e32 v12, v6, v12
	v_mov_b32_e32 v13, v51
	v_cmp_ne_u32_e32 vcc, 0, v7
                                        ; implicit-def: $vgpr6
	s_and_saveexec_b64 s[28:29], vcc
	s_xor_b64 s[28:29], exec, s[28:29]
; %bb.17173:                            ;   in Loop: Header=BB6_16537 Depth=3
	v_cmp_lt_u64_e32 vcc, s[88:89], v[12:13]
	v_add_u32_e32 v6, 7, v9
	v_cndmask_b32_e32 v6, v7, v6, vcc
	v_cndmask_b32_e64 v7, 0, 1, vcc
	v_lshrrev_b64 v[12:13], v7, v[12:13]
; %bb.17174:                            ;   in Loop: Header=BB6_16537 Depth=3
	s_andn2_saveexec_b64 s[28:29], s[28:29]
; %bb.17175:                            ;   in Loop: Header=BB6_16537 Depth=3
	v_bfe_u32 v6, v12, 23, 1
; %bb.17176:                            ;   in Loop: Header=BB6_16537 Depth=3
	s_or_b64 exec, exec, s[28:29]
	v_lshrrev_b64 v[12:13], 20, v[12:13]
	v_cmp_gt_i32_e32 vcc, 16, v6
	v_cndmask_b32_e32 v13, 0, v13, vcc
	v_cndmask_b32_e32 v12, 7, v12, vcc
	v_cmp_eq_u32_e32 vcc, 0, v6
	v_min_i32_e32 v6, 15, v6
	v_cmp_eq_u64_e64 s[28:29], 0, v[12:13]
	v_lshlrev_b32_e32 v6, 3, v6
	v_and_b32_e32 v6, 0xf8, v6
	v_and_or_b32 v6, v12, 7, v6
	s_and_b64 s[28:29], vcc, s[28:29]
	v_cndmask_b32_e64 v6, v6, 0, s[28:29]
	v_or_b32_e32 v34, v6, v2
.LBB6_17177:                            ;   in Loop: Header=BB6_16537 Depth=3
	s_or_b64 exec, exec, s[36:37]
                                        ; implicit-def: $vgpr2
.LBB6_17178:                            ;   in Loop: Header=BB6_16537 Depth=3
	s_andn2_saveexec_b64 s[28:29], s[34:35]
; %bb.17179:                            ;   in Loop: Header=BB6_16537 Depth=3
	v_or_b32_e32 v34, 0x7e, v2
; %bb.17180:                            ;   in Loop: Header=BB6_16537 Depth=3
	s_or_b64 exec, exec, s[28:29]
                                        ; implicit-def: $vgpr6
.LBB6_17181:                            ;   in Loop: Header=BB6_16537 Depth=3
	s_andn2_saveexec_b64 s[28:29], s[30:31]
; %bb.17182:                            ;   in Loop: Header=BB6_16537 Depth=3
	v_or_b32_sdwa v34, v6, s86 dst_sel:DWORD dst_unused:UNUSED_PAD src0_sel:BYTE_3 src1_sel:DWORD
; %bb.17183:                            ;   in Loop: Header=BB6_16537 Depth=3
	s_or_b64 exec, exec, s[28:29]
	v_lshrrev_b16_e32 v9, 8, v8
	v_cmp_ne_u16_e32 vcc, 0, v9
	v_mov_b32_e32 v2, 0
	s_and_saveexec_b64 s[28:29], vcc
	s_cbranch_execz .LBB6_17189
; %bb.17184:                            ;   in Loop: Header=BB6_16537 Depth=3
	v_cmp_ne_u16_e32 vcc, s96, v9
	v_bfrev_b32_e32 v2, 1
	s_and_saveexec_b64 s[30:31], vcc
	s_cbranch_execz .LBB6_17188
; %bb.17185:                            ;   in Loop: Header=BB6_16537 Depth=3
	v_and_b32_e32 v6, 0x7f, v9
	v_cmp_ne_u32_e32 vcc, s86, v6
	v_mov_b32_e32 v2, 0x7f800001
	s_and_saveexec_b64 s[34:35], vcc
	s_cbranch_execz .LBB6_17187
; %bb.17186:                            ;   in Loop: Header=BB6_16537 Depth=3
	v_and_b32_e32 v2, 7, v9
	v_lshrrev_b32_e32 v12, 3, v6
	v_cmp_gt_u32_e32 vcc, 8, v6
	v_ffbh_u32_e32 v6, v2
	v_min_u32_e32 v13, 32, v6
	v_subrev_u32_e32 v6, 28, v13
	v_lshlrev_b64 v[6:7], v6, v[9:10]
	v_sub_u32_e32 v7, 29, v13
	v_and_b32_e32 v6, 7, v6
	v_cndmask_b32_e32 v7, v12, v7, vcc
	v_cndmask_b32_e32 v2, v2, v6, vcc
	v_lshlrev_b32_e32 v6, 16, v8
	v_bfrev_b32_e32 v8, 60
	v_lshlrev_b32_e32 v2, 20, v2
	v_and_b32_e32 v6, 0x80000000, v6
	v_lshl_add_u32 v7, v7, 23, v8
	v_or3_b32 v2, v6, v7, v2
.LBB6_17187:                            ;   in Loop: Header=BB6_16537 Depth=3
	s_or_b64 exec, exec, s[34:35]
.LBB6_17188:                            ;   in Loop: Header=BB6_16537 Depth=3
	s_or_b64 exec, exec, s[30:31]
.LBB6_17189:                            ;   in Loop: Header=BB6_16537 Depth=3
	s_or_b64 exec, exec, s[28:29]
	v_mul_f32_e32 v6, v16, v2
	v_and_b32_e32 v7, 0x7f800000, v6
	v_mov_b32_e32 v8, v51
	v_cmp_ne_u64_e32 vcc, s[76:77], v[7:8]
                                        ; implicit-def: $vgpr2
                                        ; kill: killed $vgpr2
	s_and_saveexec_b64 s[28:29], vcc
	s_xor_b64 s[30:31], exec, s[28:29]
	s_cbranch_execz .LBB6_17203
; %bb.17190:                            ;   in Loop: Header=BB6_16537 Depth=3
	v_and_b32_e32 v7, 0x7fffffff, v6
	v_mov_b32_e32 v8, v51
	v_cmp_gt_u64_e32 vcc, s[78:79], v[7:8]
	v_and_b32_sdwa v2, v6, s96 dst_sel:DWORD dst_unused:UNUSED_PAD src0_sel:BYTE_3 src1_sel:DWORD
                                        ; implicit-def: $vgpr7
                                        ; kill: killed $vgpr7
	s_and_saveexec_b64 s[28:29], vcc
	s_xor_b64 s[34:35], exec, s[28:29]
	s_cbranch_execz .LBB6_17200
; %bb.17191:                            ;   in Loop: Header=BB6_16537 Depth=3
	v_mov_b32_e32 v7, 0
	v_cmp_ne_u32_e32 vcc, 0, v6
	buffer_store_dword v7, off, s[0:3], s33 offset:204 ; 4-byte Folded Spill
	s_and_saveexec_b64 s[36:37], vcc
	s_cbranch_execz .LBB6_17199
; %bb.17192:                            ;   in Loop: Header=BB6_16537 Depth=3
	v_and_b32_e32 v8, 0x7fffff, v6
	v_bfe_u32 v6, v6, 23, 8
	v_cmp_gt_u32_e64 s[28:29], s97, v6
	v_sub_u32_e32 v7, 0x79, v6
	v_cmp_eq_u32_e32 vcc, 0, v6
	v_cndmask_b32_e64 v7, 0, v7, s[28:29]
	v_mov_b32_e32 v12, 0x78
	v_cndmask_b32_e32 v7, v7, v12, vcc
	v_add_u32_e32 v12, 20, v7
	v_or_b32_e32 v9, 0x800000, v8
	v_lshlrev_b64 v[12:13], v12, -1
	v_cndmask_b32_e32 v8, v9, v8, vcc
	v_mov_b32_e32 v9, v51
	v_add_u32_e32 v14, 19, v7
	v_bfi_b32 v12, v12, 0, v8
	v_lshlrev_b64 v[14:15], v14, 1
	v_lshrrev_b64 v[8:9], v7, v[8:9]
	v_bfi_b32 v13, v13, 0, 0
	v_cmp_eq_u64_e64 s[28:29], v[12:13], v[14:15]
	v_mov_b32_e32 v13, v9
	v_mov_b32_e32 v12, v8
	s_and_saveexec_b64 s[38:39], s[28:29]
; %bb.17193:                            ;   in Loop: Header=BB6_16537 Depth=3
	v_bfe_u32 v9, v8, 20, 1
	v_add_co_u32_e64 v9, s[28:29], v8, v9
	v_add_co_u32_e64 v12, s[28:29], -1, v9
; %bb.17194:                            ;   in Loop: Header=BB6_16537 Depth=3
	s_or_b64 exec, exec, s[38:39]
	v_add_u32_e32 v6, 0xffffff81, v6
	v_mov_b32_e32 v9, 0xffffff82
	v_cndmask_b32_e32 v6, v6, v9, vcc
	v_lshrrev_b32_e32 v9, 23, v8
	v_add3_u32 v13, v7, v6, v9
	v_add_u32_e32 v7, 6, v13
	v_and_b32_e32 v6, 0xfffff, v12
	v_add_u32_e32 v8, v6, v8
	v_mov_b32_e32 v9, v51
	v_cmp_ne_u32_e32 vcc, 0, v7
                                        ; implicit-def: $vgpr6
	s_and_saveexec_b64 s[28:29], vcc
	s_xor_b64 s[28:29], exec, s[28:29]
; %bb.17195:                            ;   in Loop: Header=BB6_16537 Depth=3
	v_cmp_lt_u64_e32 vcc, s[88:89], v[8:9]
	v_add_u32_e32 v6, 7, v13
	v_cndmask_b32_e32 v6, v7, v6, vcc
	v_cndmask_b32_e64 v7, 0, 1, vcc
	v_lshrrev_b64 v[8:9], v7, v[8:9]
; %bb.17196:                            ;   in Loop: Header=BB6_16537 Depth=3
	s_andn2_saveexec_b64 s[28:29], s[28:29]
; %bb.17197:                            ;   in Loop: Header=BB6_16537 Depth=3
	v_bfe_u32 v6, v8, 23, 1
; %bb.17198:                            ;   in Loop: Header=BB6_16537 Depth=3
	s_or_b64 exec, exec, s[28:29]
	v_lshrrev_b64 v[7:8], 20, v[8:9]
	v_cmp_gt_i32_e32 vcc, 16, v6
	v_cndmask_b32_e32 v8, 0, v8, vcc
	v_cndmask_b32_e32 v7, 7, v7, vcc
	v_cmp_eq_u32_e32 vcc, 0, v6
	v_min_i32_e32 v6, 15, v6
	v_cmp_eq_u64_e64 s[28:29], 0, v[7:8]
	v_lshlrev_b32_e32 v6, 3, v6
	v_and_b32_e32 v6, 0xf8, v6
	v_and_or_b32 v6, v7, 7, v6
	s_and_b64 s[28:29], vcc, s[28:29]
	v_cndmask_b32_e64 v6, v6, 0, s[28:29]
	v_or_b32_e32 v2, v6, v2
	buffer_store_dword v2, off, s[0:3], s33 offset:204 ; 4-byte Folded Spill
.LBB6_17199:                            ;   in Loop: Header=BB6_16537 Depth=3
	s_or_b64 exec, exec, s[36:37]
                                        ; implicit-def: $vgpr2
.LBB6_17200:                            ;   in Loop: Header=BB6_16537 Depth=3
	s_andn2_saveexec_b64 s[28:29], s[34:35]
	s_cbranch_execz .LBB6_17202
; %bb.17201:                            ;   in Loop: Header=BB6_16537 Depth=3
	v_or_b32_e32 v2, 0x7e, v2
	buffer_store_dword v2, off, s[0:3], s33 offset:204 ; 4-byte Folded Spill
.LBB6_17202:                            ;   in Loop: Header=BB6_16537 Depth=3
	s_or_b64 exec, exec, s[28:29]
                                        ; implicit-def: $vgpr6
.LBB6_17203:                            ;   in Loop: Header=BB6_16537 Depth=3
	s_andn2_saveexec_b64 s[28:29], s[30:31]
	s_cbranch_execz .LBB6_17205
; %bb.17204:                            ;   in Loop: Header=BB6_16537 Depth=3
	v_or_b32_sdwa v2, v6, s86 dst_sel:DWORD dst_unused:UNUSED_PAD src0_sel:BYTE_3 src1_sel:DWORD
	buffer_store_dword v2, off, s[0:3], s33 offset:204 ; 4-byte Folded Spill
.LBB6_17205:                            ;   in Loop: Header=BB6_16537 Depth=3
	s_or_b64 exec, exec, s[28:29]
	v_lshrrev_b32_e32 v8, 16, v11
	v_cmp_ne_u16_sdwa vcc, v8, v51 src0_sel:BYTE_0 src1_sel:DWORD
	v_mov_b32_e32 v2, 0
	s_and_saveexec_b64 s[28:29], vcc
	s_cbranch_execz .LBB6_17211
; %bb.17206:                            ;   in Loop: Header=BB6_16537 Depth=3
	v_cmp_ne_u16_sdwa vcc, v8, s96 src0_sel:BYTE_0 src1_sel:DWORD
	v_bfrev_b32_e32 v2, 1
	s_and_saveexec_b64 s[30:31], vcc
	s_cbranch_execz .LBB6_17210
; %bb.17207:                            ;   in Loop: Header=BB6_16537 Depth=3
	v_bfe_u32 v6, v11, 16, 7
	v_cmp_ne_u32_e32 vcc, s86, v6
	v_mov_b32_e32 v2, 0x7f800001
	s_and_saveexec_b64 s[34:35], vcc
	s_cbranch_execz .LBB6_17209
; %bb.17208:                            ;   in Loop: Header=BB6_16537 Depth=3
	v_and_b32_e32 v2, 7, v8
	v_lshrrev_b32_e32 v9, 3, v6
	v_cmp_gt_u32_e32 vcc, 8, v6
	v_ffbh_u32_e32 v6, v2
	v_min_u32_e32 v12, 32, v6
	v_subrev_u32_e32 v6, 28, v12
	v_lshlrev_b64 v[6:7], v6, v[8:9]
	v_sub_u32_e32 v7, 29, v12
	v_and_b32_e32 v6, 7, v6
	v_cndmask_b32_e32 v7, v9, v7, vcc
	v_cndmask_b32_e32 v2, v2, v6, vcc
	v_lshlrev_b32_e32 v6, 24, v8
	v_bfrev_b32_e32 v8, 60
	v_lshlrev_b32_e32 v2, 20, v2
	v_and_b32_e32 v6, 0x80000000, v6
	v_lshl_add_u32 v7, v7, 23, v8
	v_or3_b32 v2, v6, v7, v2
.LBB6_17209:                            ;   in Loop: Header=BB6_16537 Depth=3
	s_or_b64 exec, exec, s[34:35]
.LBB6_17210:                            ;   in Loop: Header=BB6_16537 Depth=3
	s_or_b64 exec, exec, s[30:31]
.LBB6_17211:                            ;   in Loop: Header=BB6_16537 Depth=3
	s_or_b64 exec, exec, s[28:29]
	v_mul_f32_e32 v6, v16, v2
	v_and_b32_e32 v7, 0x7f800000, v6
	v_mov_b32_e32 v8, v51
	v_cmp_ne_u64_e32 vcc, s[76:77], v[7:8]
                                        ; implicit-def: $vgpr2
                                        ; kill: killed $vgpr2
	s_and_saveexec_b64 s[28:29], vcc
	s_xor_b64 s[30:31], exec, s[28:29]
	s_cbranch_execz .LBB6_17225
; %bb.17212:                            ;   in Loop: Header=BB6_16537 Depth=3
	v_and_b32_e32 v7, 0x7fffffff, v6
	v_mov_b32_e32 v8, v51
	v_cmp_gt_u64_e32 vcc, s[78:79], v[7:8]
	v_and_b32_sdwa v2, v6, s96 dst_sel:DWORD dst_unused:UNUSED_PAD src0_sel:BYTE_3 src1_sel:DWORD
                                        ; implicit-def: $vgpr7
                                        ; kill: killed $vgpr7
	s_and_saveexec_b64 s[28:29], vcc
	s_xor_b64 s[34:35], exec, s[28:29]
	s_cbranch_execz .LBB6_17222
; %bb.17213:                            ;   in Loop: Header=BB6_16537 Depth=3
	v_mov_b32_e32 v7, 0
	v_cmp_ne_u32_e32 vcc, 0, v6
	buffer_store_dword v7, off, s[0:3], s33 offset:224 ; 4-byte Folded Spill
	s_and_saveexec_b64 s[36:37], vcc
	s_cbranch_execz .LBB6_17221
; %bb.17214:                            ;   in Loop: Header=BB6_16537 Depth=3
	v_and_b32_e32 v8, 0x7fffff, v6
	v_bfe_u32 v6, v6, 23, 8
	v_cmp_gt_u32_e64 s[28:29], s97, v6
	v_sub_u32_e32 v7, 0x79, v6
	v_cmp_eq_u32_e32 vcc, 0, v6
	v_cndmask_b32_e64 v7, 0, v7, s[28:29]
	v_mov_b32_e32 v12, 0x78
	v_cndmask_b32_e32 v7, v7, v12, vcc
	v_add_u32_e32 v12, 20, v7
	v_or_b32_e32 v9, 0x800000, v8
	v_lshlrev_b64 v[12:13], v12, -1
	v_cndmask_b32_e32 v8, v9, v8, vcc
	v_mov_b32_e32 v9, v51
	v_add_u32_e32 v14, 19, v7
	v_bfi_b32 v12, v12, 0, v8
	v_lshlrev_b64 v[14:15], v14, 1
	v_lshrrev_b64 v[8:9], v7, v[8:9]
	v_bfi_b32 v13, v13, 0, 0
	v_cmp_eq_u64_e64 s[28:29], v[12:13], v[14:15]
	v_mov_b32_e32 v13, v9
	v_mov_b32_e32 v12, v8
	s_and_saveexec_b64 s[38:39], s[28:29]
; %bb.17215:                            ;   in Loop: Header=BB6_16537 Depth=3
	v_bfe_u32 v9, v8, 20, 1
	v_add_co_u32_e64 v9, s[28:29], v8, v9
	v_add_co_u32_e64 v12, s[28:29], -1, v9
; %bb.17216:                            ;   in Loop: Header=BB6_16537 Depth=3
	s_or_b64 exec, exec, s[38:39]
	v_add_u32_e32 v6, 0xffffff81, v6
	v_mov_b32_e32 v9, 0xffffff82
	v_cndmask_b32_e32 v6, v6, v9, vcc
	v_lshrrev_b32_e32 v9, 23, v8
	v_add3_u32 v13, v7, v6, v9
	v_add_u32_e32 v7, 6, v13
	v_and_b32_e32 v6, 0xfffff, v12
	v_add_u32_e32 v8, v6, v8
	v_mov_b32_e32 v9, v51
	v_cmp_ne_u32_e32 vcc, 0, v7
                                        ; implicit-def: $vgpr6
	s_and_saveexec_b64 s[28:29], vcc
	s_xor_b64 s[28:29], exec, s[28:29]
; %bb.17217:                            ;   in Loop: Header=BB6_16537 Depth=3
	v_cmp_lt_u64_e32 vcc, s[88:89], v[8:9]
	v_add_u32_e32 v6, 7, v13
	v_cndmask_b32_e32 v6, v7, v6, vcc
	v_cndmask_b32_e64 v7, 0, 1, vcc
	v_lshrrev_b64 v[8:9], v7, v[8:9]
; %bb.17218:                            ;   in Loop: Header=BB6_16537 Depth=3
	s_andn2_saveexec_b64 s[28:29], s[28:29]
; %bb.17219:                            ;   in Loop: Header=BB6_16537 Depth=3
	v_bfe_u32 v6, v8, 23, 1
; %bb.17220:                            ;   in Loop: Header=BB6_16537 Depth=3
	s_or_b64 exec, exec, s[28:29]
	v_lshrrev_b64 v[7:8], 20, v[8:9]
	v_cmp_gt_i32_e32 vcc, 16, v6
	v_cndmask_b32_e32 v8, 0, v8, vcc
	v_cndmask_b32_e32 v7, 7, v7, vcc
	v_cmp_eq_u32_e32 vcc, 0, v6
	v_min_i32_e32 v6, 15, v6
	v_cmp_eq_u64_e64 s[28:29], 0, v[7:8]
	v_lshlrev_b32_e32 v6, 3, v6
	v_and_b32_e32 v6, 0xf8, v6
	v_and_or_b32 v6, v7, 7, v6
	s_and_b64 s[28:29], vcc, s[28:29]
	v_cndmask_b32_e64 v6, v6, 0, s[28:29]
	v_or_b32_e32 v2, v6, v2
	buffer_store_dword v2, off, s[0:3], s33 offset:224 ; 4-byte Folded Spill
.LBB6_17221:                            ;   in Loop: Header=BB6_16537 Depth=3
	s_or_b64 exec, exec, s[36:37]
                                        ; implicit-def: $vgpr2
.LBB6_17222:                            ;   in Loop: Header=BB6_16537 Depth=3
	s_andn2_saveexec_b64 s[28:29], s[34:35]
	s_cbranch_execz .LBB6_17224
; %bb.17223:                            ;   in Loop: Header=BB6_16537 Depth=3
	v_or_b32_e32 v2, 0x7e, v2
	buffer_store_dword v2, off, s[0:3], s33 offset:224 ; 4-byte Folded Spill
.LBB6_17224:                            ;   in Loop: Header=BB6_16537 Depth=3
	s_or_b64 exec, exec, s[28:29]
                                        ; implicit-def: $vgpr6
.LBB6_17225:                            ;   in Loop: Header=BB6_16537 Depth=3
	s_andn2_saveexec_b64 s[28:29], s[30:31]
	s_cbranch_execz .LBB6_17227
; %bb.17226:                            ;   in Loop: Header=BB6_16537 Depth=3
	v_or_b32_sdwa v2, v6, s86 dst_sel:DWORD dst_unused:UNUSED_PAD src0_sel:BYTE_3 src1_sel:DWORD
	buffer_store_dword v2, off, s[0:3], s33 offset:224 ; 4-byte Folded Spill
.LBB6_17227:                            ;   in Loop: Header=BB6_16537 Depth=3
	s_or_b64 exec, exec, s[28:29]
	v_cmp_lt_u64_e32 vcc, s[56:57], v[10:11]
	v_mov_b32_e32 v2, 0
	s_and_saveexec_b64 s[28:29], vcc
	s_cbranch_execz .LBB6_17233
; %bb.17228:                            ;   in Loop: Header=BB6_16537 Depth=3
	v_lshrrev_b32_e32 v8, 24, v11
	v_cmp_ne_u32_e32 vcc, s96, v8
	v_bfrev_b32_e32 v2, 1
	s_and_saveexec_b64 s[30:31], vcc
	s_cbranch_execz .LBB6_17232
; %bb.17229:                            ;   in Loop: Header=BB6_16537 Depth=3
	v_bfe_u32 v6, v11, 24, 7
	v_cmp_ne_u32_e32 vcc, s86, v6
	v_mov_b32_e32 v2, 0x7f800001
	s_and_saveexec_b64 s[34:35], vcc
	s_cbranch_execz .LBB6_17231
; %bb.17230:                            ;   in Loop: Header=BB6_16537 Depth=3
	v_and_b32_e32 v2, 7, v8
	v_lshrrev_b32_e32 v9, 3, v6
	v_cmp_gt_u32_e32 vcc, 8, v6
	v_ffbh_u32_e32 v6, v2
	v_min_u32_e32 v10, 32, v6
	v_subrev_u32_e32 v6, 28, v10
	v_lshlrev_b64 v[6:7], v6, v[8:9]
	v_sub_u32_e32 v7, 29, v10
	v_and_b32_e32 v6, 7, v6
	v_cndmask_b32_e32 v7, v9, v7, vcc
	v_cndmask_b32_e32 v2, v2, v6, vcc
	v_lshlrev_b32_e32 v6, 24, v8
	v_bfrev_b32_e32 v8, 60
	v_lshlrev_b32_e32 v2, 20, v2
	v_and_b32_e32 v6, 0x80000000, v6
	v_lshl_add_u32 v7, v7, 23, v8
	v_or3_b32 v2, v6, v7, v2
.LBB6_17231:                            ;   in Loop: Header=BB6_16537 Depth=3
	s_or_b64 exec, exec, s[34:35]
.LBB6_17232:                            ;   in Loop: Header=BB6_16537 Depth=3
	s_or_b64 exec, exec, s[30:31]
.LBB6_17233:                            ;   in Loop: Header=BB6_16537 Depth=3
	s_or_b64 exec, exec, s[28:29]
	v_mul_f32_e32 v6, v16, v2
	v_and_b32_e32 v7, 0x7f800000, v6
	v_mov_b32_e32 v8, v51
	v_cmp_ne_u64_e32 vcc, s[76:77], v[7:8]
                                        ; implicit-def: $vgpr2
                                        ; kill: killed $vgpr2
	s_and_saveexec_b64 s[28:29], vcc
	s_xor_b64 s[30:31], exec, s[28:29]
	s_cbranch_execz .LBB6_17247
; %bb.17234:                            ;   in Loop: Header=BB6_16537 Depth=3
	v_and_b32_e32 v7, 0x7fffffff, v6
	v_mov_b32_e32 v8, v51
	v_cmp_gt_u64_e32 vcc, s[78:79], v[7:8]
	v_and_b32_sdwa v2, v6, s96 dst_sel:DWORD dst_unused:UNUSED_PAD src0_sel:BYTE_3 src1_sel:DWORD
                                        ; implicit-def: $vgpr7
                                        ; kill: killed $vgpr7
	s_and_saveexec_b64 s[28:29], vcc
	s_xor_b64 s[34:35], exec, s[28:29]
	s_cbranch_execz .LBB6_17244
; %bb.17235:                            ;   in Loop: Header=BB6_16537 Depth=3
	v_mov_b32_e32 v7, 0
	v_cmp_ne_u32_e32 vcc, 0, v6
	buffer_store_dword v7, off, s[0:3], s33 offset:244 ; 4-byte Folded Spill
	s_and_saveexec_b64 s[36:37], vcc
	s_cbranch_execz .LBB6_17243
; %bb.17236:                            ;   in Loop: Header=BB6_16537 Depth=3
	v_and_b32_e32 v8, 0x7fffff, v6
	v_bfe_u32 v6, v6, 23, 8
	v_cmp_gt_u32_e64 s[28:29], s97, v6
	v_sub_u32_e32 v7, 0x79, v6
	v_cmp_eq_u32_e32 vcc, 0, v6
	v_cndmask_b32_e64 v7, 0, v7, s[28:29]
	v_mov_b32_e32 v10, 0x78
	v_cndmask_b32_e32 v7, v7, v10, vcc
	v_add_u32_e32 v10, 20, v7
	v_or_b32_e32 v9, 0x800000, v8
	v_lshlrev_b64 v[10:11], v10, -1
	v_cndmask_b32_e32 v8, v9, v8, vcc
	v_mov_b32_e32 v9, v51
	v_add_u32_e32 v12, 19, v7
	v_bfi_b32 v10, v10, 0, v8
	v_lshlrev_b64 v[12:13], v12, 1
	v_lshrrev_b64 v[8:9], v7, v[8:9]
	v_bfi_b32 v11, v11, 0, 0
	v_cmp_eq_u64_e64 s[28:29], v[10:11], v[12:13]
	v_mov_b32_e32 v10, v9
	v_mov_b32_e32 v9, v8
	s_and_saveexec_b64 s[38:39], s[28:29]
; %bb.17237:                            ;   in Loop: Header=BB6_16537 Depth=3
	v_bfe_u32 v9, v8, 20, 1
	v_add_co_u32_e64 v9, s[28:29], v8, v9
	v_add_co_u32_e64 v9, s[28:29], -1, v9
; %bb.17238:                            ;   in Loop: Header=BB6_16537 Depth=3
	s_or_b64 exec, exec, s[38:39]
	v_add_u32_e32 v6, 0xffffff81, v6
	v_mov_b32_e32 v10, 0xffffff82
	v_cndmask_b32_e32 v6, v6, v10, vcc
	v_lshrrev_b32_e32 v10, 23, v8
	v_add3_u32 v10, v7, v6, v10
	v_add_u32_e32 v7, 6, v10
	v_and_b32_e32 v6, 0xfffff, v9
	v_add_u32_e32 v8, v6, v8
	v_mov_b32_e32 v9, v51
	v_cmp_ne_u32_e32 vcc, 0, v7
                                        ; implicit-def: $vgpr6
	s_and_saveexec_b64 s[28:29], vcc
	s_xor_b64 s[28:29], exec, s[28:29]
; %bb.17239:                            ;   in Loop: Header=BB6_16537 Depth=3
	v_cmp_lt_u64_e32 vcc, s[88:89], v[8:9]
	v_add_u32_e32 v6, 7, v10
	v_cndmask_b32_e32 v6, v7, v6, vcc
	v_cndmask_b32_e64 v7, 0, 1, vcc
	v_lshrrev_b64 v[8:9], v7, v[8:9]
; %bb.17240:                            ;   in Loop: Header=BB6_16537 Depth=3
	s_andn2_saveexec_b64 s[28:29], s[28:29]
; %bb.17241:                            ;   in Loop: Header=BB6_16537 Depth=3
	v_bfe_u32 v6, v8, 23, 1
; %bb.17242:                            ;   in Loop: Header=BB6_16537 Depth=3
	s_or_b64 exec, exec, s[28:29]
	v_lshrrev_b64 v[7:8], 20, v[8:9]
	v_cmp_gt_i32_e32 vcc, 16, v6
	v_cndmask_b32_e32 v8, 0, v8, vcc
	v_cndmask_b32_e32 v7, 7, v7, vcc
	v_cmp_eq_u32_e32 vcc, 0, v6
	v_min_i32_e32 v6, 15, v6
	v_cmp_eq_u64_e64 s[28:29], 0, v[7:8]
	v_lshlrev_b32_e32 v6, 3, v6
	v_and_b32_e32 v6, 0xf8, v6
	v_and_or_b32 v6, v7, 7, v6
	s_and_b64 s[28:29], vcc, s[28:29]
	v_cndmask_b32_e64 v6, v6, 0, s[28:29]
	v_or_b32_e32 v2, v6, v2
	buffer_store_dword v2, off, s[0:3], s33 offset:244 ; 4-byte Folded Spill
.LBB6_17243:                            ;   in Loop: Header=BB6_16537 Depth=3
	s_or_b64 exec, exec, s[36:37]
                                        ; implicit-def: $vgpr2
.LBB6_17244:                            ;   in Loop: Header=BB6_16537 Depth=3
	s_andn2_saveexec_b64 s[28:29], s[34:35]
	s_cbranch_execz .LBB6_17246
; %bb.17245:                            ;   in Loop: Header=BB6_16537 Depth=3
	v_or_b32_e32 v2, 0x7e, v2
	buffer_store_dword v2, off, s[0:3], s33 offset:244 ; 4-byte Folded Spill
.LBB6_17246:                            ;   in Loop: Header=BB6_16537 Depth=3
	s_or_b64 exec, exec, s[28:29]
                                        ; implicit-def: $vgpr6
.LBB6_17247:                            ;   in Loop: Header=BB6_16537 Depth=3
	s_andn2_saveexec_b64 s[28:29], s[30:31]
	s_cbranch_execz .LBB6_17249
; %bb.17248:                            ;   in Loop: Header=BB6_16537 Depth=3
	v_or_b32_sdwa v2, v6, s86 dst_sel:DWORD dst_unused:UNUSED_PAD src0_sel:BYTE_3 src1_sel:DWORD
	buffer_store_dword v2, off, s[0:3], s33 offset:244 ; 4-byte Folded Spill
.LBB6_17249:                            ;   in Loop: Header=BB6_16537 Depth=3
	s_or_b64 exec, exec, s[28:29]
	global_load_dwordx4 v[8:11], v[26:27], off offset:2048 glc slc
	v_mov_b32_e32 v2, 0
	s_waitcnt vmcnt(0)
	v_cmp_ne_u16_sdwa vcc, v8, v51 src0_sel:BYTE_0 src1_sel:DWORD
	s_and_saveexec_b64 s[28:29], vcc
	s_cbranch_execz .LBB6_17255
; %bb.17250:                            ;   in Loop: Header=BB6_16537 Depth=3
	v_cmp_ne_u16_sdwa vcc, v8, s96 src0_sel:BYTE_0 src1_sel:DWORD
	v_bfrev_b32_e32 v2, 1
	s_and_saveexec_b64 s[30:31], vcc
	s_cbranch_execz .LBB6_17254
; %bb.17251:                            ;   in Loop: Header=BB6_16537 Depth=3
	v_and_b32_e32 v6, 0x7f, v8
	v_cmp_ne_u32_e32 vcc, s86, v6
	v_mov_b32_e32 v2, 0x7f800001
	s_and_saveexec_b64 s[34:35], vcc
	s_cbranch_execz .LBB6_17253
; %bb.17252:                            ;   in Loop: Header=BB6_16537 Depth=3
	v_and_b32_e32 v2, 7, v8
	v_ffbh_u32_e32 v2, v2
	v_min_u32_e32 v2, 32, v2
	v_lshrrev_b32_e32 v7, 3, v6
	v_cmp_gt_u32_e32 vcc, 8, v6
	v_subrev_u32_e32 v6, 28, v2
	v_sub_u32_e32 v2, 29, v2
	v_cndmask_b32_e32 v6, 0, v6, vcc
	v_cndmask_b32_e32 v2, v7, v2, vcc
	v_lshlrev_b64 v[6:7], v6, v[8:9]
	v_lshlrev_b32_e32 v7, 24, v8
	v_lshlrev_b32_e32 v6, 20, v6
	v_bfrev_b32_e32 v12, 60
	v_and_b32_e32 v6, 0x700000, v6
	v_and_b32_e32 v7, 0x80000000, v7
	v_lshl_add_u32 v2, v2, 23, v12
	v_or3_b32 v2, v7, v2, v6
.LBB6_17253:                            ;   in Loop: Header=BB6_16537 Depth=3
	s_or_b64 exec, exec, s[34:35]
.LBB6_17254:                            ;   in Loop: Header=BB6_16537 Depth=3
	s_or_b64 exec, exec, s[30:31]
.LBB6_17255:                            ;   in Loop: Header=BB6_16537 Depth=3
	s_or_b64 exec, exec, s[28:29]
	v_mul_f32_e32 v6, v16, v2
	v_and_b32_e32 v12, 0x7f800000, v6
	v_mov_b32_e32 v13, v51
	v_cmp_ne_u64_e32 vcc, s[76:77], v[12:13]
                                        ; implicit-def: $vgpr36
	s_and_saveexec_b64 s[28:29], vcc
	s_xor_b64 s[30:31], exec, s[28:29]
	s_cbranch_execz .LBB6_17269
; %bb.17256:                            ;   in Loop: Header=BB6_16537 Depth=3
	v_and_b32_e32 v12, 0x7fffffff, v6
	v_mov_b32_e32 v13, v51
	v_cmp_gt_u64_e32 vcc, s[78:79], v[12:13]
	v_and_b32_sdwa v2, v6, s96 dst_sel:DWORD dst_unused:UNUSED_PAD src0_sel:BYTE_3 src1_sel:DWORD
                                        ; implicit-def: $vgpr36
	s_and_saveexec_b64 s[28:29], vcc
	s_xor_b64 s[34:35], exec, s[28:29]
	s_cbranch_execz .LBB6_17266
; %bb.17257:                            ;   in Loop: Header=BB6_16537 Depth=3
	v_mov_b32_e32 v36, 0
	v_cmp_ne_u32_e32 vcc, 0, v6
	s_and_saveexec_b64 s[36:37], vcc
	s_cbranch_execz .LBB6_17265
; %bb.17258:                            ;   in Loop: Header=BB6_16537 Depth=3
	v_and_b32_e32 v12, 0x7fffff, v6
	v_bfe_u32 v6, v6, 23, 8
	v_cmp_gt_u32_e64 s[28:29], s97, v6
	v_sub_u32_e32 v7, 0x79, v6
	v_cmp_eq_u32_e32 vcc, 0, v6
	v_cndmask_b32_e64 v7, 0, v7, s[28:29]
	v_mov_b32_e32 v14, 0x78
	v_cndmask_b32_e32 v7, v7, v14, vcc
	v_add_u32_e32 v14, 20, v7
	v_or_b32_e32 v13, 0x800000, v12
	v_lshlrev_b64 v[14:15], v14, -1
	v_cndmask_b32_e32 v12, v13, v12, vcc
	v_mov_b32_e32 v13, v51
	v_add_u32_e32 v17, 19, v7
	v_bfi_b32 v14, v14, 0, v12
	v_lshlrev_b64 v[17:18], v17, 1
	v_lshrrev_b64 v[12:13], v7, v[12:13]
	v_bfi_b32 v15, v15, 0, 0
	v_cmp_eq_u64_e64 s[28:29], v[14:15], v[17:18]
	v_mov_b32_e32 v14, v13
	v_mov_b32_e32 v13, v12
	s_and_saveexec_b64 s[38:39], s[28:29]
; %bb.17259:                            ;   in Loop: Header=BB6_16537 Depth=3
	v_bfe_u32 v13, v12, 20, 1
	v_add_co_u32_e64 v13, s[28:29], v12, v13
	v_add_co_u32_e64 v13, s[28:29], -1, v13
; %bb.17260:                            ;   in Loop: Header=BB6_16537 Depth=3
	s_or_b64 exec, exec, s[38:39]
	v_add_u32_e32 v6, 0xffffff81, v6
	v_mov_b32_e32 v14, 0xffffff82
	v_cndmask_b32_e32 v6, v6, v14, vcc
	v_lshrrev_b32_e32 v14, 23, v12
	v_add3_u32 v14, v7, v6, v14
	v_add_u32_e32 v7, 6, v14
	v_and_b32_e32 v6, 0xfffff, v13
	v_add_u32_e32 v12, v6, v12
	v_mov_b32_e32 v13, v51
	v_cmp_ne_u32_e32 vcc, 0, v7
                                        ; implicit-def: $vgpr6
	s_and_saveexec_b64 s[28:29], vcc
	s_xor_b64 s[28:29], exec, s[28:29]
; %bb.17261:                            ;   in Loop: Header=BB6_16537 Depth=3
	v_cmp_lt_u64_e32 vcc, s[88:89], v[12:13]
	v_add_u32_e32 v6, 7, v14
	v_cndmask_b32_e32 v6, v7, v6, vcc
	v_cndmask_b32_e64 v7, 0, 1, vcc
	v_lshrrev_b64 v[12:13], v7, v[12:13]
; %bb.17262:                            ;   in Loop: Header=BB6_16537 Depth=3
	s_andn2_saveexec_b64 s[28:29], s[28:29]
; %bb.17263:                            ;   in Loop: Header=BB6_16537 Depth=3
	v_bfe_u32 v6, v12, 23, 1
; %bb.17264:                            ;   in Loop: Header=BB6_16537 Depth=3
	s_or_b64 exec, exec, s[28:29]
	v_lshrrev_b64 v[12:13], 20, v[12:13]
	v_cmp_gt_i32_e32 vcc, 16, v6
	v_cndmask_b32_e32 v13, 0, v13, vcc
	v_cndmask_b32_e32 v12, 7, v12, vcc
	v_cmp_eq_u32_e32 vcc, 0, v6
	v_min_i32_e32 v6, 15, v6
	v_cmp_eq_u64_e64 s[28:29], 0, v[12:13]
	v_lshlrev_b32_e32 v6, 3, v6
	v_and_b32_e32 v6, 0xf8, v6
	v_and_or_b32 v6, v12, 7, v6
	s_and_b64 s[28:29], vcc, s[28:29]
	v_cndmask_b32_e64 v6, v6, 0, s[28:29]
	v_or_b32_e32 v36, v6, v2
.LBB6_17265:                            ;   in Loop: Header=BB6_16537 Depth=3
	s_or_b64 exec, exec, s[36:37]
                                        ; implicit-def: $vgpr2
.LBB6_17266:                            ;   in Loop: Header=BB6_16537 Depth=3
	s_andn2_saveexec_b64 s[28:29], s[34:35]
; %bb.17267:                            ;   in Loop: Header=BB6_16537 Depth=3
	v_or_b32_e32 v36, 0x7e, v2
; %bb.17268:                            ;   in Loop: Header=BB6_16537 Depth=3
	s_or_b64 exec, exec, s[28:29]
                                        ; implicit-def: $vgpr6
.LBB6_17269:                            ;   in Loop: Header=BB6_16537 Depth=3
	s_andn2_saveexec_b64 s[28:29], s[30:31]
; %bb.17270:                            ;   in Loop: Header=BB6_16537 Depth=3
	v_or_b32_sdwa v36, v6, s86 dst_sel:DWORD dst_unused:UNUSED_PAD src0_sel:BYTE_3 src1_sel:DWORD
; %bb.17271:                            ;   in Loop: Header=BB6_16537 Depth=3
	s_or_b64 exec, exec, s[28:29]
	v_lshrrev_b16_e32 v12, 8, v8
	v_cmp_ne_u16_e32 vcc, 0, v12
	v_mov_b32_e32 v2, 0
	s_and_saveexec_b64 s[28:29], vcc
	s_cbranch_execz .LBB6_17277
; %bb.17272:                            ;   in Loop: Header=BB6_16537 Depth=3
	v_cmp_ne_u16_e32 vcc, s96, v12
	v_bfrev_b32_e32 v2, 1
	s_and_saveexec_b64 s[30:31], vcc
	s_cbranch_execz .LBB6_17276
; %bb.17273:                            ;   in Loop: Header=BB6_16537 Depth=3
	v_and_b32_e32 v6, 0x7f, v12
	v_cmp_ne_u32_e32 vcc, s86, v6
	v_mov_b32_e32 v2, 0x7f800001
	s_and_saveexec_b64 s[34:35], vcc
	s_cbranch_execz .LBB6_17275
; %bb.17274:                            ;   in Loop: Header=BB6_16537 Depth=3
	v_and_b32_e32 v2, 7, v12
	v_lshrrev_b32_e32 v13, 3, v6
	v_cmp_gt_u32_e32 vcc, 8, v6
	v_ffbh_u32_e32 v6, v2
	v_min_u32_e32 v14, 32, v6
	v_subrev_u32_e32 v6, 28, v14
	v_lshlrev_b64 v[6:7], v6, v[12:13]
	v_sub_u32_e32 v7, 29, v14
	v_and_b32_e32 v6, 7, v6
	v_cndmask_b32_e32 v7, v13, v7, vcc
	v_cndmask_b32_e32 v2, v2, v6, vcc
	v_lshlrev_b32_e32 v6, 16, v8
	v_bfrev_b32_e32 v12, 60
	v_lshlrev_b32_e32 v2, 20, v2
	v_and_b32_e32 v6, 0x80000000, v6
	v_lshl_add_u32 v7, v7, 23, v12
	v_or3_b32 v2, v6, v7, v2
.LBB6_17275:                            ;   in Loop: Header=BB6_16537 Depth=3
	s_or_b64 exec, exec, s[34:35]
.LBB6_17276:                            ;   in Loop: Header=BB6_16537 Depth=3
	s_or_b64 exec, exec, s[30:31]
.LBB6_17277:                            ;   in Loop: Header=BB6_16537 Depth=3
	s_or_b64 exec, exec, s[28:29]
	v_mul_f32_e32 v6, v16, v2
	v_and_b32_e32 v12, 0x7f800000, v6
	v_mov_b32_e32 v13, v51
	v_cmp_ne_u64_e32 vcc, s[76:77], v[12:13]
                                        ; implicit-def: $vgpr44
	s_and_saveexec_b64 s[28:29], vcc
	s_xor_b64 s[30:31], exec, s[28:29]
	s_cbranch_execz .LBB6_17291
; %bb.17278:                            ;   in Loop: Header=BB6_16537 Depth=3
	v_and_b32_e32 v12, 0x7fffffff, v6
	v_mov_b32_e32 v13, v51
	v_cmp_gt_u64_e32 vcc, s[78:79], v[12:13]
	v_and_b32_sdwa v2, v6, s96 dst_sel:DWORD dst_unused:UNUSED_PAD src0_sel:BYTE_3 src1_sel:DWORD
                                        ; implicit-def: $vgpr44
	s_and_saveexec_b64 s[28:29], vcc
	s_xor_b64 s[34:35], exec, s[28:29]
	s_cbranch_execz .LBB6_17288
; %bb.17279:                            ;   in Loop: Header=BB6_16537 Depth=3
	v_mov_b32_e32 v44, 0
	v_cmp_ne_u32_e32 vcc, 0, v6
	s_and_saveexec_b64 s[36:37], vcc
	s_cbranch_execz .LBB6_17287
; %bb.17280:                            ;   in Loop: Header=BB6_16537 Depth=3
	v_and_b32_e32 v12, 0x7fffff, v6
	v_bfe_u32 v6, v6, 23, 8
	v_cmp_gt_u32_e64 s[28:29], s97, v6
	v_sub_u32_e32 v7, 0x79, v6
	v_cmp_eq_u32_e32 vcc, 0, v6
	v_cndmask_b32_e64 v7, 0, v7, s[28:29]
	v_mov_b32_e32 v14, 0x78
	v_cndmask_b32_e32 v7, v7, v14, vcc
	v_add_u32_e32 v14, 20, v7
	v_or_b32_e32 v13, 0x800000, v12
	v_lshlrev_b64 v[14:15], v14, -1
	v_cndmask_b32_e32 v12, v13, v12, vcc
	v_mov_b32_e32 v13, v51
	v_add_u32_e32 v17, 19, v7
	v_bfi_b32 v14, v14, 0, v12
	v_lshlrev_b64 v[17:18], v17, 1
	v_lshrrev_b64 v[12:13], v7, v[12:13]
	v_bfi_b32 v15, v15, 0, 0
	v_cmp_eq_u64_e64 s[28:29], v[14:15], v[17:18]
	v_mov_b32_e32 v14, v13
	v_mov_b32_e32 v13, v12
	s_and_saveexec_b64 s[38:39], s[28:29]
; %bb.17281:                            ;   in Loop: Header=BB6_16537 Depth=3
	v_bfe_u32 v13, v12, 20, 1
	v_add_co_u32_e64 v13, s[28:29], v12, v13
	v_add_co_u32_e64 v13, s[28:29], -1, v13
; %bb.17282:                            ;   in Loop: Header=BB6_16537 Depth=3
	s_or_b64 exec, exec, s[38:39]
	v_add_u32_e32 v6, 0xffffff81, v6
	v_mov_b32_e32 v14, 0xffffff82
	v_cndmask_b32_e32 v6, v6, v14, vcc
	v_lshrrev_b32_e32 v14, 23, v12
	v_add3_u32 v14, v7, v6, v14
	v_add_u32_e32 v7, 6, v14
	v_and_b32_e32 v6, 0xfffff, v13
	v_add_u32_e32 v12, v6, v12
	v_mov_b32_e32 v13, v51
	v_cmp_ne_u32_e32 vcc, 0, v7
                                        ; implicit-def: $vgpr6
	s_and_saveexec_b64 s[28:29], vcc
	s_xor_b64 s[28:29], exec, s[28:29]
; %bb.17283:                            ;   in Loop: Header=BB6_16537 Depth=3
	v_cmp_lt_u64_e32 vcc, s[88:89], v[12:13]
	v_add_u32_e32 v6, 7, v14
	v_cndmask_b32_e32 v6, v7, v6, vcc
	v_cndmask_b32_e64 v7, 0, 1, vcc
	v_lshrrev_b64 v[12:13], v7, v[12:13]
; %bb.17284:                            ;   in Loop: Header=BB6_16537 Depth=3
	s_andn2_saveexec_b64 s[28:29], s[28:29]
; %bb.17285:                            ;   in Loop: Header=BB6_16537 Depth=3
	v_bfe_u32 v6, v12, 23, 1
; %bb.17286:                            ;   in Loop: Header=BB6_16537 Depth=3
	s_or_b64 exec, exec, s[28:29]
	v_lshrrev_b64 v[12:13], 20, v[12:13]
	v_cmp_gt_i32_e32 vcc, 16, v6
	v_cndmask_b32_e32 v13, 0, v13, vcc
	v_cndmask_b32_e32 v12, 7, v12, vcc
	v_cmp_eq_u32_e32 vcc, 0, v6
	v_min_i32_e32 v6, 15, v6
	v_cmp_eq_u64_e64 s[28:29], 0, v[12:13]
	v_lshlrev_b32_e32 v6, 3, v6
	v_and_b32_e32 v6, 0xf8, v6
	v_and_or_b32 v6, v12, 7, v6
	s_and_b64 s[28:29], vcc, s[28:29]
	v_cndmask_b32_e64 v6, v6, 0, s[28:29]
	v_or_b32_e32 v44, v6, v2
.LBB6_17287:                            ;   in Loop: Header=BB6_16537 Depth=3
	s_or_b64 exec, exec, s[36:37]
                                        ; implicit-def: $vgpr2
.LBB6_17288:                            ;   in Loop: Header=BB6_16537 Depth=3
	s_andn2_saveexec_b64 s[28:29], s[34:35]
; %bb.17289:                            ;   in Loop: Header=BB6_16537 Depth=3
	v_or_b32_e32 v44, 0x7e, v2
; %bb.17290:                            ;   in Loop: Header=BB6_16537 Depth=3
	s_or_b64 exec, exec, s[28:29]
                                        ; implicit-def: $vgpr6
.LBB6_17291:                            ;   in Loop: Header=BB6_16537 Depth=3
	s_andn2_saveexec_b64 s[28:29], s[30:31]
; %bb.17292:                            ;   in Loop: Header=BB6_16537 Depth=3
	v_or_b32_sdwa v44, v6, s86 dst_sel:DWORD dst_unused:UNUSED_PAD src0_sel:BYTE_3 src1_sel:DWORD
; %bb.17293:                            ;   in Loop: Header=BB6_16537 Depth=3
	s_or_b64 exec, exec, s[28:29]
	v_lshrrev_b32_e32 v12, 16, v8
	v_cmp_ne_u16_sdwa vcc, v12, v51 src0_sel:BYTE_0 src1_sel:DWORD
	v_mov_b32_e32 v2, 0
	s_and_saveexec_b64 s[28:29], vcc
	s_cbranch_execz .LBB6_17299
; %bb.17294:                            ;   in Loop: Header=BB6_16537 Depth=3
	v_cmp_ne_u16_sdwa vcc, v12, s96 src0_sel:BYTE_0 src1_sel:DWORD
	v_bfrev_b32_e32 v2, 1
	s_and_saveexec_b64 s[30:31], vcc
	s_cbranch_execz .LBB6_17298
; %bb.17295:                            ;   in Loop: Header=BB6_16537 Depth=3
	v_bfe_u32 v6, v8, 16, 7
	v_cmp_ne_u32_e32 vcc, s86, v6
	v_mov_b32_e32 v2, 0x7f800001
	s_and_saveexec_b64 s[34:35], vcc
	s_cbranch_execz .LBB6_17297
; %bb.17296:                            ;   in Loop: Header=BB6_16537 Depth=3
	v_and_b32_e32 v2, 7, v12
	v_lshrrev_b32_e32 v13, 3, v6
	v_cmp_gt_u32_e32 vcc, 8, v6
	v_ffbh_u32_e32 v6, v2
	v_min_u32_e32 v14, 32, v6
	v_subrev_u32_e32 v6, 28, v14
	v_lshlrev_b64 v[6:7], v6, v[12:13]
	v_sub_u32_e32 v7, 29, v14
	v_and_b32_e32 v6, 7, v6
	v_cndmask_b32_e32 v7, v13, v7, vcc
	v_cndmask_b32_e32 v2, v2, v6, vcc
	v_lshlrev_b32_e32 v6, 24, v12
	v_bfrev_b32_e32 v12, 60
	v_lshlrev_b32_e32 v2, 20, v2
	v_and_b32_e32 v6, 0x80000000, v6
	v_lshl_add_u32 v7, v7, 23, v12
	v_or3_b32 v2, v6, v7, v2
.LBB6_17297:                            ;   in Loop: Header=BB6_16537 Depth=3
	s_or_b64 exec, exec, s[34:35]
.LBB6_17298:                            ;   in Loop: Header=BB6_16537 Depth=3
	s_or_b64 exec, exec, s[30:31]
.LBB6_17299:                            ;   in Loop: Header=BB6_16537 Depth=3
	s_or_b64 exec, exec, s[28:29]
	v_mul_f32_e32 v6, v16, v2
	v_and_b32_e32 v12, 0x7f800000, v6
	v_mov_b32_e32 v13, v51
	v_cmp_ne_u64_e32 vcc, s[76:77], v[12:13]
                                        ; implicit-def: $vgpr2
                                        ; kill: killed $vgpr2
	s_and_saveexec_b64 s[28:29], vcc
	s_xor_b64 s[30:31], exec, s[28:29]
	s_cbranch_execz .LBB6_17313
; %bb.17300:                            ;   in Loop: Header=BB6_16537 Depth=3
	v_and_b32_e32 v12, 0x7fffffff, v6
	v_mov_b32_e32 v13, v51
	v_cmp_gt_u64_e32 vcc, s[78:79], v[12:13]
	v_and_b32_sdwa v2, v6, s96 dst_sel:DWORD dst_unused:UNUSED_PAD src0_sel:BYTE_3 src1_sel:DWORD
                                        ; implicit-def: $vgpr7
                                        ; kill: killed $vgpr7
	s_and_saveexec_b64 s[28:29], vcc
	s_xor_b64 s[34:35], exec, s[28:29]
	s_cbranch_execz .LBB6_17310
; %bb.17301:                            ;   in Loop: Header=BB6_16537 Depth=3
	v_mov_b32_e32 v7, 0
	v_cmp_ne_u32_e32 vcc, 0, v6
	buffer_store_dword v7, off, s[0:3], s33 offset:208 ; 4-byte Folded Spill
	s_and_saveexec_b64 s[36:37], vcc
	s_cbranch_execz .LBB6_17309
; %bb.17302:                            ;   in Loop: Header=BB6_16537 Depth=3
	v_and_b32_e32 v12, 0x7fffff, v6
	v_bfe_u32 v6, v6, 23, 8
	v_cmp_gt_u32_e64 s[28:29], s97, v6
	v_sub_u32_e32 v7, 0x79, v6
	v_cmp_eq_u32_e32 vcc, 0, v6
	v_cndmask_b32_e64 v7, 0, v7, s[28:29]
	v_mov_b32_e32 v14, 0x78
	v_cndmask_b32_e32 v7, v7, v14, vcc
	v_add_u32_e32 v14, 20, v7
	v_or_b32_e32 v13, 0x800000, v12
	v_lshlrev_b64 v[14:15], v14, -1
	v_cndmask_b32_e32 v12, v13, v12, vcc
	v_mov_b32_e32 v13, v51
	v_add_u32_e32 v17, 19, v7
	v_bfi_b32 v14, v14, 0, v12
	v_lshlrev_b64 v[17:18], v17, 1
	v_lshrrev_b64 v[12:13], v7, v[12:13]
	v_bfi_b32 v15, v15, 0, 0
	v_cmp_eq_u64_e64 s[28:29], v[14:15], v[17:18]
	v_mov_b32_e32 v14, v13
	v_mov_b32_e32 v13, v12
	s_and_saveexec_b64 s[38:39], s[28:29]
; %bb.17303:                            ;   in Loop: Header=BB6_16537 Depth=3
	v_bfe_u32 v13, v12, 20, 1
	v_add_co_u32_e64 v13, s[28:29], v12, v13
	v_add_co_u32_e64 v13, s[28:29], -1, v13
; %bb.17304:                            ;   in Loop: Header=BB6_16537 Depth=3
	s_or_b64 exec, exec, s[38:39]
	v_add_u32_e32 v6, 0xffffff81, v6
	v_mov_b32_e32 v14, 0xffffff82
	v_cndmask_b32_e32 v6, v6, v14, vcc
	v_lshrrev_b32_e32 v14, 23, v12
	v_add3_u32 v14, v7, v6, v14
	v_add_u32_e32 v7, 6, v14
	v_and_b32_e32 v6, 0xfffff, v13
	v_add_u32_e32 v12, v6, v12
	v_mov_b32_e32 v13, v51
	v_cmp_ne_u32_e32 vcc, 0, v7
                                        ; implicit-def: $vgpr6
	s_and_saveexec_b64 s[28:29], vcc
	s_xor_b64 s[28:29], exec, s[28:29]
; %bb.17305:                            ;   in Loop: Header=BB6_16537 Depth=3
	v_cmp_lt_u64_e32 vcc, s[88:89], v[12:13]
	v_add_u32_e32 v6, 7, v14
	v_cndmask_b32_e32 v6, v7, v6, vcc
	v_cndmask_b32_e64 v7, 0, 1, vcc
	v_lshrrev_b64 v[12:13], v7, v[12:13]
; %bb.17306:                            ;   in Loop: Header=BB6_16537 Depth=3
	s_andn2_saveexec_b64 s[28:29], s[28:29]
; %bb.17307:                            ;   in Loop: Header=BB6_16537 Depth=3
	v_bfe_u32 v6, v12, 23, 1
; %bb.17308:                            ;   in Loop: Header=BB6_16537 Depth=3
	s_or_b64 exec, exec, s[28:29]
	v_lshrrev_b64 v[12:13], 20, v[12:13]
	v_cmp_gt_i32_e32 vcc, 16, v6
	v_cndmask_b32_e32 v13, 0, v13, vcc
	v_cndmask_b32_e32 v12, 7, v12, vcc
	v_cmp_eq_u32_e32 vcc, 0, v6
	v_min_i32_e32 v6, 15, v6
	v_cmp_eq_u64_e64 s[28:29], 0, v[12:13]
	v_lshlrev_b32_e32 v6, 3, v6
	v_and_b32_e32 v6, 0xf8, v6
	v_and_or_b32 v6, v12, 7, v6
	s_and_b64 s[28:29], vcc, s[28:29]
	v_cndmask_b32_e64 v6, v6, 0, s[28:29]
	v_or_b32_e32 v2, v6, v2
	buffer_store_dword v2, off, s[0:3], s33 offset:208 ; 4-byte Folded Spill
.LBB6_17309:                            ;   in Loop: Header=BB6_16537 Depth=3
	s_or_b64 exec, exec, s[36:37]
                                        ; implicit-def: $vgpr2
.LBB6_17310:                            ;   in Loop: Header=BB6_16537 Depth=3
	s_andn2_saveexec_b64 s[28:29], s[34:35]
	s_cbranch_execz .LBB6_17312
; %bb.17311:                            ;   in Loop: Header=BB6_16537 Depth=3
	v_or_b32_e32 v2, 0x7e, v2
	buffer_store_dword v2, off, s[0:3], s33 offset:208 ; 4-byte Folded Spill
.LBB6_17312:                            ;   in Loop: Header=BB6_16537 Depth=3
	s_or_b64 exec, exec, s[28:29]
                                        ; implicit-def: $vgpr6
.LBB6_17313:                            ;   in Loop: Header=BB6_16537 Depth=3
	s_andn2_saveexec_b64 s[28:29], s[30:31]
	s_cbranch_execz .LBB6_17315
; %bb.17314:                            ;   in Loop: Header=BB6_16537 Depth=3
	v_or_b32_sdwa v2, v6, s86 dst_sel:DWORD dst_unused:UNUSED_PAD src0_sel:BYTE_3 src1_sel:DWORD
	buffer_store_dword v2, off, s[0:3], s33 offset:208 ; 4-byte Folded Spill
.LBB6_17315:                            ;   in Loop: Header=BB6_16537 Depth=3
	s_or_b64 exec, exec, s[28:29]
	v_cmp_lt_u32_e32 vcc, s57, v8
	v_mov_b32_e32 v2, 0
	s_and_saveexec_b64 s[28:29], vcc
	s_cbranch_execz .LBB6_17321
; %bb.17316:                            ;   in Loop: Header=BB6_16537 Depth=3
	v_lshrrev_b32_e32 v12, 24, v8
	v_cmp_ne_u32_e32 vcc, s96, v12
	v_bfrev_b32_e32 v2, 1
	s_and_saveexec_b64 s[30:31], vcc
	s_cbranch_execz .LBB6_17320
; %bb.17317:                            ;   in Loop: Header=BB6_16537 Depth=3
	v_bfe_u32 v6, v8, 24, 7
	v_cmp_ne_u32_e32 vcc, s86, v6
	v_mov_b32_e32 v2, 0x7f800001
	s_and_saveexec_b64 s[34:35], vcc
	s_cbranch_execz .LBB6_17319
; %bb.17318:                            ;   in Loop: Header=BB6_16537 Depth=3
	v_and_b32_e32 v2, 7, v12
	v_lshrrev_b32_e32 v13, 3, v6
	v_cmp_gt_u32_e32 vcc, 8, v6
	v_ffbh_u32_e32 v6, v2
	v_min_u32_e32 v14, 32, v6
	v_subrev_u32_e32 v6, 28, v14
	v_lshlrev_b64 v[6:7], v6, v[12:13]
	v_sub_u32_e32 v7, 29, v14
	v_and_b32_e32 v6, 7, v6
	v_cndmask_b32_e32 v7, v13, v7, vcc
	v_cndmask_b32_e32 v2, v2, v6, vcc
	v_lshlrev_b32_e32 v6, 24, v12
	v_bfrev_b32_e32 v12, 60
	v_lshlrev_b32_e32 v2, 20, v2
	v_and_b32_e32 v6, 0x80000000, v6
	v_lshl_add_u32 v7, v7, 23, v12
	v_or3_b32 v2, v6, v7, v2
.LBB6_17319:                            ;   in Loop: Header=BB6_16537 Depth=3
	s_or_b64 exec, exec, s[34:35]
.LBB6_17320:                            ;   in Loop: Header=BB6_16537 Depth=3
	s_or_b64 exec, exec, s[30:31]
.LBB6_17321:                            ;   in Loop: Header=BB6_16537 Depth=3
	s_or_b64 exec, exec, s[28:29]
	v_mul_f32_e32 v6, v16, v2
	v_and_b32_e32 v12, 0x7f800000, v6
	v_mov_b32_e32 v13, v51
	v_cmp_ne_u64_e32 vcc, s[76:77], v[12:13]
                                        ; implicit-def: $vgpr2
                                        ; kill: killed $vgpr2
	s_and_saveexec_b64 s[28:29], vcc
	s_xor_b64 s[30:31], exec, s[28:29]
	s_cbranch_execz .LBB6_17335
; %bb.17322:                            ;   in Loop: Header=BB6_16537 Depth=3
	v_and_b32_e32 v12, 0x7fffffff, v6
	v_mov_b32_e32 v13, v51
	v_cmp_gt_u64_e32 vcc, s[78:79], v[12:13]
	v_and_b32_sdwa v2, v6, s96 dst_sel:DWORD dst_unused:UNUSED_PAD src0_sel:BYTE_3 src1_sel:DWORD
                                        ; implicit-def: $vgpr7
                                        ; kill: killed $vgpr7
	s_and_saveexec_b64 s[28:29], vcc
	s_xor_b64 s[34:35], exec, s[28:29]
	s_cbranch_execz .LBB6_17332
; %bb.17323:                            ;   in Loop: Header=BB6_16537 Depth=3
	v_mov_b32_e32 v7, 0
	v_cmp_ne_u32_e32 vcc, 0, v6
	buffer_store_dword v7, off, s[0:3], s33 offset:228 ; 4-byte Folded Spill
	s_and_saveexec_b64 s[36:37], vcc
	s_cbranch_execz .LBB6_17331
; %bb.17324:                            ;   in Loop: Header=BB6_16537 Depth=3
	v_and_b32_e32 v12, 0x7fffff, v6
	v_bfe_u32 v6, v6, 23, 8
	v_cmp_gt_u32_e64 s[28:29], s97, v6
	v_sub_u32_e32 v7, 0x79, v6
	v_cmp_eq_u32_e32 vcc, 0, v6
	v_cndmask_b32_e64 v7, 0, v7, s[28:29]
	v_mov_b32_e32 v14, 0x78
	v_cndmask_b32_e32 v7, v7, v14, vcc
	v_add_u32_e32 v14, 20, v7
	v_or_b32_e32 v13, 0x800000, v12
	v_lshlrev_b64 v[14:15], v14, -1
	v_cndmask_b32_e32 v12, v13, v12, vcc
	v_mov_b32_e32 v13, v51
	v_add_u32_e32 v17, 19, v7
	v_bfi_b32 v14, v14, 0, v12
	v_lshlrev_b64 v[17:18], v17, 1
	v_lshrrev_b64 v[12:13], v7, v[12:13]
	v_bfi_b32 v15, v15, 0, 0
	v_cmp_eq_u64_e64 s[28:29], v[14:15], v[17:18]
	v_mov_b32_e32 v14, v13
	v_mov_b32_e32 v13, v12
	s_and_saveexec_b64 s[38:39], s[28:29]
; %bb.17325:                            ;   in Loop: Header=BB6_16537 Depth=3
	v_bfe_u32 v13, v12, 20, 1
	v_add_co_u32_e64 v13, s[28:29], v12, v13
	v_add_co_u32_e64 v13, s[28:29], -1, v13
; %bb.17326:                            ;   in Loop: Header=BB6_16537 Depth=3
	s_or_b64 exec, exec, s[38:39]
	v_add_u32_e32 v6, 0xffffff81, v6
	v_mov_b32_e32 v14, 0xffffff82
	v_cndmask_b32_e32 v6, v6, v14, vcc
	v_lshrrev_b32_e32 v14, 23, v12
	v_add3_u32 v14, v7, v6, v14
	v_add_u32_e32 v7, 6, v14
	v_and_b32_e32 v6, 0xfffff, v13
	v_add_u32_e32 v12, v6, v12
	v_mov_b32_e32 v13, v51
	v_cmp_ne_u32_e32 vcc, 0, v7
                                        ; implicit-def: $vgpr6
	s_and_saveexec_b64 s[28:29], vcc
	s_xor_b64 s[28:29], exec, s[28:29]
; %bb.17327:                            ;   in Loop: Header=BB6_16537 Depth=3
	v_cmp_lt_u64_e32 vcc, s[88:89], v[12:13]
	v_add_u32_e32 v6, 7, v14
	v_cndmask_b32_e32 v6, v7, v6, vcc
	v_cndmask_b32_e64 v7, 0, 1, vcc
	v_lshrrev_b64 v[12:13], v7, v[12:13]
; %bb.17328:                            ;   in Loop: Header=BB6_16537 Depth=3
	s_andn2_saveexec_b64 s[28:29], s[28:29]
; %bb.17329:                            ;   in Loop: Header=BB6_16537 Depth=3
	v_bfe_u32 v6, v12, 23, 1
; %bb.17330:                            ;   in Loop: Header=BB6_16537 Depth=3
	s_or_b64 exec, exec, s[28:29]
	v_lshrrev_b64 v[12:13], 20, v[12:13]
	v_cmp_gt_i32_e32 vcc, 16, v6
	v_cndmask_b32_e32 v13, 0, v13, vcc
	v_cndmask_b32_e32 v12, 7, v12, vcc
	v_cmp_eq_u32_e32 vcc, 0, v6
	v_min_i32_e32 v6, 15, v6
	v_cmp_eq_u64_e64 s[28:29], 0, v[12:13]
	v_lshlrev_b32_e32 v6, 3, v6
	v_and_b32_e32 v6, 0xf8, v6
	v_and_or_b32 v6, v12, 7, v6
	s_and_b64 s[28:29], vcc, s[28:29]
	v_cndmask_b32_e64 v6, v6, 0, s[28:29]
	v_or_b32_e32 v2, v6, v2
	buffer_store_dword v2, off, s[0:3], s33 offset:228 ; 4-byte Folded Spill
.LBB6_17331:                            ;   in Loop: Header=BB6_16537 Depth=3
	s_or_b64 exec, exec, s[36:37]
                                        ; implicit-def: $vgpr2
.LBB6_17332:                            ;   in Loop: Header=BB6_16537 Depth=3
	s_andn2_saveexec_b64 s[28:29], s[34:35]
	s_cbranch_execz .LBB6_17334
; %bb.17333:                            ;   in Loop: Header=BB6_16537 Depth=3
	v_or_b32_e32 v2, 0x7e, v2
	buffer_store_dword v2, off, s[0:3], s33 offset:228 ; 4-byte Folded Spill
.LBB6_17334:                            ;   in Loop: Header=BB6_16537 Depth=3
	s_or_b64 exec, exec, s[28:29]
                                        ; implicit-def: $vgpr6
.LBB6_17335:                            ;   in Loop: Header=BB6_16537 Depth=3
	s_andn2_saveexec_b64 s[28:29], s[30:31]
	s_cbranch_execz .LBB6_17337
; %bb.17336:                            ;   in Loop: Header=BB6_16537 Depth=3
	v_or_b32_sdwa v2, v6, s86 dst_sel:DWORD dst_unused:UNUSED_PAD src0_sel:BYTE_3 src1_sel:DWORD
	buffer_store_dword v2, off, s[0:3], s33 offset:228 ; 4-byte Folded Spill
.LBB6_17337:                            ;   in Loop: Header=BB6_16537 Depth=3
	s_or_b64 exec, exec, s[28:29]
	v_mov_b32_e32 v12, v9
	v_mov_b32_e32 v13, v51
	v_cmp_ne_u16_sdwa vcc, v9, v51 src0_sel:BYTE_0 src1_sel:DWORD
	v_mov_b32_e32 v2, 0
	s_and_saveexec_b64 s[28:29], vcc
	s_cbranch_execz .LBB6_17343
; %bb.17338:                            ;   in Loop: Header=BB6_16537 Depth=3
	v_cmp_ne_u16_sdwa vcc, v9, s96 src0_sel:BYTE_0 src1_sel:DWORD
	v_bfrev_b32_e32 v2, 1
	s_and_saveexec_b64 s[30:31], vcc
	s_cbranch_execz .LBB6_17342
; %bb.17339:                            ;   in Loop: Header=BB6_16537 Depth=3
	v_and_b32_e32 v6, 0x7f, v9
	v_cmp_ne_u32_e32 vcc, s86, v6
	v_mov_b32_e32 v2, 0x7f800001
	s_and_saveexec_b64 s[34:35], vcc
	s_cbranch_execz .LBB6_17341
; %bb.17340:                            ;   in Loop: Header=BB6_16537 Depth=3
	v_and_b32_e32 v2, 7, v9
	v_ffbh_u32_e32 v2, v2
	v_min_u32_e32 v2, 32, v2
	v_lshrrev_b32_e32 v7, 3, v6
	v_cmp_gt_u32_e32 vcc, 8, v6
	v_subrev_u32_e32 v6, 28, v2
	v_sub_u32_e32 v2, 29, v2
	v_cndmask_b32_e32 v6, 0, v6, vcc
	v_cndmask_b32_e32 v2, v7, v2, vcc
	v_lshlrev_b64 v[6:7], v6, v[12:13]
	v_lshlrev_b32_e32 v7, 24, v12
	v_lshlrev_b32_e32 v6, 20, v6
	v_bfrev_b32_e32 v13, 60
	v_and_b32_e32 v6, 0x700000, v6
	v_and_b32_e32 v7, 0x80000000, v7
	v_lshl_add_u32 v2, v2, 23, v13
	v_or3_b32 v2, v7, v2, v6
.LBB6_17341:                            ;   in Loop: Header=BB6_16537 Depth=3
	s_or_b64 exec, exec, s[34:35]
.LBB6_17342:                            ;   in Loop: Header=BB6_16537 Depth=3
	s_or_b64 exec, exec, s[30:31]
.LBB6_17343:                            ;   in Loop: Header=BB6_16537 Depth=3
	s_or_b64 exec, exec, s[28:29]
	v_mul_f32_e32 v6, v16, v2
	v_and_b32_e32 v13, 0x7f800000, v6
	v_mov_b32_e32 v14, v51
	v_cmp_ne_u64_e32 vcc, s[76:77], v[13:14]
                                        ; implicit-def: $vgpr30
	s_and_saveexec_b64 s[28:29], vcc
	s_xor_b64 s[30:31], exec, s[28:29]
	s_cbranch_execz .LBB6_17357
; %bb.17344:                            ;   in Loop: Header=BB6_16537 Depth=3
	v_and_b32_e32 v13, 0x7fffffff, v6
	v_mov_b32_e32 v14, v51
	v_cmp_gt_u64_e32 vcc, s[78:79], v[13:14]
	v_and_b32_sdwa v2, v6, s96 dst_sel:DWORD dst_unused:UNUSED_PAD src0_sel:BYTE_3 src1_sel:DWORD
                                        ; implicit-def: $vgpr30
	s_and_saveexec_b64 s[28:29], vcc
	s_xor_b64 s[34:35], exec, s[28:29]
	s_cbranch_execz .LBB6_17354
; %bb.17345:                            ;   in Loop: Header=BB6_16537 Depth=3
	v_mov_b32_e32 v30, 0
	v_cmp_ne_u32_e32 vcc, 0, v6
	s_and_saveexec_b64 s[36:37], vcc
	s_cbranch_execz .LBB6_17353
; %bb.17346:                            ;   in Loop: Header=BB6_16537 Depth=3
	v_and_b32_e32 v13, 0x7fffff, v6
	v_bfe_u32 v6, v6, 23, 8
	v_cmp_gt_u32_e64 s[28:29], s97, v6
	v_sub_u32_e32 v7, 0x79, v6
	v_cmp_eq_u32_e32 vcc, 0, v6
	v_cndmask_b32_e64 v7, 0, v7, s[28:29]
	v_mov_b32_e32 v15, 0x78
	v_cndmask_b32_e32 v7, v7, v15, vcc
	v_add_u32_e32 v15, 20, v7
	v_or_b32_e32 v14, 0x800000, v13
	v_lshlrev_b64 v[17:18], v15, -1
	v_cndmask_b32_e32 v13, v14, v13, vcc
	v_mov_b32_e32 v14, v51
	v_add_u32_e32 v15, 19, v7
	v_bfi_b32 v17, v17, 0, v13
	v_lshlrev_b64 v[19:20], v15, 1
	v_lshrrev_b64 v[13:14], v7, v[13:14]
	v_bfi_b32 v18, v18, 0, 0
	v_cmp_eq_u64_e64 s[28:29], v[17:18], v[19:20]
	v_mov_b32_e32 v15, v14
	v_mov_b32_e32 v14, v13
	s_and_saveexec_b64 s[38:39], s[28:29]
; %bb.17347:                            ;   in Loop: Header=BB6_16537 Depth=3
	v_bfe_u32 v14, v13, 20, 1
	v_add_co_u32_e64 v14, s[28:29], v13, v14
	v_add_co_u32_e64 v14, s[28:29], -1, v14
; %bb.17348:                            ;   in Loop: Header=BB6_16537 Depth=3
	s_or_b64 exec, exec, s[38:39]
	v_add_u32_e32 v6, 0xffffff81, v6
	v_mov_b32_e32 v15, 0xffffff82
	v_cndmask_b32_e32 v6, v6, v15, vcc
	v_lshrrev_b32_e32 v15, 23, v13
	v_add3_u32 v15, v7, v6, v15
	v_add_u32_e32 v7, 6, v15
	v_and_b32_e32 v6, 0xfffff, v14
	v_add_u32_e32 v13, v6, v13
	v_mov_b32_e32 v14, v51
	v_cmp_ne_u32_e32 vcc, 0, v7
                                        ; implicit-def: $vgpr6
	s_and_saveexec_b64 s[28:29], vcc
	s_xor_b64 s[28:29], exec, s[28:29]
; %bb.17349:                            ;   in Loop: Header=BB6_16537 Depth=3
	v_cmp_lt_u64_e32 vcc, s[88:89], v[13:14]
	v_add_u32_e32 v6, 7, v15
	v_cndmask_b32_e32 v6, v7, v6, vcc
	v_cndmask_b32_e64 v7, 0, 1, vcc
	v_lshrrev_b64 v[13:14], v7, v[13:14]
; %bb.17350:                            ;   in Loop: Header=BB6_16537 Depth=3
	s_andn2_saveexec_b64 s[28:29], s[28:29]
; %bb.17351:                            ;   in Loop: Header=BB6_16537 Depth=3
	v_bfe_u32 v6, v13, 23, 1
; %bb.17352:                            ;   in Loop: Header=BB6_16537 Depth=3
	s_or_b64 exec, exec, s[28:29]
	v_lshrrev_b64 v[13:14], 20, v[13:14]
	v_cmp_gt_i32_e32 vcc, 16, v6
	v_cndmask_b32_e32 v14, 0, v14, vcc
	v_cndmask_b32_e32 v13, 7, v13, vcc
	v_cmp_eq_u32_e32 vcc, 0, v6
	v_min_i32_e32 v6, 15, v6
	v_cmp_eq_u64_e64 s[28:29], 0, v[13:14]
	v_lshlrev_b32_e32 v6, 3, v6
	v_and_b32_e32 v6, 0xf8, v6
	v_and_or_b32 v6, v13, 7, v6
	s_and_b64 s[28:29], vcc, s[28:29]
	v_cndmask_b32_e64 v6, v6, 0, s[28:29]
	v_or_b32_e32 v30, v6, v2
.LBB6_17353:                            ;   in Loop: Header=BB6_16537 Depth=3
	s_or_b64 exec, exec, s[36:37]
                                        ; implicit-def: $vgpr2
.LBB6_17354:                            ;   in Loop: Header=BB6_16537 Depth=3
	s_andn2_saveexec_b64 s[28:29], s[34:35]
; %bb.17355:                            ;   in Loop: Header=BB6_16537 Depth=3
	v_or_b32_e32 v30, 0x7e, v2
; %bb.17356:                            ;   in Loop: Header=BB6_16537 Depth=3
	s_or_b64 exec, exec, s[28:29]
                                        ; implicit-def: $vgpr6
.LBB6_17357:                            ;   in Loop: Header=BB6_16537 Depth=3
	s_andn2_saveexec_b64 s[28:29], s[30:31]
; %bb.17358:                            ;   in Loop: Header=BB6_16537 Depth=3
	v_or_b32_sdwa v30, v6, s86 dst_sel:DWORD dst_unused:UNUSED_PAD src0_sel:BYTE_3 src1_sel:DWORD
; %bb.17359:                            ;   in Loop: Header=BB6_16537 Depth=3
	s_or_b64 exec, exec, s[28:29]
	v_lshrrev_b16_e32 v13, 8, v12
	v_cmp_ne_u16_e32 vcc, 0, v13
	v_mov_b32_e32 v2, 0
	s_and_saveexec_b64 s[28:29], vcc
	s_cbranch_execz .LBB6_17365
; %bb.17360:                            ;   in Loop: Header=BB6_16537 Depth=3
	v_cmp_ne_u16_e32 vcc, s96, v13
	v_bfrev_b32_e32 v2, 1
	s_and_saveexec_b64 s[30:31], vcc
	s_cbranch_execz .LBB6_17364
; %bb.17361:                            ;   in Loop: Header=BB6_16537 Depth=3
	v_and_b32_e32 v6, 0x7f, v13
	v_cmp_ne_u32_e32 vcc, s86, v6
	v_mov_b32_e32 v2, 0x7f800001
	s_and_saveexec_b64 s[34:35], vcc
	s_cbranch_execz .LBB6_17363
; %bb.17362:                            ;   in Loop: Header=BB6_16537 Depth=3
	v_and_b32_e32 v2, 7, v13
	v_lshrrev_b32_e32 v14, 3, v6
	v_cmp_gt_u32_e32 vcc, 8, v6
	v_ffbh_u32_e32 v6, v2
	v_min_u32_e32 v15, 32, v6
	v_subrev_u32_e32 v6, 28, v15
	v_lshlrev_b64 v[6:7], v6, v[13:14]
	v_sub_u32_e32 v7, 29, v15
	v_and_b32_e32 v6, 7, v6
	v_cndmask_b32_e32 v7, v14, v7, vcc
	v_cndmask_b32_e32 v2, v2, v6, vcc
	v_lshlrev_b32_e32 v6, 16, v12
	v_bfrev_b32_e32 v12, 60
	v_lshlrev_b32_e32 v2, 20, v2
	v_and_b32_e32 v6, 0x80000000, v6
	v_lshl_add_u32 v7, v7, 23, v12
	v_or3_b32 v2, v6, v7, v2
.LBB6_17363:                            ;   in Loop: Header=BB6_16537 Depth=3
	s_or_b64 exec, exec, s[34:35]
.LBB6_17364:                            ;   in Loop: Header=BB6_16537 Depth=3
	s_or_b64 exec, exec, s[30:31]
.LBB6_17365:                            ;   in Loop: Header=BB6_16537 Depth=3
	s_or_b64 exec, exec, s[28:29]
	v_mul_f32_e32 v6, v16, v2
	v_and_b32_e32 v12, 0x7f800000, v6
	v_mov_b32_e32 v13, v51
	v_cmp_ne_u64_e32 vcc, s[76:77], v[12:13]
                                        ; implicit-def: $vgpr43
	s_and_saveexec_b64 s[28:29], vcc
	s_xor_b64 s[30:31], exec, s[28:29]
	s_cbranch_execz .LBB6_17379
; %bb.17366:                            ;   in Loop: Header=BB6_16537 Depth=3
	v_and_b32_e32 v12, 0x7fffffff, v6
	v_mov_b32_e32 v13, v51
	v_cmp_gt_u64_e32 vcc, s[78:79], v[12:13]
	v_and_b32_sdwa v2, v6, s96 dst_sel:DWORD dst_unused:UNUSED_PAD src0_sel:BYTE_3 src1_sel:DWORD
                                        ; implicit-def: $vgpr43
	s_and_saveexec_b64 s[28:29], vcc
	s_xor_b64 s[34:35], exec, s[28:29]
	s_cbranch_execz .LBB6_17376
; %bb.17367:                            ;   in Loop: Header=BB6_16537 Depth=3
	v_mov_b32_e32 v43, 0
	v_cmp_ne_u32_e32 vcc, 0, v6
	s_and_saveexec_b64 s[36:37], vcc
	s_cbranch_execz .LBB6_17375
; %bb.17368:                            ;   in Loop: Header=BB6_16537 Depth=3
	v_and_b32_e32 v12, 0x7fffff, v6
	v_bfe_u32 v6, v6, 23, 8
	v_cmp_gt_u32_e64 s[28:29], s97, v6
	v_sub_u32_e32 v7, 0x79, v6
	v_cmp_eq_u32_e32 vcc, 0, v6
	v_cndmask_b32_e64 v7, 0, v7, s[28:29]
	v_mov_b32_e32 v14, 0x78
	v_cndmask_b32_e32 v7, v7, v14, vcc
	v_add_u32_e32 v14, 20, v7
	v_or_b32_e32 v13, 0x800000, v12
	v_lshlrev_b64 v[14:15], v14, -1
	v_cndmask_b32_e32 v12, v13, v12, vcc
	v_mov_b32_e32 v13, v51
	v_add_u32_e32 v17, 19, v7
	v_bfi_b32 v14, v14, 0, v12
	v_lshlrev_b64 v[17:18], v17, 1
	v_lshrrev_b64 v[12:13], v7, v[12:13]
	v_bfi_b32 v15, v15, 0, 0
	v_cmp_eq_u64_e64 s[28:29], v[14:15], v[17:18]
	v_mov_b32_e32 v14, v13
	v_mov_b32_e32 v13, v12
	s_and_saveexec_b64 s[38:39], s[28:29]
; %bb.17369:                            ;   in Loop: Header=BB6_16537 Depth=3
	v_bfe_u32 v13, v12, 20, 1
	v_add_co_u32_e64 v13, s[28:29], v12, v13
	v_add_co_u32_e64 v13, s[28:29], -1, v13
; %bb.17370:                            ;   in Loop: Header=BB6_16537 Depth=3
	s_or_b64 exec, exec, s[38:39]
	v_add_u32_e32 v6, 0xffffff81, v6
	v_mov_b32_e32 v14, 0xffffff82
	v_cndmask_b32_e32 v6, v6, v14, vcc
	v_lshrrev_b32_e32 v14, 23, v12
	v_add3_u32 v14, v7, v6, v14
	v_add_u32_e32 v7, 6, v14
	v_and_b32_e32 v6, 0xfffff, v13
	v_add_u32_e32 v12, v6, v12
	v_mov_b32_e32 v13, v51
	v_cmp_ne_u32_e32 vcc, 0, v7
                                        ; implicit-def: $vgpr6
	s_and_saveexec_b64 s[28:29], vcc
	s_xor_b64 s[28:29], exec, s[28:29]
; %bb.17371:                            ;   in Loop: Header=BB6_16537 Depth=3
	v_cmp_lt_u64_e32 vcc, s[88:89], v[12:13]
	v_add_u32_e32 v6, 7, v14
	v_cndmask_b32_e32 v6, v7, v6, vcc
	v_cndmask_b32_e64 v7, 0, 1, vcc
	v_lshrrev_b64 v[12:13], v7, v[12:13]
; %bb.17372:                            ;   in Loop: Header=BB6_16537 Depth=3
	s_andn2_saveexec_b64 s[28:29], s[28:29]
; %bb.17373:                            ;   in Loop: Header=BB6_16537 Depth=3
	v_bfe_u32 v6, v12, 23, 1
; %bb.17374:                            ;   in Loop: Header=BB6_16537 Depth=3
	s_or_b64 exec, exec, s[28:29]
	v_lshrrev_b64 v[12:13], 20, v[12:13]
	v_cmp_gt_i32_e32 vcc, 16, v6
	v_cndmask_b32_e32 v13, 0, v13, vcc
	v_cndmask_b32_e32 v12, 7, v12, vcc
	v_cmp_eq_u32_e32 vcc, 0, v6
	v_min_i32_e32 v6, 15, v6
	v_cmp_eq_u64_e64 s[28:29], 0, v[12:13]
	v_lshlrev_b32_e32 v6, 3, v6
	v_and_b32_e32 v6, 0xf8, v6
	v_and_or_b32 v6, v12, 7, v6
	s_and_b64 s[28:29], vcc, s[28:29]
	v_cndmask_b32_e64 v6, v6, 0, s[28:29]
	v_or_b32_e32 v43, v6, v2
.LBB6_17375:                            ;   in Loop: Header=BB6_16537 Depth=3
	s_or_b64 exec, exec, s[36:37]
                                        ; implicit-def: $vgpr2
.LBB6_17376:                            ;   in Loop: Header=BB6_16537 Depth=3
	s_andn2_saveexec_b64 s[28:29], s[34:35]
; %bb.17377:                            ;   in Loop: Header=BB6_16537 Depth=3
	v_or_b32_e32 v43, 0x7e, v2
; %bb.17378:                            ;   in Loop: Header=BB6_16537 Depth=3
	s_or_b64 exec, exec, s[28:29]
                                        ; implicit-def: $vgpr6
.LBB6_17379:                            ;   in Loop: Header=BB6_16537 Depth=3
	s_andn2_saveexec_b64 s[28:29], s[30:31]
; %bb.17380:                            ;   in Loop: Header=BB6_16537 Depth=3
	v_or_b32_sdwa v43, v6, s86 dst_sel:DWORD dst_unused:UNUSED_PAD src0_sel:BYTE_3 src1_sel:DWORD
; %bb.17381:                            ;   in Loop: Header=BB6_16537 Depth=3
	s_or_b64 exec, exec, s[28:29]
	v_lshrrev_b32_e32 v12, 16, v9
	v_cmp_ne_u16_sdwa vcc, v12, v51 src0_sel:BYTE_0 src1_sel:DWORD
	v_mov_b32_e32 v2, 0
	s_and_saveexec_b64 s[28:29], vcc
	s_cbranch_execz .LBB6_17387
; %bb.17382:                            ;   in Loop: Header=BB6_16537 Depth=3
	v_cmp_ne_u16_sdwa vcc, v12, s96 src0_sel:BYTE_0 src1_sel:DWORD
	v_bfrev_b32_e32 v2, 1
	s_and_saveexec_b64 s[30:31], vcc
	s_cbranch_execz .LBB6_17386
; %bb.17383:                            ;   in Loop: Header=BB6_16537 Depth=3
	v_bfe_u32 v6, v9, 16, 7
	v_cmp_ne_u32_e32 vcc, s86, v6
	v_mov_b32_e32 v2, 0x7f800001
	s_and_saveexec_b64 s[34:35], vcc
	s_cbranch_execz .LBB6_17385
; %bb.17384:                            ;   in Loop: Header=BB6_16537 Depth=3
	v_and_b32_e32 v2, 7, v12
	v_lshrrev_b32_e32 v13, 3, v6
	v_cmp_gt_u32_e32 vcc, 8, v6
	v_ffbh_u32_e32 v6, v2
	v_min_u32_e32 v14, 32, v6
	v_subrev_u32_e32 v6, 28, v14
	v_lshlrev_b64 v[6:7], v6, v[12:13]
	v_sub_u32_e32 v7, 29, v14
	v_and_b32_e32 v6, 7, v6
	v_cndmask_b32_e32 v7, v13, v7, vcc
	v_cndmask_b32_e32 v2, v2, v6, vcc
	v_lshlrev_b32_e32 v6, 24, v12
	v_bfrev_b32_e32 v12, 60
	v_lshlrev_b32_e32 v2, 20, v2
	v_and_b32_e32 v6, 0x80000000, v6
	v_lshl_add_u32 v7, v7, 23, v12
	v_or3_b32 v2, v6, v7, v2
.LBB6_17385:                            ;   in Loop: Header=BB6_16537 Depth=3
	s_or_b64 exec, exec, s[34:35]
.LBB6_17386:                            ;   in Loop: Header=BB6_16537 Depth=3
	s_or_b64 exec, exec, s[30:31]
.LBB6_17387:                            ;   in Loop: Header=BB6_16537 Depth=3
	s_or_b64 exec, exec, s[28:29]
	v_mul_f32_e32 v6, v16, v2
	v_and_b32_e32 v12, 0x7f800000, v6
	v_mov_b32_e32 v13, v51
	v_cmp_ne_u64_e32 vcc, s[76:77], v[12:13]
                                        ; implicit-def: $vgpr2
                                        ; kill: killed $vgpr2
	s_and_saveexec_b64 s[28:29], vcc
	s_xor_b64 s[30:31], exec, s[28:29]
	s_cbranch_execz .LBB6_17401
; %bb.17388:                            ;   in Loop: Header=BB6_16537 Depth=3
	v_and_b32_e32 v12, 0x7fffffff, v6
	v_mov_b32_e32 v13, v51
	v_cmp_gt_u64_e32 vcc, s[78:79], v[12:13]
	v_and_b32_sdwa v2, v6, s96 dst_sel:DWORD dst_unused:UNUSED_PAD src0_sel:BYTE_3 src1_sel:DWORD
                                        ; implicit-def: $vgpr7
                                        ; kill: killed $vgpr7
	s_and_saveexec_b64 s[28:29], vcc
	s_xor_b64 s[34:35], exec, s[28:29]
	s_cbranch_execz .LBB6_17398
; %bb.17389:                            ;   in Loop: Header=BB6_16537 Depth=3
	v_mov_b32_e32 v7, 0
	v_cmp_ne_u32_e32 vcc, 0, v6
	buffer_store_dword v7, off, s[0:3], s33 offset:196 ; 4-byte Folded Spill
	s_and_saveexec_b64 s[36:37], vcc
	s_cbranch_execz .LBB6_17397
; %bb.17390:                            ;   in Loop: Header=BB6_16537 Depth=3
	v_and_b32_e32 v12, 0x7fffff, v6
	v_bfe_u32 v6, v6, 23, 8
	v_cmp_gt_u32_e64 s[28:29], s97, v6
	v_sub_u32_e32 v7, 0x79, v6
	v_cmp_eq_u32_e32 vcc, 0, v6
	v_cndmask_b32_e64 v7, 0, v7, s[28:29]
	v_mov_b32_e32 v14, 0x78
	v_cndmask_b32_e32 v7, v7, v14, vcc
	v_add_u32_e32 v14, 20, v7
	v_or_b32_e32 v13, 0x800000, v12
	v_lshlrev_b64 v[14:15], v14, -1
	v_cndmask_b32_e32 v12, v13, v12, vcc
	v_mov_b32_e32 v13, v51
	v_add_u32_e32 v17, 19, v7
	v_bfi_b32 v14, v14, 0, v12
	v_lshlrev_b64 v[17:18], v17, 1
	v_lshrrev_b64 v[12:13], v7, v[12:13]
	v_bfi_b32 v15, v15, 0, 0
	v_cmp_eq_u64_e64 s[28:29], v[14:15], v[17:18]
	v_mov_b32_e32 v14, v13
	v_mov_b32_e32 v13, v12
	s_and_saveexec_b64 s[38:39], s[28:29]
; %bb.17391:                            ;   in Loop: Header=BB6_16537 Depth=3
	v_bfe_u32 v13, v12, 20, 1
	v_add_co_u32_e64 v13, s[28:29], v12, v13
	v_add_co_u32_e64 v13, s[28:29], -1, v13
; %bb.17392:                            ;   in Loop: Header=BB6_16537 Depth=3
	s_or_b64 exec, exec, s[38:39]
	v_add_u32_e32 v6, 0xffffff81, v6
	v_mov_b32_e32 v14, 0xffffff82
	v_cndmask_b32_e32 v6, v6, v14, vcc
	v_lshrrev_b32_e32 v14, 23, v12
	v_add3_u32 v14, v7, v6, v14
	v_add_u32_e32 v7, 6, v14
	v_and_b32_e32 v6, 0xfffff, v13
	v_add_u32_e32 v12, v6, v12
	v_mov_b32_e32 v13, v51
	v_cmp_ne_u32_e32 vcc, 0, v7
                                        ; implicit-def: $vgpr6
	s_and_saveexec_b64 s[28:29], vcc
	s_xor_b64 s[28:29], exec, s[28:29]
; %bb.17393:                            ;   in Loop: Header=BB6_16537 Depth=3
	v_cmp_lt_u64_e32 vcc, s[88:89], v[12:13]
	v_add_u32_e32 v6, 7, v14
	v_cndmask_b32_e32 v6, v7, v6, vcc
	v_cndmask_b32_e64 v7, 0, 1, vcc
	v_lshrrev_b64 v[12:13], v7, v[12:13]
; %bb.17394:                            ;   in Loop: Header=BB6_16537 Depth=3
	s_andn2_saveexec_b64 s[28:29], s[28:29]
; %bb.17395:                            ;   in Loop: Header=BB6_16537 Depth=3
	v_bfe_u32 v6, v12, 23, 1
; %bb.17396:                            ;   in Loop: Header=BB6_16537 Depth=3
	s_or_b64 exec, exec, s[28:29]
	v_lshrrev_b64 v[12:13], 20, v[12:13]
	v_cmp_gt_i32_e32 vcc, 16, v6
	v_cndmask_b32_e32 v13, 0, v13, vcc
	v_cndmask_b32_e32 v12, 7, v12, vcc
	v_cmp_eq_u32_e32 vcc, 0, v6
	v_min_i32_e32 v6, 15, v6
	v_cmp_eq_u64_e64 s[28:29], 0, v[12:13]
	v_lshlrev_b32_e32 v6, 3, v6
	v_and_b32_e32 v6, 0xf8, v6
	v_and_or_b32 v6, v12, 7, v6
	s_and_b64 s[28:29], vcc, s[28:29]
	v_cndmask_b32_e64 v6, v6, 0, s[28:29]
	v_or_b32_e32 v2, v6, v2
	buffer_store_dword v2, off, s[0:3], s33 offset:196 ; 4-byte Folded Spill
.LBB6_17397:                            ;   in Loop: Header=BB6_16537 Depth=3
	s_or_b64 exec, exec, s[36:37]
                                        ; implicit-def: $vgpr2
.LBB6_17398:                            ;   in Loop: Header=BB6_16537 Depth=3
	s_andn2_saveexec_b64 s[28:29], s[34:35]
	s_cbranch_execz .LBB6_17400
; %bb.17399:                            ;   in Loop: Header=BB6_16537 Depth=3
	v_or_b32_e32 v2, 0x7e, v2
	buffer_store_dword v2, off, s[0:3], s33 offset:196 ; 4-byte Folded Spill
.LBB6_17400:                            ;   in Loop: Header=BB6_16537 Depth=3
	s_or_b64 exec, exec, s[28:29]
                                        ; implicit-def: $vgpr6
.LBB6_17401:                            ;   in Loop: Header=BB6_16537 Depth=3
	s_andn2_saveexec_b64 s[28:29], s[30:31]
	s_cbranch_execz .LBB6_17403
; %bb.17402:                            ;   in Loop: Header=BB6_16537 Depth=3
	v_or_b32_sdwa v2, v6, s86 dst_sel:DWORD dst_unused:UNUSED_PAD src0_sel:BYTE_3 src1_sel:DWORD
	buffer_store_dword v2, off, s[0:3], s33 offset:196 ; 4-byte Folded Spill
.LBB6_17403:                            ;   in Loop: Header=BB6_16537 Depth=3
	s_or_b64 exec, exec, s[28:29]
	v_cmp_lt_u64_e32 vcc, s[56:57], v[8:9]
	v_mov_b32_e32 v2, 0
	s_and_saveexec_b64 s[28:29], vcc
	s_cbranch_execz .LBB6_17409
; %bb.17404:                            ;   in Loop: Header=BB6_16537 Depth=3
	v_lshrrev_b32_e32 v8, 24, v9
	v_cmp_ne_u32_e32 vcc, s96, v8
	v_bfrev_b32_e32 v2, 1
	s_and_saveexec_b64 s[30:31], vcc
	s_cbranch_execz .LBB6_17408
; %bb.17405:                            ;   in Loop: Header=BB6_16537 Depth=3
	v_bfe_u32 v6, v9, 24, 7
	v_cmp_ne_u32_e32 vcc, s86, v6
	v_mov_b32_e32 v2, 0x7f800001
	s_and_saveexec_b64 s[34:35], vcc
	s_cbranch_execz .LBB6_17407
; %bb.17406:                            ;   in Loop: Header=BB6_16537 Depth=3
	v_and_b32_e32 v2, 7, v8
	v_lshrrev_b32_e32 v9, 3, v6
	v_cmp_gt_u32_e32 vcc, 8, v6
	v_ffbh_u32_e32 v6, v2
	v_min_u32_e32 v12, 32, v6
	v_subrev_u32_e32 v6, 28, v12
	v_lshlrev_b64 v[6:7], v6, v[8:9]
	v_sub_u32_e32 v7, 29, v12
	v_and_b32_e32 v6, 7, v6
	v_cndmask_b32_e32 v7, v9, v7, vcc
	v_cndmask_b32_e32 v2, v2, v6, vcc
	v_lshlrev_b32_e32 v6, 24, v8
	v_bfrev_b32_e32 v8, 60
	v_lshlrev_b32_e32 v2, 20, v2
	v_and_b32_e32 v6, 0x80000000, v6
	v_lshl_add_u32 v7, v7, 23, v8
	v_or3_b32 v2, v6, v7, v2
.LBB6_17407:                            ;   in Loop: Header=BB6_16537 Depth=3
	s_or_b64 exec, exec, s[34:35]
.LBB6_17408:                            ;   in Loop: Header=BB6_16537 Depth=3
	s_or_b64 exec, exec, s[30:31]
.LBB6_17409:                            ;   in Loop: Header=BB6_16537 Depth=3
	s_or_b64 exec, exec, s[28:29]
	v_mul_f32_e32 v6, v16, v2
	v_and_b32_e32 v7, 0x7f800000, v6
	v_mov_b32_e32 v8, v51
	v_cmp_ne_u64_e32 vcc, s[76:77], v[7:8]
                                        ; implicit-def: $vgpr2
                                        ; kill: killed $vgpr2
	s_and_saveexec_b64 s[28:29], vcc
	s_xor_b64 s[30:31], exec, s[28:29]
	s_cbranch_execz .LBB6_17423
; %bb.17410:                            ;   in Loop: Header=BB6_16537 Depth=3
	v_and_b32_e32 v7, 0x7fffffff, v6
	v_mov_b32_e32 v8, v51
	v_cmp_gt_u64_e32 vcc, s[78:79], v[7:8]
	v_and_b32_sdwa v2, v6, s96 dst_sel:DWORD dst_unused:UNUSED_PAD src0_sel:BYTE_3 src1_sel:DWORD
                                        ; implicit-def: $vgpr7
                                        ; kill: killed $vgpr7
	s_and_saveexec_b64 s[28:29], vcc
	s_xor_b64 s[34:35], exec, s[28:29]
	s_cbranch_execz .LBB6_17420
; %bb.17411:                            ;   in Loop: Header=BB6_16537 Depth=3
	v_mov_b32_e32 v7, 0
	v_cmp_ne_u32_e32 vcc, 0, v6
	buffer_store_dword v7, off, s[0:3], s33 offset:212 ; 4-byte Folded Spill
	s_and_saveexec_b64 s[36:37], vcc
	s_cbranch_execz .LBB6_17419
; %bb.17412:                            ;   in Loop: Header=BB6_16537 Depth=3
	v_and_b32_e32 v8, 0x7fffff, v6
	v_bfe_u32 v6, v6, 23, 8
	v_cmp_gt_u32_e64 s[28:29], s97, v6
	v_sub_u32_e32 v7, 0x79, v6
	v_cmp_eq_u32_e32 vcc, 0, v6
	v_cndmask_b32_e64 v7, 0, v7, s[28:29]
	v_mov_b32_e32 v12, 0x78
	v_cndmask_b32_e32 v7, v7, v12, vcc
	v_add_u32_e32 v12, 20, v7
	v_or_b32_e32 v9, 0x800000, v8
	v_lshlrev_b64 v[12:13], v12, -1
	v_cndmask_b32_e32 v8, v9, v8, vcc
	v_mov_b32_e32 v9, v51
	v_add_u32_e32 v14, 19, v7
	v_bfi_b32 v12, v12, 0, v8
	v_lshlrev_b64 v[14:15], v14, 1
	v_lshrrev_b64 v[8:9], v7, v[8:9]
	v_bfi_b32 v13, v13, 0, 0
	v_cmp_eq_u64_e64 s[28:29], v[12:13], v[14:15]
	v_mov_b32_e32 v13, v9
	v_mov_b32_e32 v12, v8
	s_and_saveexec_b64 s[38:39], s[28:29]
; %bb.17413:                            ;   in Loop: Header=BB6_16537 Depth=3
	v_bfe_u32 v9, v8, 20, 1
	v_add_co_u32_e64 v9, s[28:29], v8, v9
	v_add_co_u32_e64 v12, s[28:29], -1, v9
; %bb.17414:                            ;   in Loop: Header=BB6_16537 Depth=3
	s_or_b64 exec, exec, s[38:39]
	v_add_u32_e32 v6, 0xffffff81, v6
	v_mov_b32_e32 v9, 0xffffff82
	v_cndmask_b32_e32 v6, v6, v9, vcc
	v_lshrrev_b32_e32 v9, 23, v8
	v_add3_u32 v13, v7, v6, v9
	v_add_u32_e32 v7, 6, v13
	v_and_b32_e32 v6, 0xfffff, v12
	v_add_u32_e32 v8, v6, v8
	v_mov_b32_e32 v9, v51
	v_cmp_ne_u32_e32 vcc, 0, v7
                                        ; implicit-def: $vgpr6
	s_and_saveexec_b64 s[28:29], vcc
	s_xor_b64 s[28:29], exec, s[28:29]
; %bb.17415:                            ;   in Loop: Header=BB6_16537 Depth=3
	v_cmp_lt_u64_e32 vcc, s[88:89], v[8:9]
	v_add_u32_e32 v6, 7, v13
	v_cndmask_b32_e32 v6, v7, v6, vcc
	v_cndmask_b32_e64 v7, 0, 1, vcc
	v_lshrrev_b64 v[8:9], v7, v[8:9]
; %bb.17416:                            ;   in Loop: Header=BB6_16537 Depth=3
	s_andn2_saveexec_b64 s[28:29], s[28:29]
; %bb.17417:                            ;   in Loop: Header=BB6_16537 Depth=3
	v_bfe_u32 v6, v8, 23, 1
; %bb.17418:                            ;   in Loop: Header=BB6_16537 Depth=3
	s_or_b64 exec, exec, s[28:29]
	v_lshrrev_b64 v[7:8], 20, v[8:9]
	v_cmp_gt_i32_e32 vcc, 16, v6
	v_cndmask_b32_e32 v8, 0, v8, vcc
	v_cndmask_b32_e32 v7, 7, v7, vcc
	v_cmp_eq_u32_e32 vcc, 0, v6
	v_min_i32_e32 v6, 15, v6
	v_cmp_eq_u64_e64 s[28:29], 0, v[7:8]
	v_lshlrev_b32_e32 v6, 3, v6
	v_and_b32_e32 v6, 0xf8, v6
	v_and_or_b32 v6, v7, 7, v6
	s_and_b64 s[28:29], vcc, s[28:29]
	v_cndmask_b32_e64 v6, v6, 0, s[28:29]
	v_or_b32_e32 v2, v6, v2
	buffer_store_dword v2, off, s[0:3], s33 offset:212 ; 4-byte Folded Spill
.LBB6_17419:                            ;   in Loop: Header=BB6_16537 Depth=3
	s_or_b64 exec, exec, s[36:37]
                                        ; implicit-def: $vgpr2
.LBB6_17420:                            ;   in Loop: Header=BB6_16537 Depth=3
	s_andn2_saveexec_b64 s[28:29], s[34:35]
	s_cbranch_execz .LBB6_17422
; %bb.17421:                            ;   in Loop: Header=BB6_16537 Depth=3
	v_or_b32_e32 v2, 0x7e, v2
	buffer_store_dword v2, off, s[0:3], s33 offset:212 ; 4-byte Folded Spill
.LBB6_17422:                            ;   in Loop: Header=BB6_16537 Depth=3
	s_or_b64 exec, exec, s[28:29]
                                        ; implicit-def: $vgpr6
.LBB6_17423:                            ;   in Loop: Header=BB6_16537 Depth=3
	s_andn2_saveexec_b64 s[28:29], s[30:31]
	s_cbranch_execz .LBB6_17425
; %bb.17424:                            ;   in Loop: Header=BB6_16537 Depth=3
	v_or_b32_sdwa v2, v6, s86 dst_sel:DWORD dst_unused:UNUSED_PAD src0_sel:BYTE_3 src1_sel:DWORD
	buffer_store_dword v2, off, s[0:3], s33 offset:212 ; 4-byte Folded Spill
.LBB6_17425:                            ;   in Loop: Header=BB6_16537 Depth=3
	s_or_b64 exec, exec, s[28:29]
	v_cmp_ne_u16_sdwa vcc, v10, v51 src0_sel:BYTE_0 src1_sel:DWORD
	v_mov_b32_e32 v2, 0
	s_and_saveexec_b64 s[28:29], vcc
	s_cbranch_execz .LBB6_17431
; %bb.17426:                            ;   in Loop: Header=BB6_16537 Depth=3
	v_cmp_ne_u16_sdwa vcc, v10, s96 src0_sel:BYTE_0 src1_sel:DWORD
	v_bfrev_b32_e32 v2, 1
	s_and_saveexec_b64 s[30:31], vcc
	s_cbranch_execz .LBB6_17430
; %bb.17427:                            ;   in Loop: Header=BB6_16537 Depth=3
	v_and_b32_e32 v6, 0x7f, v10
	v_cmp_ne_u32_e32 vcc, s86, v6
	v_mov_b32_e32 v2, 0x7f800001
	s_and_saveexec_b64 s[34:35], vcc
	s_cbranch_execz .LBB6_17429
; %bb.17428:                            ;   in Loop: Header=BB6_16537 Depth=3
	v_and_b32_e32 v2, 7, v10
	v_ffbh_u32_e32 v2, v2
	v_min_u32_e32 v2, 32, v2
	v_lshrrev_b32_e32 v7, 3, v6
	v_cmp_gt_u32_e32 vcc, 8, v6
	v_subrev_u32_e32 v6, 28, v2
	v_sub_u32_e32 v2, 29, v2
	v_cndmask_b32_e32 v6, 0, v6, vcc
	v_cndmask_b32_e32 v2, v7, v2, vcc
	v_lshlrev_b64 v[6:7], v6, v[10:11]
	v_lshlrev_b32_e32 v7, 24, v10
	v_lshlrev_b32_e32 v6, 20, v6
	v_bfrev_b32_e32 v8, 60
	v_and_b32_e32 v6, 0x700000, v6
	v_and_b32_e32 v7, 0x80000000, v7
	v_lshl_add_u32 v2, v2, 23, v8
	v_or3_b32 v2, v7, v2, v6
.LBB6_17429:                            ;   in Loop: Header=BB6_16537 Depth=3
	s_or_b64 exec, exec, s[34:35]
.LBB6_17430:                            ;   in Loop: Header=BB6_16537 Depth=3
	s_or_b64 exec, exec, s[30:31]
.LBB6_17431:                            ;   in Loop: Header=BB6_16537 Depth=3
	s_or_b64 exec, exec, s[28:29]
	v_mul_f32_e32 v7, v16, v2
	v_and_b32_e32 v8, 0x7f800000, v7
	v_mov_b32_e32 v9, v51
	v_cmp_ne_u64_e32 vcc, s[76:77], v[8:9]
                                        ; implicit-def: $vgpr6
	s_and_saveexec_b64 s[28:29], vcc
	s_xor_b64 s[30:31], exec, s[28:29]
	s_cbranch_execz .LBB6_17445
; %bb.17432:                            ;   in Loop: Header=BB6_16537 Depth=3
	v_and_b32_e32 v8, 0x7fffffff, v7
	v_mov_b32_e32 v9, v51
	v_cmp_gt_u64_e32 vcc, s[78:79], v[8:9]
	v_and_b32_sdwa v2, v7, s96 dst_sel:DWORD dst_unused:UNUSED_PAD src0_sel:BYTE_3 src1_sel:DWORD
                                        ; implicit-def: $vgpr6
	s_and_saveexec_b64 s[28:29], vcc
	s_xor_b64 s[34:35], exec, s[28:29]
	s_cbranch_execz .LBB6_17442
; %bb.17433:                            ;   in Loop: Header=BB6_16537 Depth=3
	v_mov_b32_e32 v6, 0
	v_cmp_ne_u32_e32 vcc, 0, v7
	s_and_saveexec_b64 s[36:37], vcc
	s_cbranch_execz .LBB6_17441
; %bb.17434:                            ;   in Loop: Header=BB6_16537 Depth=3
	v_bfe_u32 v6, v7, 23, 8
	v_and_b32_e32 v8, 0x7fffff, v7
	v_cmp_gt_u32_e64 s[28:29], s97, v6
	v_sub_u32_e32 v7, 0x79, v6
	v_cmp_eq_u32_e32 vcc, 0, v6
	v_cndmask_b32_e64 v7, 0, v7, s[28:29]
	v_mov_b32_e32 v12, 0x78
	v_cndmask_b32_e32 v7, v7, v12, vcc
	v_add_u32_e32 v12, 20, v7
	v_or_b32_e32 v9, 0x800000, v8
	v_lshlrev_b64 v[12:13], v12, -1
	v_cndmask_b32_e32 v8, v9, v8, vcc
	v_mov_b32_e32 v9, v51
	v_add_u32_e32 v14, 19, v7
	v_bfi_b32 v12, v12, 0, v8
	v_lshlrev_b64 v[14:15], v14, 1
	v_lshrrev_b64 v[8:9], v7, v[8:9]
	v_bfi_b32 v13, v13, 0, 0
	v_cmp_eq_u64_e64 s[28:29], v[12:13], v[14:15]
	v_mov_b32_e32 v13, v9
	v_mov_b32_e32 v12, v8
	s_and_saveexec_b64 s[38:39], s[28:29]
; %bb.17435:                            ;   in Loop: Header=BB6_16537 Depth=3
	v_bfe_u32 v9, v8, 20, 1
	v_add_co_u32_e64 v9, s[28:29], v8, v9
	v_add_co_u32_e64 v12, s[28:29], -1, v9
; %bb.17436:                            ;   in Loop: Header=BB6_16537 Depth=3
	s_or_b64 exec, exec, s[38:39]
	v_add_u32_e32 v6, 0xffffff81, v6
	v_mov_b32_e32 v9, 0xffffff82
	v_cndmask_b32_e32 v6, v6, v9, vcc
	v_lshrrev_b32_e32 v9, 23, v8
	v_add3_u32 v13, v7, v6, v9
	v_add_u32_e32 v7, 6, v13
	v_and_b32_e32 v6, 0xfffff, v12
	v_add_u32_e32 v8, v6, v8
	v_mov_b32_e32 v9, v51
	v_cmp_ne_u32_e32 vcc, 0, v7
                                        ; implicit-def: $vgpr6
	s_and_saveexec_b64 s[28:29], vcc
	s_xor_b64 s[28:29], exec, s[28:29]
; %bb.17437:                            ;   in Loop: Header=BB6_16537 Depth=3
	v_cmp_lt_u64_e32 vcc, s[88:89], v[8:9]
	v_add_u32_e32 v6, 7, v13
	v_cndmask_b32_e32 v6, v7, v6, vcc
	v_cndmask_b32_e64 v7, 0, 1, vcc
	v_lshrrev_b64 v[8:9], v7, v[8:9]
; %bb.17438:                            ;   in Loop: Header=BB6_16537 Depth=3
	s_andn2_saveexec_b64 s[28:29], s[28:29]
; %bb.17439:                            ;   in Loop: Header=BB6_16537 Depth=3
	v_bfe_u32 v6, v8, 23, 1
; %bb.17440:                            ;   in Loop: Header=BB6_16537 Depth=3
	s_or_b64 exec, exec, s[28:29]
	v_lshrrev_b64 v[7:8], 20, v[8:9]
	v_cmp_gt_i32_e32 vcc, 16, v6
	v_cndmask_b32_e32 v8, 0, v8, vcc
	v_cndmask_b32_e32 v7, 7, v7, vcc
	v_cmp_eq_u32_e32 vcc, 0, v6
	v_min_i32_e32 v6, 15, v6
	v_cmp_eq_u64_e64 s[28:29], 0, v[7:8]
	v_lshlrev_b32_e32 v6, 3, v6
	v_and_b32_e32 v6, 0xf8, v6
	v_and_or_b32 v6, v7, 7, v6
	s_and_b64 s[28:29], vcc, s[28:29]
	v_cndmask_b32_e64 v6, v6, 0, s[28:29]
	v_or_b32_e32 v6, v6, v2
.LBB6_17441:                            ;   in Loop: Header=BB6_16537 Depth=3
	s_or_b64 exec, exec, s[36:37]
                                        ; implicit-def: $vgpr2
.LBB6_17442:                            ;   in Loop: Header=BB6_16537 Depth=3
	s_andn2_saveexec_b64 s[28:29], s[34:35]
; %bb.17443:                            ;   in Loop: Header=BB6_16537 Depth=3
	v_or_b32_e32 v6, 0x7e, v2
; %bb.17444:                            ;   in Loop: Header=BB6_16537 Depth=3
	s_or_b64 exec, exec, s[28:29]
                                        ; implicit-def: $vgpr7
.LBB6_17445:                            ;   in Loop: Header=BB6_16537 Depth=3
	s_andn2_saveexec_b64 s[28:29], s[30:31]
; %bb.17446:                            ;   in Loop: Header=BB6_16537 Depth=3
	v_or_b32_sdwa v6, v7, s86 dst_sel:DWORD dst_unused:UNUSED_PAD src0_sel:BYTE_3 src1_sel:DWORD
; %bb.17447:                            ;   in Loop: Header=BB6_16537 Depth=3
	s_or_b64 exec, exec, s[28:29]
	v_lshrrev_b16_e32 v8, 8, v10
	v_cmp_ne_u16_e32 vcc, 0, v8
	v_mov_b32_e32 v2, 0
	s_and_saveexec_b64 s[28:29], vcc
	s_cbranch_execz .LBB6_17453
; %bb.17448:                            ;   in Loop: Header=BB6_16537 Depth=3
	v_cmp_ne_u16_e32 vcc, s96, v8
	v_bfrev_b32_e32 v2, 1
	s_and_saveexec_b64 s[30:31], vcc
	s_cbranch_execz .LBB6_17452
; %bb.17449:                            ;   in Loop: Header=BB6_16537 Depth=3
	v_and_b32_e32 v7, 0x7f, v8
	v_cmp_ne_u32_e32 vcc, s86, v7
	v_mov_b32_e32 v2, 0x7f800001
	s_and_saveexec_b64 s[34:35], vcc
	s_cbranch_execz .LBB6_17451
; %bb.17450:                            ;   in Loop: Header=BB6_16537 Depth=3
	v_and_b32_e32 v2, 7, v8
	v_lshrrev_b32_e32 v9, 3, v7
	v_cmp_gt_u32_e32 vcc, 8, v7
	v_ffbh_u32_e32 v7, v2
	v_min_u32_e32 v12, 32, v7
	v_subrev_u32_e32 v7, 28, v12
	v_lshlrev_b64 v[7:8], v7, v[8:9]
	v_sub_u32_e32 v8, 29, v12
	v_and_b32_e32 v7, 7, v7
	v_cndmask_b32_e32 v8, v9, v8, vcc
	v_cndmask_b32_e32 v2, v2, v7, vcc
	v_lshlrev_b32_e32 v7, 16, v10
	v_bfrev_b32_e32 v9, 60
	v_lshlrev_b32_e32 v2, 20, v2
	v_and_b32_e32 v7, 0x80000000, v7
	v_lshl_add_u32 v8, v8, 23, v9
	v_or3_b32 v2, v7, v8, v2
.LBB6_17451:                            ;   in Loop: Header=BB6_16537 Depth=3
	s_or_b64 exec, exec, s[34:35]
.LBB6_17452:                            ;   in Loop: Header=BB6_16537 Depth=3
	s_or_b64 exec, exec, s[30:31]
.LBB6_17453:                            ;   in Loop: Header=BB6_16537 Depth=3
	s_or_b64 exec, exec, s[28:29]
	v_mul_f32_e32 v7, v16, v2
	v_and_b32_e32 v8, 0x7f800000, v7
	v_mov_b32_e32 v9, v51
	v_cmp_ne_u64_e32 vcc, s[76:77], v[8:9]
                                        ; implicit-def: $vgpr2
                                        ; kill: killed $vgpr2
	s_and_saveexec_b64 s[28:29], vcc
	s_xor_b64 s[30:31], exec, s[28:29]
	s_cbranch_execz .LBB6_17467
; %bb.17454:                            ;   in Loop: Header=BB6_16537 Depth=3
	v_and_b32_e32 v8, 0x7fffffff, v7
	v_mov_b32_e32 v9, v51
	v_cmp_gt_u64_e32 vcc, s[78:79], v[8:9]
	v_and_b32_sdwa v2, v7, s96 dst_sel:DWORD dst_unused:UNUSED_PAD src0_sel:BYTE_3 src1_sel:DWORD
                                        ; implicit-def: $vgpr8
                                        ; kill: killed $vgpr8
	s_and_saveexec_b64 s[28:29], vcc
	s_xor_b64 s[34:35], exec, s[28:29]
	s_cbranch_execz .LBB6_17464
; %bb.17455:                            ;   in Loop: Header=BB6_16537 Depth=3
	v_mov_b32_e32 v8, 0
	v_cmp_ne_u32_e32 vcc, 0, v7
	buffer_store_dword v8, off, s[0:3], s33 offset:168 ; 4-byte Folded Spill
	s_and_saveexec_b64 s[36:37], vcc
	s_cbranch_execz .LBB6_17463
; %bb.17456:                            ;   in Loop: Header=BB6_16537 Depth=3
	v_and_b32_e32 v8, 0x7fffff, v7
	v_bfe_u32 v7, v7, 23, 8
	v_cmp_gt_u32_e64 s[28:29], s97, v7
	v_sub_u32_e32 v9, 0x79, v7
	v_cmp_eq_u32_e32 vcc, 0, v7
	v_cndmask_b32_e64 v9, 0, v9, s[28:29]
	v_mov_b32_e32 v13, 0x78
	v_or_b32_e32 v12, 0x800000, v8
	v_cndmask_b32_e32 v14, v9, v13, vcc
	v_cndmask_b32_e32 v8, v12, v8, vcc
	v_add_u32_e32 v12, 20, v14
	v_lshlrev_b64 v[12:13], v12, -1
	v_mov_b32_e32 v9, v51
	v_add_u32_e32 v15, 19, v14
	v_bfi_b32 v12, v12, 0, v8
	v_lshlrev_b64 v[17:18], v15, 1
	v_lshrrev_b64 v[8:9], v14, v[8:9]
	v_bfi_b32 v13, v13, 0, 0
	v_cmp_eq_u64_e64 s[28:29], v[12:13], v[17:18]
	v_mov_b32_e32 v13, v9
	v_mov_b32_e32 v12, v8
	s_and_saveexec_b64 s[38:39], s[28:29]
; %bb.17457:                            ;   in Loop: Header=BB6_16537 Depth=3
	v_bfe_u32 v9, v8, 20, 1
	v_add_co_u32_e64 v9, s[28:29], v8, v9
	v_add_co_u32_e64 v12, s[28:29], -1, v9
; %bb.17458:                            ;   in Loop: Header=BB6_16537 Depth=3
	s_or_b64 exec, exec, s[38:39]
	v_add_u32_e32 v7, 0xffffff81, v7
	v_mov_b32_e32 v9, 0xffffff82
	v_cndmask_b32_e32 v7, v7, v9, vcc
	v_lshrrev_b32_e32 v9, 23, v8
	v_add3_u32 v14, v14, v7, v9
	v_add_u32_e32 v13, 6, v14
	v_and_b32_e32 v7, 0xfffff, v12
	v_add_u32_e32 v8, v7, v8
	v_mov_b32_e32 v9, v51
	v_cmp_ne_u32_e32 vcc, 0, v13
                                        ; implicit-def: $vgpr7
	s_and_saveexec_b64 s[28:29], vcc
	s_xor_b64 s[28:29], exec, s[28:29]
; %bb.17459:                            ;   in Loop: Header=BB6_16537 Depth=3
	v_cmp_lt_u64_e32 vcc, s[88:89], v[8:9]
	v_add_u32_e32 v7, 7, v14
	v_cndmask_b32_e64 v12, 0, 1, vcc
	v_lshrrev_b64 v[8:9], v12, v[8:9]
	v_cndmask_b32_e32 v7, v13, v7, vcc
; %bb.17460:                            ;   in Loop: Header=BB6_16537 Depth=3
	s_andn2_saveexec_b64 s[28:29], s[28:29]
; %bb.17461:                            ;   in Loop: Header=BB6_16537 Depth=3
	v_bfe_u32 v7, v8, 23, 1
; %bb.17462:                            ;   in Loop: Header=BB6_16537 Depth=3
	s_or_b64 exec, exec, s[28:29]
	v_lshrrev_b64 v[8:9], 20, v[8:9]
	v_cmp_gt_i32_e32 vcc, 16, v7
	v_cndmask_b32_e32 v9, 0, v9, vcc
	v_cndmask_b32_e32 v8, 7, v8, vcc
	v_cmp_eq_u32_e32 vcc, 0, v7
	v_min_i32_e32 v7, 15, v7
	v_cmp_eq_u64_e64 s[28:29], 0, v[8:9]
	v_lshlrev_b32_e32 v7, 3, v7
	v_and_b32_e32 v7, 0xf8, v7
	v_and_or_b32 v7, v8, 7, v7
	s_and_b64 s[28:29], vcc, s[28:29]
	v_cndmask_b32_e64 v7, v7, 0, s[28:29]
	v_or_b32_e32 v2, v7, v2
	buffer_store_dword v2, off, s[0:3], s33 offset:168 ; 4-byte Folded Spill
.LBB6_17463:                            ;   in Loop: Header=BB6_16537 Depth=3
	s_or_b64 exec, exec, s[36:37]
                                        ; implicit-def: $vgpr2
.LBB6_17464:                            ;   in Loop: Header=BB6_16537 Depth=3
	s_andn2_saveexec_b64 s[28:29], s[34:35]
	s_cbranch_execz .LBB6_17466
; %bb.17465:                            ;   in Loop: Header=BB6_16537 Depth=3
	v_or_b32_e32 v2, 0x7e, v2
	buffer_store_dword v2, off, s[0:3], s33 offset:168 ; 4-byte Folded Spill
.LBB6_17466:                            ;   in Loop: Header=BB6_16537 Depth=3
	s_or_b64 exec, exec, s[28:29]
                                        ; implicit-def: $vgpr7
.LBB6_17467:                            ;   in Loop: Header=BB6_16537 Depth=3
	s_andn2_saveexec_b64 s[28:29], s[30:31]
	s_cbranch_execz .LBB6_17469
; %bb.17468:                            ;   in Loop: Header=BB6_16537 Depth=3
	v_or_b32_sdwa v2, v7, s86 dst_sel:DWORD dst_unused:UNUSED_PAD src0_sel:BYTE_3 src1_sel:DWORD
	buffer_store_dword v2, off, s[0:3], s33 offset:168 ; 4-byte Folded Spill
.LBB6_17469:                            ;   in Loop: Header=BB6_16537 Depth=3
	s_or_b64 exec, exec, s[28:29]
	v_lshrrev_b32_e32 v8, 16, v10
	v_cmp_ne_u16_sdwa vcc, v8, v51 src0_sel:BYTE_0 src1_sel:DWORD
	v_mov_b32_e32 v2, 0
	s_and_saveexec_b64 s[28:29], vcc
	s_cbranch_execz .LBB6_17475
; %bb.17470:                            ;   in Loop: Header=BB6_16537 Depth=3
	v_cmp_ne_u16_sdwa vcc, v8, s96 src0_sel:BYTE_0 src1_sel:DWORD
	v_bfrev_b32_e32 v2, 1
	s_and_saveexec_b64 s[30:31], vcc
	s_cbranch_execz .LBB6_17474
; %bb.17471:                            ;   in Loop: Header=BB6_16537 Depth=3
	v_bfe_u32 v7, v10, 16, 7
	v_cmp_ne_u32_e32 vcc, s86, v7
	v_mov_b32_e32 v2, 0x7f800001
	s_and_saveexec_b64 s[34:35], vcc
	s_cbranch_execz .LBB6_17473
; %bb.17472:                            ;   in Loop: Header=BB6_16537 Depth=3
	v_and_b32_e32 v2, 7, v8
	v_lshrrev_b32_e32 v9, 3, v7
	v_cmp_gt_u32_e32 vcc, 8, v7
	v_ffbh_u32_e32 v7, v2
	v_min_u32_e32 v7, 32, v7
	v_subrev_u32_e32 v12, 28, v7
	v_lshlrev_b64 v[12:13], v12, v[8:9]
	v_sub_u32_e32 v7, 29, v7
	v_and_b32_e32 v12, 7, v12
	v_cndmask_b32_e32 v7, v9, v7, vcc
	v_cndmask_b32_e32 v2, v2, v12, vcc
	v_lshlrev_b32_e32 v8, 24, v8
	v_bfrev_b32_e32 v9, 60
	v_lshlrev_b32_e32 v2, 20, v2
	v_and_b32_e32 v8, 0x80000000, v8
	v_lshl_add_u32 v7, v7, 23, v9
	v_or3_b32 v2, v8, v7, v2
.LBB6_17473:                            ;   in Loop: Header=BB6_16537 Depth=3
	s_or_b64 exec, exec, s[34:35]
.LBB6_17474:                            ;   in Loop: Header=BB6_16537 Depth=3
	s_or_b64 exec, exec, s[30:31]
.LBB6_17475:                            ;   in Loop: Header=BB6_16537 Depth=3
	s_or_b64 exec, exec, s[28:29]
	v_mul_f32_e32 v7, v16, v2
	v_and_b32_e32 v8, 0x7f800000, v7
	v_mov_b32_e32 v9, v51
	v_cmp_ne_u64_e32 vcc, s[76:77], v[8:9]
                                        ; implicit-def: $vgpr2
                                        ; kill: killed $vgpr2
	s_and_saveexec_b64 s[28:29], vcc
	s_xor_b64 s[30:31], exec, s[28:29]
	s_cbranch_execz .LBB6_17489
; %bb.17476:                            ;   in Loop: Header=BB6_16537 Depth=3
	v_and_b32_e32 v8, 0x7fffffff, v7
	v_mov_b32_e32 v9, v51
	v_cmp_gt_u64_e32 vcc, s[78:79], v[8:9]
	v_and_b32_sdwa v2, v7, s96 dst_sel:DWORD dst_unused:UNUSED_PAD src0_sel:BYTE_3 src1_sel:DWORD
                                        ; implicit-def: $vgpr8
                                        ; kill: killed $vgpr8
	s_and_saveexec_b64 s[28:29], vcc
	s_xor_b64 s[34:35], exec, s[28:29]
	s_cbranch_execz .LBB6_17486
; %bb.17477:                            ;   in Loop: Header=BB6_16537 Depth=3
	v_mov_b32_e32 v8, 0
	v_cmp_ne_u32_e32 vcc, 0, v7
	buffer_store_dword v8, off, s[0:3], s33 offset:188 ; 4-byte Folded Spill
	s_and_saveexec_b64 s[36:37], vcc
	s_cbranch_execz .LBB6_17485
; %bb.17478:                            ;   in Loop: Header=BB6_16537 Depth=3
	v_and_b32_e32 v8, 0x7fffff, v7
	v_bfe_u32 v7, v7, 23, 8
	v_cmp_gt_u32_e64 s[28:29], s97, v7
	v_sub_u32_e32 v9, 0x79, v7
	v_cmp_eq_u32_e32 vcc, 0, v7
	v_cndmask_b32_e64 v9, 0, v9, s[28:29]
	v_mov_b32_e32 v13, 0x78
	v_or_b32_e32 v12, 0x800000, v8
	v_cndmask_b32_e32 v14, v9, v13, vcc
	v_cndmask_b32_e32 v8, v12, v8, vcc
	v_add_u32_e32 v12, 20, v14
	v_lshlrev_b64 v[12:13], v12, -1
	v_mov_b32_e32 v9, v51
	v_add_u32_e32 v15, 19, v14
	v_bfi_b32 v12, v12, 0, v8
	v_lshlrev_b64 v[17:18], v15, 1
	v_lshrrev_b64 v[8:9], v14, v[8:9]
	v_bfi_b32 v13, v13, 0, 0
	v_cmp_eq_u64_e64 s[28:29], v[12:13], v[17:18]
	v_mov_b32_e32 v13, v9
	v_mov_b32_e32 v12, v8
	s_and_saveexec_b64 s[38:39], s[28:29]
; %bb.17479:                            ;   in Loop: Header=BB6_16537 Depth=3
	v_bfe_u32 v9, v8, 20, 1
	v_add_co_u32_e64 v9, s[28:29], v8, v9
	v_add_co_u32_e64 v12, s[28:29], -1, v9
; %bb.17480:                            ;   in Loop: Header=BB6_16537 Depth=3
	s_or_b64 exec, exec, s[38:39]
	v_add_u32_e32 v7, 0xffffff81, v7
	v_mov_b32_e32 v9, 0xffffff82
	v_cndmask_b32_e32 v7, v7, v9, vcc
	v_lshrrev_b32_e32 v9, 23, v8
	v_add3_u32 v14, v14, v7, v9
	v_add_u32_e32 v13, 6, v14
	v_and_b32_e32 v7, 0xfffff, v12
	v_add_u32_e32 v8, v7, v8
	v_mov_b32_e32 v9, v51
	v_cmp_ne_u32_e32 vcc, 0, v13
                                        ; implicit-def: $vgpr7
	s_and_saveexec_b64 s[28:29], vcc
	s_xor_b64 s[28:29], exec, s[28:29]
; %bb.17481:                            ;   in Loop: Header=BB6_16537 Depth=3
	v_cmp_lt_u64_e32 vcc, s[88:89], v[8:9]
	v_add_u32_e32 v7, 7, v14
	v_cndmask_b32_e64 v12, 0, 1, vcc
	v_lshrrev_b64 v[8:9], v12, v[8:9]
	v_cndmask_b32_e32 v7, v13, v7, vcc
; %bb.17482:                            ;   in Loop: Header=BB6_16537 Depth=3
	s_andn2_saveexec_b64 s[28:29], s[28:29]
; %bb.17483:                            ;   in Loop: Header=BB6_16537 Depth=3
	v_bfe_u32 v7, v8, 23, 1
; %bb.17484:                            ;   in Loop: Header=BB6_16537 Depth=3
	s_or_b64 exec, exec, s[28:29]
	v_lshrrev_b64 v[8:9], 20, v[8:9]
	v_cmp_gt_i32_e32 vcc, 16, v7
	v_cndmask_b32_e32 v9, 0, v9, vcc
	v_cndmask_b32_e32 v8, 7, v8, vcc
	v_cmp_eq_u32_e32 vcc, 0, v7
	v_min_i32_e32 v7, 15, v7
	v_cmp_eq_u64_e64 s[28:29], 0, v[8:9]
	v_lshlrev_b32_e32 v7, 3, v7
	v_and_b32_e32 v7, 0xf8, v7
	v_and_or_b32 v7, v8, 7, v7
	s_and_b64 s[28:29], vcc, s[28:29]
	v_cndmask_b32_e64 v7, v7, 0, s[28:29]
	v_or_b32_e32 v2, v7, v2
	buffer_store_dword v2, off, s[0:3], s33 offset:188 ; 4-byte Folded Spill
.LBB6_17485:                            ;   in Loop: Header=BB6_16537 Depth=3
	s_or_b64 exec, exec, s[36:37]
                                        ; implicit-def: $vgpr2
.LBB6_17486:                            ;   in Loop: Header=BB6_16537 Depth=3
	s_andn2_saveexec_b64 s[28:29], s[34:35]
	s_cbranch_execz .LBB6_17488
; %bb.17487:                            ;   in Loop: Header=BB6_16537 Depth=3
	v_or_b32_e32 v2, 0x7e, v2
	buffer_store_dword v2, off, s[0:3], s33 offset:188 ; 4-byte Folded Spill
.LBB6_17488:                            ;   in Loop: Header=BB6_16537 Depth=3
	s_or_b64 exec, exec, s[28:29]
                                        ; implicit-def: $vgpr7
.LBB6_17489:                            ;   in Loop: Header=BB6_16537 Depth=3
	s_andn2_saveexec_b64 s[28:29], s[30:31]
	s_cbranch_execz .LBB6_17491
; %bb.17490:                            ;   in Loop: Header=BB6_16537 Depth=3
	v_or_b32_sdwa v2, v7, s86 dst_sel:DWORD dst_unused:UNUSED_PAD src0_sel:BYTE_3 src1_sel:DWORD
	buffer_store_dword v2, off, s[0:3], s33 offset:188 ; 4-byte Folded Spill
.LBB6_17491:                            ;   in Loop: Header=BB6_16537 Depth=3
	s_or_b64 exec, exec, s[28:29]
	v_cmp_lt_u32_e32 vcc, s57, v10
	v_mov_b32_e32 v2, 0
	s_and_saveexec_b64 s[28:29], vcc
	s_cbranch_execz .LBB6_17497
; %bb.17492:                            ;   in Loop: Header=BB6_16537 Depth=3
	v_lshrrev_b32_e32 v8, 24, v10
	v_cmp_ne_u32_e32 vcc, s96, v8
	v_bfrev_b32_e32 v2, 1
	s_and_saveexec_b64 s[30:31], vcc
	s_cbranch_execz .LBB6_17496
; %bb.17493:                            ;   in Loop: Header=BB6_16537 Depth=3
	v_bfe_u32 v7, v10, 24, 7
	v_cmp_ne_u32_e32 vcc, s86, v7
	v_mov_b32_e32 v2, 0x7f800001
	s_and_saveexec_b64 s[34:35], vcc
	s_cbranch_execz .LBB6_17495
; %bb.17494:                            ;   in Loop: Header=BB6_16537 Depth=3
	v_and_b32_e32 v2, 7, v8
	v_lshrrev_b32_e32 v9, 3, v7
	v_cmp_gt_u32_e32 vcc, 8, v7
	v_ffbh_u32_e32 v7, v2
	v_min_u32_e32 v7, 32, v7
	v_subrev_u32_e32 v12, 28, v7
	v_lshlrev_b64 v[12:13], v12, v[8:9]
	v_sub_u32_e32 v7, 29, v7
	v_and_b32_e32 v12, 7, v12
	v_cndmask_b32_e32 v7, v9, v7, vcc
	v_cndmask_b32_e32 v2, v2, v12, vcc
	v_lshlrev_b32_e32 v8, 24, v8
	v_bfrev_b32_e32 v9, 60
	v_lshlrev_b32_e32 v2, 20, v2
	v_and_b32_e32 v8, 0x80000000, v8
	v_lshl_add_u32 v7, v7, 23, v9
	v_or3_b32 v2, v8, v7, v2
.LBB6_17495:                            ;   in Loop: Header=BB6_16537 Depth=3
	s_or_b64 exec, exec, s[34:35]
.LBB6_17496:                            ;   in Loop: Header=BB6_16537 Depth=3
	s_or_b64 exec, exec, s[30:31]
.LBB6_17497:                            ;   in Loop: Header=BB6_16537 Depth=3
	s_or_b64 exec, exec, s[28:29]
	v_mul_f32_e32 v7, v16, v2
	v_and_b32_e32 v8, 0x7f800000, v7
	v_mov_b32_e32 v9, v51
	v_cmp_ne_u64_e32 vcc, s[76:77], v[8:9]
                                        ; implicit-def: $vgpr2
                                        ; kill: killed $vgpr2
	s_and_saveexec_b64 s[28:29], vcc
	s_xor_b64 s[30:31], exec, s[28:29]
	s_cbranch_execz .LBB6_17511
; %bb.17498:                            ;   in Loop: Header=BB6_16537 Depth=3
	v_and_b32_e32 v8, 0x7fffffff, v7
	v_mov_b32_e32 v9, v51
	v_cmp_gt_u64_e32 vcc, s[78:79], v[8:9]
	v_and_b32_sdwa v2, v7, s96 dst_sel:DWORD dst_unused:UNUSED_PAD src0_sel:BYTE_3 src1_sel:DWORD
                                        ; implicit-def: $vgpr8
                                        ; kill: killed $vgpr8
	s_and_saveexec_b64 s[28:29], vcc
	s_xor_b64 s[34:35], exec, s[28:29]
	s_cbranch_execz .LBB6_17508
; %bb.17499:                            ;   in Loop: Header=BB6_16537 Depth=3
	v_mov_b32_e32 v8, 0
	v_cmp_ne_u32_e32 vcc, 0, v7
	buffer_store_dword v8, off, s[0:3], s33 offset:200 ; 4-byte Folded Spill
	s_and_saveexec_b64 s[36:37], vcc
	s_cbranch_execz .LBB6_17507
; %bb.17500:                            ;   in Loop: Header=BB6_16537 Depth=3
	v_and_b32_e32 v8, 0x7fffff, v7
	v_bfe_u32 v7, v7, 23, 8
	v_cmp_gt_u32_e64 s[28:29], s97, v7
	v_sub_u32_e32 v9, 0x79, v7
	v_cmp_eq_u32_e32 vcc, 0, v7
	v_cndmask_b32_e64 v9, 0, v9, s[28:29]
	v_mov_b32_e32 v13, 0x78
	v_or_b32_e32 v12, 0x800000, v8
	v_cndmask_b32_e32 v14, v9, v13, vcc
	v_cndmask_b32_e32 v8, v12, v8, vcc
	v_add_u32_e32 v12, 20, v14
	v_lshlrev_b64 v[12:13], v12, -1
	v_mov_b32_e32 v9, v51
	v_add_u32_e32 v15, 19, v14
	v_bfi_b32 v12, v12, 0, v8
	v_lshlrev_b64 v[17:18], v15, 1
	v_lshrrev_b64 v[8:9], v14, v[8:9]
	v_bfi_b32 v13, v13, 0, 0
	v_cmp_eq_u64_e64 s[28:29], v[12:13], v[17:18]
	v_mov_b32_e32 v13, v9
	v_mov_b32_e32 v12, v8
	s_and_saveexec_b64 s[38:39], s[28:29]
; %bb.17501:                            ;   in Loop: Header=BB6_16537 Depth=3
	v_bfe_u32 v9, v8, 20, 1
	v_add_co_u32_e64 v9, s[28:29], v8, v9
	v_add_co_u32_e64 v12, s[28:29], -1, v9
; %bb.17502:                            ;   in Loop: Header=BB6_16537 Depth=3
	s_or_b64 exec, exec, s[38:39]
	v_add_u32_e32 v7, 0xffffff81, v7
	v_mov_b32_e32 v9, 0xffffff82
	v_cndmask_b32_e32 v7, v7, v9, vcc
	v_lshrrev_b32_e32 v9, 23, v8
	v_add3_u32 v14, v14, v7, v9
	v_add_u32_e32 v13, 6, v14
	v_and_b32_e32 v7, 0xfffff, v12
	v_add_u32_e32 v8, v7, v8
	v_mov_b32_e32 v9, v51
	v_cmp_ne_u32_e32 vcc, 0, v13
                                        ; implicit-def: $vgpr7
	s_and_saveexec_b64 s[28:29], vcc
	s_xor_b64 s[28:29], exec, s[28:29]
; %bb.17503:                            ;   in Loop: Header=BB6_16537 Depth=3
	v_cmp_lt_u64_e32 vcc, s[88:89], v[8:9]
	v_add_u32_e32 v7, 7, v14
	v_cndmask_b32_e64 v12, 0, 1, vcc
	v_lshrrev_b64 v[8:9], v12, v[8:9]
	v_cndmask_b32_e32 v7, v13, v7, vcc
; %bb.17504:                            ;   in Loop: Header=BB6_16537 Depth=3
	s_andn2_saveexec_b64 s[28:29], s[28:29]
; %bb.17505:                            ;   in Loop: Header=BB6_16537 Depth=3
	v_bfe_u32 v7, v8, 23, 1
; %bb.17506:                            ;   in Loop: Header=BB6_16537 Depth=3
	s_or_b64 exec, exec, s[28:29]
	v_lshrrev_b64 v[8:9], 20, v[8:9]
	v_cmp_gt_i32_e32 vcc, 16, v7
	v_cndmask_b32_e32 v9, 0, v9, vcc
	v_cndmask_b32_e32 v8, 7, v8, vcc
	v_cmp_eq_u32_e32 vcc, 0, v7
	v_min_i32_e32 v7, 15, v7
	v_cmp_eq_u64_e64 s[28:29], 0, v[8:9]
	v_lshlrev_b32_e32 v7, 3, v7
	v_and_b32_e32 v7, 0xf8, v7
	v_and_or_b32 v7, v8, 7, v7
	s_and_b64 s[28:29], vcc, s[28:29]
	v_cndmask_b32_e64 v7, v7, 0, s[28:29]
	v_or_b32_e32 v2, v7, v2
	buffer_store_dword v2, off, s[0:3], s33 offset:200 ; 4-byte Folded Spill
.LBB6_17507:                            ;   in Loop: Header=BB6_16537 Depth=3
	s_or_b64 exec, exec, s[36:37]
                                        ; implicit-def: $vgpr2
.LBB6_17508:                            ;   in Loop: Header=BB6_16537 Depth=3
	s_andn2_saveexec_b64 s[28:29], s[34:35]
	s_cbranch_execz .LBB6_17510
; %bb.17509:                            ;   in Loop: Header=BB6_16537 Depth=3
	v_or_b32_e32 v2, 0x7e, v2
	buffer_store_dword v2, off, s[0:3], s33 offset:200 ; 4-byte Folded Spill
.LBB6_17510:                            ;   in Loop: Header=BB6_16537 Depth=3
	s_or_b64 exec, exec, s[28:29]
                                        ; implicit-def: $vgpr7
.LBB6_17511:                            ;   in Loop: Header=BB6_16537 Depth=3
	s_andn2_saveexec_b64 s[28:29], s[30:31]
	s_cbranch_execz .LBB6_17513
; %bb.17512:                            ;   in Loop: Header=BB6_16537 Depth=3
	v_or_b32_sdwa v2, v7, s86 dst_sel:DWORD dst_unused:UNUSED_PAD src0_sel:BYTE_3 src1_sel:DWORD
	buffer_store_dword v2, off, s[0:3], s33 offset:200 ; 4-byte Folded Spill
.LBB6_17513:                            ;   in Loop: Header=BB6_16537 Depth=3
	s_or_b64 exec, exec, s[28:29]
	v_mov_b32_e32 v8, v11
	v_mov_b32_e32 v9, v51
	v_cmp_ne_u16_sdwa vcc, v11, v51 src0_sel:BYTE_0 src1_sel:DWORD
	v_mov_b32_e32 v2, 0
	s_and_saveexec_b64 s[28:29], vcc
	s_cbranch_execz .LBB6_17519
; %bb.17514:                            ;   in Loop: Header=BB6_16537 Depth=3
	v_cmp_ne_u16_sdwa vcc, v11, s96 src0_sel:BYTE_0 src1_sel:DWORD
	v_bfrev_b32_e32 v2, 1
	s_and_saveexec_b64 s[30:31], vcc
	s_cbranch_execz .LBB6_17518
; %bb.17515:                            ;   in Loop: Header=BB6_16537 Depth=3
	v_and_b32_e32 v7, 0x7f, v11
	v_cmp_ne_u32_e32 vcc, s86, v7
	v_mov_b32_e32 v2, 0x7f800001
	s_and_saveexec_b64 s[34:35], vcc
	s_cbranch_execz .LBB6_17517
; %bb.17516:                            ;   in Loop: Header=BB6_16537 Depth=3
	v_and_b32_e32 v2, 7, v11
	v_ffbh_u32_e32 v2, v2
	v_min_u32_e32 v2, 32, v2
	v_lshrrev_b32_e32 v12, 3, v7
	v_cmp_gt_u32_e32 vcc, 8, v7
	v_subrev_u32_e32 v7, 28, v2
	v_sub_u32_e32 v2, 29, v2
	v_cndmask_b32_e32 v7, 0, v7, vcc
	v_cndmask_b32_e32 v2, v12, v2, vcc
	v_lshlrev_b64 v[12:13], v7, v[8:9]
	v_lshlrev_b32_e32 v9, 24, v8
	v_lshlrev_b32_e32 v7, 20, v12
	v_bfrev_b32_e32 v12, 60
	v_and_b32_e32 v7, 0x700000, v7
	v_and_b32_e32 v9, 0x80000000, v9
	v_lshl_add_u32 v2, v2, 23, v12
	v_or3_b32 v2, v9, v2, v7
.LBB6_17517:                            ;   in Loop: Header=BB6_16537 Depth=3
	s_or_b64 exec, exec, s[34:35]
.LBB6_17518:                            ;   in Loop: Header=BB6_16537 Depth=3
	s_or_b64 exec, exec, s[30:31]
.LBB6_17519:                            ;   in Loop: Header=BB6_16537 Depth=3
	s_or_b64 exec, exec, s[28:29]
	v_mul_f32_e32 v7, v16, v2
	v_and_b32_e32 v12, 0x7f800000, v7
	v_mov_b32_e32 v13, v51
	v_cmp_ne_u64_e32 vcc, s[76:77], v[12:13]
                                        ; implicit-def: $vgpr57
	s_and_saveexec_b64 s[28:29], vcc
	s_xor_b64 s[30:31], exec, s[28:29]
	s_cbranch_execz .LBB6_17533
; %bb.17520:                            ;   in Loop: Header=BB6_16537 Depth=3
	v_and_b32_e32 v12, 0x7fffffff, v7
	v_mov_b32_e32 v13, v51
	v_cmp_gt_u64_e32 vcc, s[78:79], v[12:13]
	v_and_b32_sdwa v2, v7, s96 dst_sel:DWORD dst_unused:UNUSED_PAD src0_sel:BYTE_3 src1_sel:DWORD
                                        ; implicit-def: $vgpr57
	s_and_saveexec_b64 s[28:29], vcc
	s_xor_b64 s[34:35], exec, s[28:29]
	s_cbranch_execz .LBB6_17530
; %bb.17521:                            ;   in Loop: Header=BB6_16537 Depth=3
	v_mov_b32_e32 v57, 0
	v_cmp_ne_u32_e32 vcc, 0, v7
	s_and_saveexec_b64 s[36:37], vcc
	s_cbranch_execz .LBB6_17529
; %bb.17522:                            ;   in Loop: Header=BB6_16537 Depth=3
	v_and_b32_e32 v12, 0x7fffff, v7
	v_bfe_u32 v7, v7, 23, 8
	v_cmp_gt_u32_e64 s[28:29], s97, v7
	v_sub_u32_e32 v9, 0x79, v7
	v_cmp_eq_u32_e32 vcc, 0, v7
	v_cndmask_b32_e64 v9, 0, v9, s[28:29]
	v_mov_b32_e32 v14, 0x78
	v_cndmask_b32_e32 v9, v9, v14, vcc
	v_add_u32_e32 v14, 20, v9
	v_or_b32_e32 v13, 0x800000, v12
	v_lshlrev_b64 v[14:15], v14, -1
	v_cndmask_b32_e32 v12, v13, v12, vcc
	v_mov_b32_e32 v13, v51
	v_add_u32_e32 v17, 19, v9
	v_bfi_b32 v14, v14, 0, v12
	v_lshlrev_b64 v[17:18], v17, 1
	v_lshrrev_b64 v[12:13], v9, v[12:13]
	v_bfi_b32 v15, v15, 0, 0
	v_cmp_eq_u64_e64 s[28:29], v[14:15], v[17:18]
	v_mov_b32_e32 v14, v13
	v_mov_b32_e32 v13, v12
	s_and_saveexec_b64 s[38:39], s[28:29]
; %bb.17523:                            ;   in Loop: Header=BB6_16537 Depth=3
	v_bfe_u32 v13, v12, 20, 1
	v_add_co_u32_e64 v13, s[28:29], v12, v13
	v_add_co_u32_e64 v13, s[28:29], -1, v13
; %bb.17524:                            ;   in Loop: Header=BB6_16537 Depth=3
	s_or_b64 exec, exec, s[38:39]
	v_add_u32_e32 v7, 0xffffff81, v7
	v_mov_b32_e32 v14, 0xffffff82
	v_cndmask_b32_e32 v7, v7, v14, vcc
	v_lshrrev_b32_e32 v14, 23, v12
	v_add3_u32 v14, v9, v7, v14
	v_add_u32_e32 v9, 6, v14
	v_and_b32_e32 v7, 0xfffff, v13
	v_add_u32_e32 v12, v7, v12
	v_mov_b32_e32 v13, v51
	v_cmp_ne_u32_e32 vcc, 0, v9
                                        ; implicit-def: $vgpr7
	s_and_saveexec_b64 s[28:29], vcc
	s_xor_b64 s[28:29], exec, s[28:29]
; %bb.17525:                            ;   in Loop: Header=BB6_16537 Depth=3
	v_cmp_lt_u64_e32 vcc, s[88:89], v[12:13]
	v_add_u32_e32 v7, 7, v14
	v_cndmask_b32_e32 v7, v9, v7, vcc
	v_cndmask_b32_e64 v9, 0, 1, vcc
	v_lshrrev_b64 v[12:13], v9, v[12:13]
; %bb.17526:                            ;   in Loop: Header=BB6_16537 Depth=3
	s_andn2_saveexec_b64 s[28:29], s[28:29]
; %bb.17527:                            ;   in Loop: Header=BB6_16537 Depth=3
	v_bfe_u32 v7, v12, 23, 1
; %bb.17528:                            ;   in Loop: Header=BB6_16537 Depth=3
	s_or_b64 exec, exec, s[28:29]
	v_lshrrev_b64 v[12:13], 20, v[12:13]
	v_cmp_gt_i32_e32 vcc, 16, v7
	v_cndmask_b32_e32 v13, 0, v13, vcc
	v_cndmask_b32_e32 v12, 7, v12, vcc
	v_cmp_eq_u32_e32 vcc, 0, v7
	v_min_i32_e32 v7, 15, v7
	v_cmp_eq_u64_e64 s[28:29], 0, v[12:13]
	v_lshlrev_b32_e32 v7, 3, v7
	v_and_b32_e32 v7, 0xf8, v7
	v_and_or_b32 v7, v12, 7, v7
	s_and_b64 s[28:29], vcc, s[28:29]
	v_cndmask_b32_e64 v7, v7, 0, s[28:29]
	v_or_b32_e32 v57, v7, v2
.LBB6_17529:                            ;   in Loop: Header=BB6_16537 Depth=3
	s_or_b64 exec, exec, s[36:37]
                                        ; implicit-def: $vgpr2
.LBB6_17530:                            ;   in Loop: Header=BB6_16537 Depth=3
	s_andn2_saveexec_b64 s[28:29], s[34:35]
; %bb.17531:                            ;   in Loop: Header=BB6_16537 Depth=3
	v_or_b32_e32 v57, 0x7e, v2
; %bb.17532:                            ;   in Loop: Header=BB6_16537 Depth=3
	s_or_b64 exec, exec, s[28:29]
                                        ; implicit-def: $vgpr7
.LBB6_17533:                            ;   in Loop: Header=BB6_16537 Depth=3
	s_andn2_saveexec_b64 s[28:29], s[30:31]
; %bb.17534:                            ;   in Loop: Header=BB6_16537 Depth=3
	v_or_b32_sdwa v57, v7, s86 dst_sel:DWORD dst_unused:UNUSED_PAD src0_sel:BYTE_3 src1_sel:DWORD
; %bb.17535:                            ;   in Loop: Header=BB6_16537 Depth=3
	s_or_b64 exec, exec, s[28:29]
	v_lshrrev_b16_e32 v9, 8, v8
	v_cmp_ne_u16_e32 vcc, 0, v9
	v_mov_b32_e32 v2, 0
	s_and_saveexec_b64 s[28:29], vcc
	s_cbranch_execz .LBB6_17541
; %bb.17536:                            ;   in Loop: Header=BB6_16537 Depth=3
	v_cmp_ne_u16_e32 vcc, s96, v9
	v_bfrev_b32_e32 v2, 1
	s_and_saveexec_b64 s[30:31], vcc
	s_cbranch_execz .LBB6_17540
; %bb.17537:                            ;   in Loop: Header=BB6_16537 Depth=3
	v_and_b32_e32 v7, 0x7f, v9
	v_cmp_ne_u32_e32 vcc, s86, v7
	v_mov_b32_e32 v2, 0x7f800001
	s_and_saveexec_b64 s[34:35], vcc
	s_cbranch_execz .LBB6_17539
; %bb.17538:                            ;   in Loop: Header=BB6_16537 Depth=3
	v_and_b32_e32 v2, 7, v9
	v_lshrrev_b32_e32 v14, 3, v7
	v_cmp_gt_u32_e32 vcc, 8, v7
	v_ffbh_u32_e32 v7, v2
	v_min_u32_e32 v7, 32, v7
	v_subrev_u32_e32 v12, 28, v7
	v_lshlrev_b64 v[12:13], v12, v[9:10]
	v_sub_u32_e32 v7, 29, v7
	v_and_b32_e32 v9, 7, v12
	v_cndmask_b32_e32 v7, v14, v7, vcc
	v_cndmask_b32_e32 v2, v2, v9, vcc
	v_lshlrev_b32_e32 v8, 16, v8
	v_bfrev_b32_e32 v9, 60
	v_lshlrev_b32_e32 v2, 20, v2
	v_and_b32_e32 v8, 0x80000000, v8
	v_lshl_add_u32 v7, v7, 23, v9
	v_or3_b32 v2, v8, v7, v2
.LBB6_17539:                            ;   in Loop: Header=BB6_16537 Depth=3
	s_or_b64 exec, exec, s[34:35]
.LBB6_17540:                            ;   in Loop: Header=BB6_16537 Depth=3
	s_or_b64 exec, exec, s[30:31]
.LBB6_17541:                            ;   in Loop: Header=BB6_16537 Depth=3
	s_or_b64 exec, exec, s[28:29]
	v_mul_f32_e32 v7, v16, v2
	v_and_b32_e32 v8, 0x7f800000, v7
	v_mov_b32_e32 v9, v51
	v_cmp_ne_u64_e32 vcc, s[76:77], v[8:9]
                                        ; implicit-def: $vgpr2
                                        ; kill: killed $vgpr2
	s_and_saveexec_b64 s[28:29], vcc
	s_xor_b64 s[30:31], exec, s[28:29]
	s_cbranch_execz .LBB6_17555
; %bb.17542:                            ;   in Loop: Header=BB6_16537 Depth=3
	v_and_b32_e32 v8, 0x7fffffff, v7
	v_mov_b32_e32 v9, v51
	v_cmp_gt_u64_e32 vcc, s[78:79], v[8:9]
	v_and_b32_sdwa v2, v7, s96 dst_sel:DWORD dst_unused:UNUSED_PAD src0_sel:BYTE_3 src1_sel:DWORD
                                        ; implicit-def: $vgpr8
                                        ; kill: killed $vgpr8
	s_and_saveexec_b64 s[28:29], vcc
	s_xor_b64 s[34:35], exec, s[28:29]
	s_cbranch_execz .LBB6_17552
; %bb.17543:                            ;   in Loop: Header=BB6_16537 Depth=3
	v_mov_b32_e32 v8, 0
	v_cmp_ne_u32_e32 vcc, 0, v7
	buffer_store_dword v8, off, s[0:3], s33 offset:152 ; 4-byte Folded Spill
	s_and_saveexec_b64 s[36:37], vcc
	s_cbranch_execz .LBB6_17551
; %bb.17544:                            ;   in Loop: Header=BB6_16537 Depth=3
	v_and_b32_e32 v8, 0x7fffff, v7
	v_bfe_u32 v7, v7, 23, 8
	v_cmp_gt_u32_e64 s[28:29], s97, v7
	v_sub_u32_e32 v9, 0x79, v7
	v_cmp_eq_u32_e32 vcc, 0, v7
	v_cndmask_b32_e64 v9, 0, v9, s[28:29]
	v_mov_b32_e32 v13, 0x78
	v_or_b32_e32 v12, 0x800000, v8
	v_cndmask_b32_e32 v14, v9, v13, vcc
	v_cndmask_b32_e32 v8, v12, v8, vcc
	v_add_u32_e32 v12, 20, v14
	v_lshlrev_b64 v[12:13], v12, -1
	v_mov_b32_e32 v9, v51
	v_add_u32_e32 v15, 19, v14
	v_bfi_b32 v12, v12, 0, v8
	v_lshlrev_b64 v[17:18], v15, 1
	v_lshrrev_b64 v[8:9], v14, v[8:9]
	v_bfi_b32 v13, v13, 0, 0
	v_cmp_eq_u64_e64 s[28:29], v[12:13], v[17:18]
	v_mov_b32_e32 v13, v9
	v_mov_b32_e32 v12, v8
	s_and_saveexec_b64 s[38:39], s[28:29]
; %bb.17545:                            ;   in Loop: Header=BB6_16537 Depth=3
	v_bfe_u32 v9, v8, 20, 1
	v_add_co_u32_e64 v9, s[28:29], v8, v9
	v_add_co_u32_e64 v12, s[28:29], -1, v9
; %bb.17546:                            ;   in Loop: Header=BB6_16537 Depth=3
	s_or_b64 exec, exec, s[38:39]
	v_add_u32_e32 v7, 0xffffff81, v7
	v_mov_b32_e32 v9, 0xffffff82
	v_cndmask_b32_e32 v7, v7, v9, vcc
	v_lshrrev_b32_e32 v9, 23, v8
	v_add3_u32 v14, v14, v7, v9
	v_add_u32_e32 v13, 6, v14
	v_and_b32_e32 v7, 0xfffff, v12
	v_add_u32_e32 v8, v7, v8
	v_mov_b32_e32 v9, v51
	v_cmp_ne_u32_e32 vcc, 0, v13
                                        ; implicit-def: $vgpr7
	s_and_saveexec_b64 s[28:29], vcc
	s_xor_b64 s[28:29], exec, s[28:29]
; %bb.17547:                            ;   in Loop: Header=BB6_16537 Depth=3
	v_cmp_lt_u64_e32 vcc, s[88:89], v[8:9]
	v_add_u32_e32 v7, 7, v14
	v_cndmask_b32_e64 v12, 0, 1, vcc
	v_lshrrev_b64 v[8:9], v12, v[8:9]
	v_cndmask_b32_e32 v7, v13, v7, vcc
; %bb.17548:                            ;   in Loop: Header=BB6_16537 Depth=3
	s_andn2_saveexec_b64 s[28:29], s[28:29]
; %bb.17549:                            ;   in Loop: Header=BB6_16537 Depth=3
	v_bfe_u32 v7, v8, 23, 1
; %bb.17550:                            ;   in Loop: Header=BB6_16537 Depth=3
	s_or_b64 exec, exec, s[28:29]
	v_lshrrev_b64 v[8:9], 20, v[8:9]
	v_cmp_gt_i32_e32 vcc, 16, v7
	v_cndmask_b32_e32 v9, 0, v9, vcc
	v_cndmask_b32_e32 v8, 7, v8, vcc
	v_cmp_eq_u32_e32 vcc, 0, v7
	v_min_i32_e32 v7, 15, v7
	v_cmp_eq_u64_e64 s[28:29], 0, v[8:9]
	v_lshlrev_b32_e32 v7, 3, v7
	v_and_b32_e32 v7, 0xf8, v7
	v_and_or_b32 v7, v8, 7, v7
	s_and_b64 s[28:29], vcc, s[28:29]
	v_cndmask_b32_e64 v7, v7, 0, s[28:29]
	v_or_b32_e32 v2, v7, v2
	buffer_store_dword v2, off, s[0:3], s33 offset:152 ; 4-byte Folded Spill
.LBB6_17551:                            ;   in Loop: Header=BB6_16537 Depth=3
	s_or_b64 exec, exec, s[36:37]
                                        ; implicit-def: $vgpr2
.LBB6_17552:                            ;   in Loop: Header=BB6_16537 Depth=3
	s_andn2_saveexec_b64 s[28:29], s[34:35]
	s_cbranch_execz .LBB6_17554
; %bb.17553:                            ;   in Loop: Header=BB6_16537 Depth=3
	v_or_b32_e32 v2, 0x7e, v2
	buffer_store_dword v2, off, s[0:3], s33 offset:152 ; 4-byte Folded Spill
.LBB6_17554:                            ;   in Loop: Header=BB6_16537 Depth=3
	s_or_b64 exec, exec, s[28:29]
                                        ; implicit-def: $vgpr7
.LBB6_17555:                            ;   in Loop: Header=BB6_16537 Depth=3
	s_andn2_saveexec_b64 s[28:29], s[30:31]
	s_cbranch_execz .LBB6_17557
; %bb.17556:                            ;   in Loop: Header=BB6_16537 Depth=3
	v_or_b32_sdwa v2, v7, s86 dst_sel:DWORD dst_unused:UNUSED_PAD src0_sel:BYTE_3 src1_sel:DWORD
	buffer_store_dword v2, off, s[0:3], s33 offset:152 ; 4-byte Folded Spill
.LBB6_17557:                            ;   in Loop: Header=BB6_16537 Depth=3
	s_or_b64 exec, exec, s[28:29]
	v_lshrrev_b32_e32 v8, 16, v11
	v_cmp_ne_u16_sdwa vcc, v8, v51 src0_sel:BYTE_0 src1_sel:DWORD
	v_mov_b32_e32 v2, 0
	s_and_saveexec_b64 s[28:29], vcc
	s_cbranch_execz .LBB6_17563
; %bb.17558:                            ;   in Loop: Header=BB6_16537 Depth=3
	v_cmp_ne_u16_sdwa vcc, v8, s96 src0_sel:BYTE_0 src1_sel:DWORD
	v_bfrev_b32_e32 v2, 1
	s_and_saveexec_b64 s[30:31], vcc
	s_cbranch_execz .LBB6_17562
; %bb.17559:                            ;   in Loop: Header=BB6_16537 Depth=3
	v_bfe_u32 v7, v11, 16, 7
	v_cmp_ne_u32_e32 vcc, s86, v7
	v_mov_b32_e32 v2, 0x7f800001
	s_and_saveexec_b64 s[34:35], vcc
	s_cbranch_execz .LBB6_17561
; %bb.17560:                            ;   in Loop: Header=BB6_16537 Depth=3
	v_and_b32_e32 v2, 7, v8
	v_lshrrev_b32_e32 v9, 3, v7
	v_cmp_gt_u32_e32 vcc, 8, v7
	v_ffbh_u32_e32 v7, v2
	v_min_u32_e32 v7, 32, v7
	v_subrev_u32_e32 v12, 28, v7
	v_lshlrev_b64 v[12:13], v12, v[8:9]
	v_sub_u32_e32 v7, 29, v7
	v_and_b32_e32 v12, 7, v12
	v_cndmask_b32_e32 v7, v9, v7, vcc
	v_cndmask_b32_e32 v2, v2, v12, vcc
	v_lshlrev_b32_e32 v8, 24, v8
	v_bfrev_b32_e32 v9, 60
	v_lshlrev_b32_e32 v2, 20, v2
	v_and_b32_e32 v8, 0x80000000, v8
	v_lshl_add_u32 v7, v7, 23, v9
	v_or3_b32 v2, v8, v7, v2
.LBB6_17561:                            ;   in Loop: Header=BB6_16537 Depth=3
	s_or_b64 exec, exec, s[34:35]
.LBB6_17562:                            ;   in Loop: Header=BB6_16537 Depth=3
	s_or_b64 exec, exec, s[30:31]
.LBB6_17563:                            ;   in Loop: Header=BB6_16537 Depth=3
	s_or_b64 exec, exec, s[28:29]
	v_mul_f32_e32 v7, v16, v2
	v_and_b32_e32 v8, 0x7f800000, v7
	v_mov_b32_e32 v9, v51
	v_cmp_ne_u64_e32 vcc, s[76:77], v[8:9]
                                        ; implicit-def: $vgpr2
                                        ; kill: killed $vgpr2
	s_and_saveexec_b64 s[28:29], vcc
	s_xor_b64 s[30:31], exec, s[28:29]
	s_cbranch_execz .LBB6_17577
; %bb.17564:                            ;   in Loop: Header=BB6_16537 Depth=3
	v_and_b32_e32 v8, 0x7fffffff, v7
	v_mov_b32_e32 v9, v51
	v_cmp_gt_u64_e32 vcc, s[78:79], v[8:9]
	v_and_b32_sdwa v2, v7, s96 dst_sel:DWORD dst_unused:UNUSED_PAD src0_sel:BYTE_3 src1_sel:DWORD
                                        ; implicit-def: $vgpr8
                                        ; kill: killed $vgpr8
	s_and_saveexec_b64 s[28:29], vcc
	s_xor_b64 s[34:35], exec, s[28:29]
	s_cbranch_execz .LBB6_17574
; %bb.17565:                            ;   in Loop: Header=BB6_16537 Depth=3
	v_mov_b32_e32 v8, 0
	v_cmp_ne_u32_e32 vcc, 0, v7
	buffer_store_dword v8, off, s[0:3], s33 offset:176 ; 4-byte Folded Spill
	s_and_saveexec_b64 s[36:37], vcc
	s_cbranch_execz .LBB6_17573
; %bb.17566:                            ;   in Loop: Header=BB6_16537 Depth=3
	v_and_b32_e32 v8, 0x7fffff, v7
	v_bfe_u32 v7, v7, 23, 8
	v_cmp_gt_u32_e64 s[28:29], s97, v7
	v_sub_u32_e32 v9, 0x79, v7
	v_cmp_eq_u32_e32 vcc, 0, v7
	v_cndmask_b32_e64 v9, 0, v9, s[28:29]
	v_mov_b32_e32 v13, 0x78
	v_or_b32_e32 v12, 0x800000, v8
	v_cndmask_b32_e32 v14, v9, v13, vcc
	v_cndmask_b32_e32 v8, v12, v8, vcc
	v_add_u32_e32 v12, 20, v14
	v_lshlrev_b64 v[12:13], v12, -1
	v_mov_b32_e32 v9, v51
	v_add_u32_e32 v15, 19, v14
	v_bfi_b32 v12, v12, 0, v8
	v_lshlrev_b64 v[17:18], v15, 1
	v_lshrrev_b64 v[8:9], v14, v[8:9]
	v_bfi_b32 v13, v13, 0, 0
	v_cmp_eq_u64_e64 s[28:29], v[12:13], v[17:18]
	v_mov_b32_e32 v13, v9
	v_mov_b32_e32 v12, v8
	s_and_saveexec_b64 s[38:39], s[28:29]
; %bb.17567:                            ;   in Loop: Header=BB6_16537 Depth=3
	v_bfe_u32 v9, v8, 20, 1
	v_add_co_u32_e64 v9, s[28:29], v8, v9
	v_add_co_u32_e64 v12, s[28:29], -1, v9
; %bb.17568:                            ;   in Loop: Header=BB6_16537 Depth=3
	s_or_b64 exec, exec, s[38:39]
	v_add_u32_e32 v7, 0xffffff81, v7
	v_mov_b32_e32 v9, 0xffffff82
	v_cndmask_b32_e32 v7, v7, v9, vcc
	v_lshrrev_b32_e32 v9, 23, v8
	v_add3_u32 v14, v14, v7, v9
	v_add_u32_e32 v13, 6, v14
	v_and_b32_e32 v7, 0xfffff, v12
	v_add_u32_e32 v8, v7, v8
	v_mov_b32_e32 v9, v51
	v_cmp_ne_u32_e32 vcc, 0, v13
                                        ; implicit-def: $vgpr7
	s_and_saveexec_b64 s[28:29], vcc
	s_xor_b64 s[28:29], exec, s[28:29]
; %bb.17569:                            ;   in Loop: Header=BB6_16537 Depth=3
	v_cmp_lt_u64_e32 vcc, s[88:89], v[8:9]
	v_add_u32_e32 v7, 7, v14
	v_cndmask_b32_e64 v12, 0, 1, vcc
	v_lshrrev_b64 v[8:9], v12, v[8:9]
	v_cndmask_b32_e32 v7, v13, v7, vcc
; %bb.17570:                            ;   in Loop: Header=BB6_16537 Depth=3
	s_andn2_saveexec_b64 s[28:29], s[28:29]
; %bb.17571:                            ;   in Loop: Header=BB6_16537 Depth=3
	v_bfe_u32 v7, v8, 23, 1
; %bb.17572:                            ;   in Loop: Header=BB6_16537 Depth=3
	s_or_b64 exec, exec, s[28:29]
	v_lshrrev_b64 v[8:9], 20, v[8:9]
	v_cmp_gt_i32_e32 vcc, 16, v7
	v_cndmask_b32_e32 v9, 0, v9, vcc
	v_cndmask_b32_e32 v8, 7, v8, vcc
	v_cmp_eq_u32_e32 vcc, 0, v7
	v_min_i32_e32 v7, 15, v7
	v_cmp_eq_u64_e64 s[28:29], 0, v[8:9]
	v_lshlrev_b32_e32 v7, 3, v7
	v_and_b32_e32 v7, 0xf8, v7
	v_and_or_b32 v7, v8, 7, v7
	s_and_b64 s[28:29], vcc, s[28:29]
	v_cndmask_b32_e64 v7, v7, 0, s[28:29]
	v_or_b32_e32 v2, v7, v2
	buffer_store_dword v2, off, s[0:3], s33 offset:176 ; 4-byte Folded Spill
.LBB6_17573:                            ;   in Loop: Header=BB6_16537 Depth=3
	s_or_b64 exec, exec, s[36:37]
                                        ; implicit-def: $vgpr2
.LBB6_17574:                            ;   in Loop: Header=BB6_16537 Depth=3
	s_andn2_saveexec_b64 s[28:29], s[34:35]
	s_cbranch_execz .LBB6_17576
; %bb.17575:                            ;   in Loop: Header=BB6_16537 Depth=3
	v_or_b32_e32 v2, 0x7e, v2
	buffer_store_dword v2, off, s[0:3], s33 offset:176 ; 4-byte Folded Spill
.LBB6_17576:                            ;   in Loop: Header=BB6_16537 Depth=3
	s_or_b64 exec, exec, s[28:29]
                                        ; implicit-def: $vgpr7
.LBB6_17577:                            ;   in Loop: Header=BB6_16537 Depth=3
	s_andn2_saveexec_b64 s[28:29], s[30:31]
	s_cbranch_execz .LBB6_17579
; %bb.17578:                            ;   in Loop: Header=BB6_16537 Depth=3
	v_or_b32_sdwa v2, v7, s86 dst_sel:DWORD dst_unused:UNUSED_PAD src0_sel:BYTE_3 src1_sel:DWORD
	buffer_store_dword v2, off, s[0:3], s33 offset:176 ; 4-byte Folded Spill
.LBB6_17579:                            ;   in Loop: Header=BB6_16537 Depth=3
	s_or_b64 exec, exec, s[28:29]
	v_cmp_lt_u64_e32 vcc, s[56:57], v[10:11]
	v_mov_b32_e32 v2, 0
	s_and_saveexec_b64 s[28:29], vcc
	s_cbranch_execz .LBB6_17585
; %bb.17580:                            ;   in Loop: Header=BB6_16537 Depth=3
	v_lshrrev_b32_e32 v8, 24, v11
	v_cmp_ne_u32_e32 vcc, s96, v8
	v_bfrev_b32_e32 v2, 1
	s_and_saveexec_b64 s[30:31], vcc
	s_cbranch_execz .LBB6_17584
; %bb.17581:                            ;   in Loop: Header=BB6_16537 Depth=3
	v_bfe_u32 v7, v11, 24, 7
	v_cmp_ne_u32_e32 vcc, s86, v7
	v_mov_b32_e32 v2, 0x7f800001
	s_and_saveexec_b64 s[34:35], vcc
	s_cbranch_execz .LBB6_17583
; %bb.17582:                            ;   in Loop: Header=BB6_16537 Depth=3
	v_and_b32_e32 v2, 7, v8
	v_lshrrev_b32_e32 v11, 3, v7
	v_cmp_gt_u32_e32 vcc, 8, v7
	v_ffbh_u32_e32 v7, v2
	v_min_u32_e32 v7, 32, v7
	v_subrev_u32_e32 v9, 28, v7
	v_lshlrev_b64 v[9:10], v9, v[8:9]
	v_sub_u32_e32 v7, 29, v7
	v_and_b32_e32 v9, 7, v9
	v_cndmask_b32_e32 v7, v11, v7, vcc
	v_cndmask_b32_e32 v2, v2, v9, vcc
	v_lshlrev_b32_e32 v8, 24, v8
	v_bfrev_b32_e32 v9, 60
	v_lshlrev_b32_e32 v2, 20, v2
	v_and_b32_e32 v8, 0x80000000, v8
	v_lshl_add_u32 v7, v7, 23, v9
	v_or3_b32 v2, v8, v7, v2
.LBB6_17583:                            ;   in Loop: Header=BB6_16537 Depth=3
	s_or_b64 exec, exec, s[34:35]
.LBB6_17584:                            ;   in Loop: Header=BB6_16537 Depth=3
	s_or_b64 exec, exec, s[30:31]
.LBB6_17585:                            ;   in Loop: Header=BB6_16537 Depth=3
	s_or_b64 exec, exec, s[28:29]
	v_mul_f32_e32 v7, v16, v2
	v_and_b32_e32 v8, 0x7f800000, v7
	v_mov_b32_e32 v9, v51
	v_cmp_ne_u64_e32 vcc, s[76:77], v[8:9]
                                        ; implicit-def: $vgpr2
                                        ; kill: killed $vgpr2
	s_and_saveexec_b64 s[28:29], vcc
	s_xor_b64 s[30:31], exec, s[28:29]
	s_cbranch_execz .LBB6_17599
; %bb.17586:                            ;   in Loop: Header=BB6_16537 Depth=3
	v_and_b32_e32 v8, 0x7fffffff, v7
	v_mov_b32_e32 v9, v51
	v_cmp_gt_u64_e32 vcc, s[78:79], v[8:9]
	v_and_b32_sdwa v2, v7, s96 dst_sel:DWORD dst_unused:UNUSED_PAD src0_sel:BYTE_3 src1_sel:DWORD
                                        ; implicit-def: $vgpr8
                                        ; kill: killed $vgpr8
	s_and_saveexec_b64 s[28:29], vcc
	s_xor_b64 s[34:35], exec, s[28:29]
	s_cbranch_execz .LBB6_17596
; %bb.17587:                            ;   in Loop: Header=BB6_16537 Depth=3
	v_mov_b32_e32 v8, 0
	v_cmp_ne_u32_e32 vcc, 0, v7
	buffer_store_dword v8, off, s[0:3], s33 offset:192 ; 4-byte Folded Spill
	s_and_saveexec_b64 s[36:37], vcc
	s_cbranch_execz .LBB6_17595
; %bb.17588:                            ;   in Loop: Header=BB6_16537 Depth=3
	v_and_b32_e32 v8, 0x7fffff, v7
	v_bfe_u32 v7, v7, 23, 8
	v_cmp_gt_u32_e64 s[28:29], s97, v7
	v_sub_u32_e32 v9, 0x79, v7
	v_cmp_eq_u32_e32 vcc, 0, v7
	v_cndmask_b32_e64 v9, 0, v9, s[28:29]
	v_mov_b32_e32 v11, 0x78
	v_or_b32_e32 v10, 0x800000, v8
	v_cndmask_b32_e32 v11, v9, v11, vcc
	v_cndmask_b32_e32 v8, v10, v8, vcc
	v_add_u32_e32 v10, 20, v11
	v_lshlrev_b64 v[12:13], v10, -1
	v_mov_b32_e32 v9, v51
	v_add_u32_e32 v10, 19, v11
	v_bfi_b32 v12, v12, 0, v8
	v_lshlrev_b64 v[14:15], v10, 1
	v_lshrrev_b64 v[8:9], v11, v[8:9]
	v_bfi_b32 v13, v13, 0, 0
	v_cmp_eq_u64_e64 s[28:29], v[12:13], v[14:15]
	v_mov_b32_e32 v10, v9
	v_mov_b32_e32 v9, v8
	s_and_saveexec_b64 s[38:39], s[28:29]
; %bb.17589:                            ;   in Loop: Header=BB6_16537 Depth=3
	v_bfe_u32 v9, v8, 20, 1
	v_add_co_u32_e64 v9, s[28:29], v8, v9
	v_add_co_u32_e64 v9, s[28:29], -1, v9
; %bb.17590:                            ;   in Loop: Header=BB6_16537 Depth=3
	s_or_b64 exec, exec, s[38:39]
	v_add_u32_e32 v7, 0xffffff81, v7
	v_mov_b32_e32 v10, 0xffffff82
	v_cndmask_b32_e32 v7, v7, v10, vcc
	v_lshrrev_b32_e32 v10, 23, v8
	v_add3_u32 v11, v11, v7, v10
	v_add_u32_e32 v10, 6, v11
	v_and_b32_e32 v7, 0xfffff, v9
	v_add_u32_e32 v8, v7, v8
	v_mov_b32_e32 v9, v51
	v_cmp_ne_u32_e32 vcc, 0, v10
                                        ; implicit-def: $vgpr7
	s_and_saveexec_b64 s[28:29], vcc
	s_xor_b64 s[28:29], exec, s[28:29]
; %bb.17591:                            ;   in Loop: Header=BB6_16537 Depth=3
	v_cmp_lt_u64_e32 vcc, s[88:89], v[8:9]
	v_add_u32_e32 v7, 7, v11
	v_cndmask_b32_e32 v7, v10, v7, vcc
	v_cndmask_b32_e64 v10, 0, 1, vcc
	v_lshrrev_b64 v[8:9], v10, v[8:9]
; %bb.17592:                            ;   in Loop: Header=BB6_16537 Depth=3
	s_andn2_saveexec_b64 s[28:29], s[28:29]
; %bb.17593:                            ;   in Loop: Header=BB6_16537 Depth=3
	v_bfe_u32 v7, v8, 23, 1
; %bb.17594:                            ;   in Loop: Header=BB6_16537 Depth=3
	s_or_b64 exec, exec, s[28:29]
	v_lshrrev_b64 v[8:9], 20, v[8:9]
	v_cmp_gt_i32_e32 vcc, 16, v7
	v_cndmask_b32_e32 v9, 0, v9, vcc
	v_cndmask_b32_e32 v8, 7, v8, vcc
	v_cmp_eq_u32_e32 vcc, 0, v7
	v_min_i32_e32 v7, 15, v7
	v_cmp_eq_u64_e64 s[28:29], 0, v[8:9]
	v_lshlrev_b32_e32 v7, 3, v7
	v_and_b32_e32 v7, 0xf8, v7
	v_and_or_b32 v7, v8, 7, v7
	s_and_b64 s[28:29], vcc, s[28:29]
	v_cndmask_b32_e64 v7, v7, 0, s[28:29]
	v_or_b32_e32 v2, v7, v2
	buffer_store_dword v2, off, s[0:3], s33 offset:192 ; 4-byte Folded Spill
.LBB6_17595:                            ;   in Loop: Header=BB6_16537 Depth=3
	s_or_b64 exec, exec, s[36:37]
                                        ; implicit-def: $vgpr2
.LBB6_17596:                            ;   in Loop: Header=BB6_16537 Depth=3
	s_andn2_saveexec_b64 s[28:29], s[34:35]
	s_cbranch_execz .LBB6_17598
; %bb.17597:                            ;   in Loop: Header=BB6_16537 Depth=3
	v_or_b32_e32 v2, 0x7e, v2
	buffer_store_dword v2, off, s[0:3], s33 offset:192 ; 4-byte Folded Spill
.LBB6_17598:                            ;   in Loop: Header=BB6_16537 Depth=3
	s_or_b64 exec, exec, s[28:29]
                                        ; implicit-def: $vgpr7
.LBB6_17599:                            ;   in Loop: Header=BB6_16537 Depth=3
	s_andn2_saveexec_b64 s[28:29], s[30:31]
	s_cbranch_execz .LBB6_17601
; %bb.17600:                            ;   in Loop: Header=BB6_16537 Depth=3
	v_or_b32_sdwa v2, v7, s86 dst_sel:DWORD dst_unused:UNUSED_PAD src0_sel:BYTE_3 src1_sel:DWORD
	buffer_store_dword v2, off, s[0:3], s33 offset:192 ; 4-byte Folded Spill
.LBB6_17601:                            ;   in Loop: Header=BB6_16537 Depth=3
	s_or_b64 exec, exec, s[28:29]
	global_load_dwordx4 v[8:11], v[26:27], off offset:3072 glc slc
	v_mov_b32_e32 v2, 0
	s_waitcnt vmcnt(0)
	v_cmp_ne_u16_sdwa vcc, v8, v51 src0_sel:BYTE_0 src1_sel:DWORD
	s_and_saveexec_b64 s[28:29], vcc
	s_cbranch_execz .LBB6_17607
; %bb.17602:                            ;   in Loop: Header=BB6_16537 Depth=3
	v_cmp_ne_u16_sdwa vcc, v8, s96 src0_sel:BYTE_0 src1_sel:DWORD
	v_bfrev_b32_e32 v2, 1
	s_and_saveexec_b64 s[30:31], vcc
	s_cbranch_execz .LBB6_17606
; %bb.17603:                            ;   in Loop: Header=BB6_16537 Depth=3
	v_and_b32_e32 v7, 0x7f, v8
	v_cmp_ne_u32_e32 vcc, s86, v7
	v_mov_b32_e32 v2, 0x7f800001
	s_and_saveexec_b64 s[34:35], vcc
	s_cbranch_execz .LBB6_17605
; %bb.17604:                            ;   in Loop: Header=BB6_16537 Depth=3
	v_and_b32_e32 v2, 7, v8
	v_ffbh_u32_e32 v2, v2
	v_min_u32_e32 v2, 32, v2
	v_lshrrev_b32_e32 v12, 3, v7
	v_cmp_gt_u32_e32 vcc, 8, v7
	v_subrev_u32_e32 v7, 28, v2
	v_sub_u32_e32 v2, 29, v2
	v_cndmask_b32_e32 v7, 0, v7, vcc
	v_cndmask_b32_e32 v2, v12, v2, vcc
	v_lshlrev_b64 v[12:13], v7, v[8:9]
	v_bfrev_b32_e32 v13, 60
	v_lshlrev_b32_e32 v7, 20, v12
	v_lshlrev_b32_e32 v12, 24, v8
	v_and_b32_e32 v7, 0x700000, v7
	v_and_b32_e32 v12, 0x80000000, v12
	v_lshl_add_u32 v2, v2, 23, v13
	v_or3_b32 v2, v12, v2, v7
.LBB6_17605:                            ;   in Loop: Header=BB6_16537 Depth=3
	s_or_b64 exec, exec, s[34:35]
.LBB6_17606:                            ;   in Loop: Header=BB6_16537 Depth=3
	s_or_b64 exec, exec, s[30:31]
.LBB6_17607:                            ;   in Loop: Header=BB6_16537 Depth=3
	s_or_b64 exec, exec, s[28:29]
	v_mul_f32_e32 v7, v16, v2
	v_and_b32_e32 v12, 0x7f800000, v7
	v_mov_b32_e32 v13, v51
	v_cmp_ne_u64_e32 vcc, s[76:77], v[12:13]
                                        ; implicit-def: $vgpr54
	s_and_saveexec_b64 s[28:29], vcc
	s_xor_b64 s[30:31], exec, s[28:29]
	s_cbranch_execz .LBB6_17621
; %bb.17608:                            ;   in Loop: Header=BB6_16537 Depth=3
	v_and_b32_e32 v12, 0x7fffffff, v7
	v_mov_b32_e32 v13, v51
	v_cmp_gt_u64_e32 vcc, s[78:79], v[12:13]
	v_and_b32_sdwa v2, v7, s96 dst_sel:DWORD dst_unused:UNUSED_PAD src0_sel:BYTE_3 src1_sel:DWORD
                                        ; implicit-def: $vgpr54
	s_and_saveexec_b64 s[28:29], vcc
	s_xor_b64 s[34:35], exec, s[28:29]
	s_cbranch_execz .LBB6_17618
; %bb.17609:                            ;   in Loop: Header=BB6_16537 Depth=3
	v_mov_b32_e32 v54, 0
	v_cmp_ne_u32_e32 vcc, 0, v7
	s_and_saveexec_b64 s[36:37], vcc
	s_cbranch_execz .LBB6_17617
; %bb.17610:                            ;   in Loop: Header=BB6_16537 Depth=3
	v_and_b32_e32 v12, 0x7fffff, v7
	v_bfe_u32 v7, v7, 23, 8
	v_cmp_gt_u32_e64 s[28:29], s97, v7
	v_sub_u32_e32 v13, 0x79, v7
	v_cmp_eq_u32_e32 vcc, 0, v7
	v_cndmask_b32_e64 v13, 0, v13, s[28:29]
	v_mov_b32_e32 v15, 0x78
	v_or_b32_e32 v14, 0x800000, v12
	v_cndmask_b32_e32 v15, v13, v15, vcc
	v_cndmask_b32_e32 v12, v14, v12, vcc
	v_add_u32_e32 v14, 20, v15
	v_lshlrev_b64 v[17:18], v14, -1
	v_mov_b32_e32 v13, v51
	v_add_u32_e32 v14, 19, v15
	v_bfi_b32 v17, v17, 0, v12
	v_lshlrev_b64 v[19:20], v14, 1
	v_lshrrev_b64 v[12:13], v15, v[12:13]
	v_bfi_b32 v18, v18, 0, 0
	v_cmp_eq_u64_e64 s[28:29], v[17:18], v[19:20]
	v_mov_b32_e32 v14, v13
	v_mov_b32_e32 v13, v12
	s_and_saveexec_b64 s[38:39], s[28:29]
; %bb.17611:                            ;   in Loop: Header=BB6_16537 Depth=3
	v_bfe_u32 v13, v12, 20, 1
	v_add_co_u32_e64 v13, s[28:29], v12, v13
	v_add_co_u32_e64 v13, s[28:29], -1, v13
; %bb.17612:                            ;   in Loop: Header=BB6_16537 Depth=3
	s_or_b64 exec, exec, s[38:39]
	v_add_u32_e32 v7, 0xffffff81, v7
	v_mov_b32_e32 v14, 0xffffff82
	v_cndmask_b32_e32 v7, v7, v14, vcc
	v_lshrrev_b32_e32 v14, 23, v12
	v_add3_u32 v15, v15, v7, v14
	v_add_u32_e32 v14, 6, v15
	v_and_b32_e32 v7, 0xfffff, v13
	v_add_u32_e32 v12, v7, v12
	v_mov_b32_e32 v13, v51
	v_cmp_ne_u32_e32 vcc, 0, v14
                                        ; implicit-def: $vgpr7
	s_and_saveexec_b64 s[28:29], vcc
	s_xor_b64 s[28:29], exec, s[28:29]
; %bb.17613:                            ;   in Loop: Header=BB6_16537 Depth=3
	v_cmp_lt_u64_e32 vcc, s[88:89], v[12:13]
	v_add_u32_e32 v7, 7, v15
	v_cndmask_b32_e32 v7, v14, v7, vcc
	v_cndmask_b32_e64 v14, 0, 1, vcc
	v_lshrrev_b64 v[12:13], v14, v[12:13]
; %bb.17614:                            ;   in Loop: Header=BB6_16537 Depth=3
	s_andn2_saveexec_b64 s[28:29], s[28:29]
; %bb.17615:                            ;   in Loop: Header=BB6_16537 Depth=3
	v_bfe_u32 v7, v12, 23, 1
; %bb.17616:                            ;   in Loop: Header=BB6_16537 Depth=3
	s_or_b64 exec, exec, s[28:29]
	v_lshrrev_b64 v[12:13], 20, v[12:13]
	v_cmp_gt_i32_e32 vcc, 16, v7
	v_cndmask_b32_e32 v13, 0, v13, vcc
	v_cndmask_b32_e32 v12, 7, v12, vcc
	v_cmp_eq_u32_e32 vcc, 0, v7
	v_min_i32_e32 v7, 15, v7
	v_cmp_eq_u64_e64 s[28:29], 0, v[12:13]
	v_lshlrev_b32_e32 v7, 3, v7
	v_and_b32_e32 v7, 0xf8, v7
	v_and_or_b32 v7, v12, 7, v7
	s_and_b64 s[28:29], vcc, s[28:29]
	v_cndmask_b32_e64 v7, v7, 0, s[28:29]
	v_or_b32_e32 v54, v7, v2
.LBB6_17617:                            ;   in Loop: Header=BB6_16537 Depth=3
	s_or_b64 exec, exec, s[36:37]
                                        ; implicit-def: $vgpr2
.LBB6_17618:                            ;   in Loop: Header=BB6_16537 Depth=3
	s_andn2_saveexec_b64 s[28:29], s[34:35]
; %bb.17619:                            ;   in Loop: Header=BB6_16537 Depth=3
	v_or_b32_e32 v54, 0x7e, v2
; %bb.17620:                            ;   in Loop: Header=BB6_16537 Depth=3
	s_or_b64 exec, exec, s[28:29]
                                        ; implicit-def: $vgpr7
.LBB6_17621:                            ;   in Loop: Header=BB6_16537 Depth=3
	s_andn2_saveexec_b64 s[28:29], s[30:31]
; %bb.17622:                            ;   in Loop: Header=BB6_16537 Depth=3
	v_or_b32_sdwa v54, v7, s86 dst_sel:DWORD dst_unused:UNUSED_PAD src0_sel:BYTE_3 src1_sel:DWORD
; %bb.17623:                            ;   in Loop: Header=BB6_16537 Depth=3
	s_or_b64 exec, exec, s[28:29]
	v_lshrrev_b16_e32 v12, 8, v8
	v_cmp_ne_u16_e32 vcc, 0, v12
	v_mov_b32_e32 v2, 0
	s_and_saveexec_b64 s[28:29], vcc
	s_cbranch_execz .LBB6_17629
; %bb.17624:                            ;   in Loop: Header=BB6_16537 Depth=3
	v_cmp_ne_u16_e32 vcc, s96, v12
	v_bfrev_b32_e32 v2, 1
	s_and_saveexec_b64 s[30:31], vcc
	s_cbranch_execz .LBB6_17628
; %bb.17625:                            ;   in Loop: Header=BB6_16537 Depth=3
	v_and_b32_e32 v7, 0x7f, v12
	v_cmp_ne_u32_e32 vcc, s86, v7
	v_mov_b32_e32 v2, 0x7f800001
	s_and_saveexec_b64 s[34:35], vcc
	s_cbranch_execz .LBB6_17627
; %bb.17626:                            ;   in Loop: Header=BB6_16537 Depth=3
	v_and_b32_e32 v2, 7, v12
	v_lshrrev_b32_e32 v14, 3, v7
	v_cmp_gt_u32_e32 vcc, 8, v7
	v_ffbh_u32_e32 v7, v2
	v_min_u32_e32 v7, 32, v7
	v_subrev_u32_e32 v13, 28, v7
	v_lshlrev_b64 v[12:13], v13, v[12:13]
	v_sub_u32_e32 v7, 29, v7
	v_and_b32_e32 v12, 7, v12
	v_cndmask_b32_e32 v7, v14, v7, vcc
	v_cndmask_b32_e32 v2, v2, v12, vcc
	v_lshlrev_b32_e32 v12, 16, v8
	v_bfrev_b32_e32 v13, 60
	v_lshlrev_b32_e32 v2, 20, v2
	v_and_b32_e32 v12, 0x80000000, v12
	v_lshl_add_u32 v7, v7, 23, v13
	v_or3_b32 v2, v12, v7, v2
.LBB6_17627:                            ;   in Loop: Header=BB6_16537 Depth=3
	s_or_b64 exec, exec, s[34:35]
.LBB6_17628:                            ;   in Loop: Header=BB6_16537 Depth=3
	s_or_b64 exec, exec, s[30:31]
.LBB6_17629:                            ;   in Loop: Header=BB6_16537 Depth=3
	s_or_b64 exec, exec, s[28:29]
	v_mul_f32_e32 v7, v16, v2
	v_and_b32_e32 v12, 0x7f800000, v7
	v_mov_b32_e32 v13, v51
	v_cmp_ne_u64_e32 vcc, s[76:77], v[12:13]
                                        ; implicit-def: $vgpr2
                                        ; kill: killed $vgpr2
	s_and_saveexec_b64 s[28:29], vcc
	s_xor_b64 s[30:31], exec, s[28:29]
	s_cbranch_execz .LBB6_17643
; %bb.17630:                            ;   in Loop: Header=BB6_16537 Depth=3
	v_and_b32_e32 v12, 0x7fffffff, v7
	v_mov_b32_e32 v13, v51
	v_cmp_gt_u64_e32 vcc, s[78:79], v[12:13]
	v_and_b32_sdwa v2, v7, s96 dst_sel:DWORD dst_unused:UNUSED_PAD src0_sel:BYTE_3 src1_sel:DWORD
                                        ; implicit-def: $vgpr12
                                        ; kill: killed $vgpr12
	s_and_saveexec_b64 s[28:29], vcc
	s_xor_b64 s[34:35], exec, s[28:29]
	s_cbranch_execz .LBB6_17640
; %bb.17631:                            ;   in Loop: Header=BB6_16537 Depth=3
	v_mov_b32_e32 v12, 0
	v_cmp_ne_u32_e32 vcc, 0, v7
	buffer_store_dword v12, off, s[0:3], s33 offset:136 ; 4-byte Folded Spill
	s_and_saveexec_b64 s[36:37], vcc
	s_cbranch_execz .LBB6_17639
; %bb.17632:                            ;   in Loop: Header=BB6_16537 Depth=3
	v_and_b32_e32 v12, 0x7fffff, v7
	v_bfe_u32 v7, v7, 23, 8
	v_cmp_gt_u32_e64 s[28:29], s97, v7
	v_sub_u32_e32 v13, 0x79, v7
	v_cmp_eq_u32_e32 vcc, 0, v7
	v_cndmask_b32_e64 v13, 0, v13, s[28:29]
	v_mov_b32_e32 v15, 0x78
	v_or_b32_e32 v14, 0x800000, v12
	v_cndmask_b32_e32 v15, v13, v15, vcc
	v_cndmask_b32_e32 v12, v14, v12, vcc
	v_add_u32_e32 v14, 20, v15
	v_lshlrev_b64 v[17:18], v14, -1
	v_mov_b32_e32 v13, v51
	v_add_u32_e32 v14, 19, v15
	v_bfi_b32 v17, v17, 0, v12
	v_lshlrev_b64 v[19:20], v14, 1
	v_lshrrev_b64 v[12:13], v15, v[12:13]
	v_bfi_b32 v18, v18, 0, 0
	v_cmp_eq_u64_e64 s[28:29], v[17:18], v[19:20]
	v_mov_b32_e32 v14, v13
	v_mov_b32_e32 v13, v12
	s_and_saveexec_b64 s[38:39], s[28:29]
; %bb.17633:                            ;   in Loop: Header=BB6_16537 Depth=3
	v_bfe_u32 v13, v12, 20, 1
	v_add_co_u32_e64 v13, s[28:29], v12, v13
	v_add_co_u32_e64 v13, s[28:29], -1, v13
; %bb.17634:                            ;   in Loop: Header=BB6_16537 Depth=3
	s_or_b64 exec, exec, s[38:39]
	v_add_u32_e32 v7, 0xffffff81, v7
	v_mov_b32_e32 v14, 0xffffff82
	v_cndmask_b32_e32 v7, v7, v14, vcc
	v_lshrrev_b32_e32 v14, 23, v12
	v_add3_u32 v15, v15, v7, v14
	v_add_u32_e32 v14, 6, v15
	v_and_b32_e32 v7, 0xfffff, v13
	v_add_u32_e32 v12, v7, v12
	v_mov_b32_e32 v13, v51
	v_cmp_ne_u32_e32 vcc, 0, v14
                                        ; implicit-def: $vgpr7
	s_and_saveexec_b64 s[28:29], vcc
	s_xor_b64 s[28:29], exec, s[28:29]
; %bb.17635:                            ;   in Loop: Header=BB6_16537 Depth=3
	v_cmp_lt_u64_e32 vcc, s[88:89], v[12:13]
	v_add_u32_e32 v7, 7, v15
	v_cndmask_b32_e32 v7, v14, v7, vcc
	v_cndmask_b32_e64 v14, 0, 1, vcc
	v_lshrrev_b64 v[12:13], v14, v[12:13]
; %bb.17636:                            ;   in Loop: Header=BB6_16537 Depth=3
	s_andn2_saveexec_b64 s[28:29], s[28:29]
; %bb.17637:                            ;   in Loop: Header=BB6_16537 Depth=3
	v_bfe_u32 v7, v12, 23, 1
; %bb.17638:                            ;   in Loop: Header=BB6_16537 Depth=3
	s_or_b64 exec, exec, s[28:29]
	v_lshrrev_b64 v[12:13], 20, v[12:13]
	v_cmp_gt_i32_e32 vcc, 16, v7
	v_cndmask_b32_e32 v13, 0, v13, vcc
	v_cndmask_b32_e32 v12, 7, v12, vcc
	v_cmp_eq_u32_e32 vcc, 0, v7
	v_min_i32_e32 v7, 15, v7
	v_cmp_eq_u64_e64 s[28:29], 0, v[12:13]
	v_lshlrev_b32_e32 v7, 3, v7
	v_and_b32_e32 v7, 0xf8, v7
	v_and_or_b32 v7, v12, 7, v7
	s_and_b64 s[28:29], vcc, s[28:29]
	v_cndmask_b32_e64 v7, v7, 0, s[28:29]
	v_or_b32_e32 v2, v7, v2
	buffer_store_dword v2, off, s[0:3], s33 offset:136 ; 4-byte Folded Spill
.LBB6_17639:                            ;   in Loop: Header=BB6_16537 Depth=3
	s_or_b64 exec, exec, s[36:37]
                                        ; implicit-def: $vgpr2
.LBB6_17640:                            ;   in Loop: Header=BB6_16537 Depth=3
	s_andn2_saveexec_b64 s[28:29], s[34:35]
	s_cbranch_execz .LBB6_17642
; %bb.17641:                            ;   in Loop: Header=BB6_16537 Depth=3
	v_or_b32_e32 v2, 0x7e, v2
	buffer_store_dword v2, off, s[0:3], s33 offset:136 ; 4-byte Folded Spill
.LBB6_17642:                            ;   in Loop: Header=BB6_16537 Depth=3
	s_or_b64 exec, exec, s[28:29]
                                        ; implicit-def: $vgpr7
.LBB6_17643:                            ;   in Loop: Header=BB6_16537 Depth=3
	s_andn2_saveexec_b64 s[28:29], s[30:31]
	s_cbranch_execz .LBB6_17645
; %bb.17644:                            ;   in Loop: Header=BB6_16537 Depth=3
	v_or_b32_sdwa v2, v7, s86 dst_sel:DWORD dst_unused:UNUSED_PAD src0_sel:BYTE_3 src1_sel:DWORD
	buffer_store_dword v2, off, s[0:3], s33 offset:136 ; 4-byte Folded Spill
.LBB6_17645:                            ;   in Loop: Header=BB6_16537 Depth=3
	s_or_b64 exec, exec, s[28:29]
	v_lshrrev_b32_e32 v12, 16, v8
	v_cmp_ne_u16_sdwa vcc, v12, v51 src0_sel:BYTE_0 src1_sel:DWORD
	v_mov_b32_e32 v2, 0
	s_and_saveexec_b64 s[28:29], vcc
	s_cbranch_execz .LBB6_17651
; %bb.17646:                            ;   in Loop: Header=BB6_16537 Depth=3
	v_cmp_ne_u16_sdwa vcc, v12, s96 src0_sel:BYTE_0 src1_sel:DWORD
	v_bfrev_b32_e32 v2, 1
	s_and_saveexec_b64 s[30:31], vcc
	s_cbranch_execz .LBB6_17650
; %bb.17647:                            ;   in Loop: Header=BB6_16537 Depth=3
	v_bfe_u32 v7, v8, 16, 7
	v_cmp_ne_u32_e32 vcc, s86, v7
	v_mov_b32_e32 v2, 0x7f800001
	s_and_saveexec_b64 s[34:35], vcc
	s_cbranch_execz .LBB6_17649
; %bb.17648:                            ;   in Loop: Header=BB6_16537 Depth=3
	v_and_b32_e32 v2, 7, v12
	v_lshrrev_b32_e32 v15, 3, v7
	v_cmp_gt_u32_e32 vcc, 8, v7
	v_ffbh_u32_e32 v7, v2
	v_min_u32_e32 v7, 32, v7
	v_subrev_u32_e32 v13, 28, v7
	v_lshlrev_b64 v[13:14], v13, v[12:13]
	v_sub_u32_e32 v7, 29, v7
	v_and_b32_e32 v13, 7, v13
	v_cndmask_b32_e32 v7, v15, v7, vcc
	v_cndmask_b32_e32 v2, v2, v13, vcc
	v_lshlrev_b32_e32 v12, 24, v12
	v_bfrev_b32_e32 v13, 60
	v_lshlrev_b32_e32 v2, 20, v2
	v_and_b32_e32 v12, 0x80000000, v12
	v_lshl_add_u32 v7, v7, 23, v13
	v_or3_b32 v2, v12, v7, v2
.LBB6_17649:                            ;   in Loop: Header=BB6_16537 Depth=3
	s_or_b64 exec, exec, s[34:35]
.LBB6_17650:                            ;   in Loop: Header=BB6_16537 Depth=3
	s_or_b64 exec, exec, s[30:31]
.LBB6_17651:                            ;   in Loop: Header=BB6_16537 Depth=3
	s_or_b64 exec, exec, s[28:29]
	v_mul_f32_e32 v7, v16, v2
	v_and_b32_e32 v12, 0x7f800000, v7
	v_mov_b32_e32 v13, v51
	v_cmp_ne_u64_e32 vcc, s[76:77], v[12:13]
                                        ; implicit-def: $vgpr2
                                        ; kill: killed $vgpr2
	s_and_saveexec_b64 s[28:29], vcc
	s_xor_b64 s[30:31], exec, s[28:29]
	s_cbranch_execz .LBB6_17665
; %bb.17652:                            ;   in Loop: Header=BB6_16537 Depth=3
	v_and_b32_e32 v12, 0x7fffffff, v7
	v_mov_b32_e32 v13, v51
	v_cmp_gt_u64_e32 vcc, s[78:79], v[12:13]
	v_and_b32_sdwa v2, v7, s96 dst_sel:DWORD dst_unused:UNUSED_PAD src0_sel:BYTE_3 src1_sel:DWORD
                                        ; implicit-def: $vgpr12
                                        ; kill: killed $vgpr12
	s_and_saveexec_b64 s[28:29], vcc
	s_xor_b64 s[34:35], exec, s[28:29]
	s_cbranch_execz .LBB6_17662
; %bb.17653:                            ;   in Loop: Header=BB6_16537 Depth=3
	v_mov_b32_e32 v12, 0
	v_cmp_ne_u32_e32 vcc, 0, v7
	buffer_store_dword v12, off, s[0:3], s33 offset:156 ; 4-byte Folded Spill
	s_and_saveexec_b64 s[36:37], vcc
	s_cbranch_execz .LBB6_17661
; %bb.17654:                            ;   in Loop: Header=BB6_16537 Depth=3
	v_and_b32_e32 v12, 0x7fffff, v7
	v_bfe_u32 v7, v7, 23, 8
	v_cmp_gt_u32_e64 s[28:29], s97, v7
	v_sub_u32_e32 v13, 0x79, v7
	v_cmp_eq_u32_e32 vcc, 0, v7
	v_cndmask_b32_e64 v13, 0, v13, s[28:29]
	v_mov_b32_e32 v15, 0x78
	v_or_b32_e32 v14, 0x800000, v12
	v_cndmask_b32_e32 v15, v13, v15, vcc
	v_cndmask_b32_e32 v12, v14, v12, vcc
	v_add_u32_e32 v14, 20, v15
	v_lshlrev_b64 v[17:18], v14, -1
	v_mov_b32_e32 v13, v51
	v_add_u32_e32 v14, 19, v15
	v_bfi_b32 v17, v17, 0, v12
	v_lshlrev_b64 v[19:20], v14, 1
	v_lshrrev_b64 v[12:13], v15, v[12:13]
	v_bfi_b32 v18, v18, 0, 0
	v_cmp_eq_u64_e64 s[28:29], v[17:18], v[19:20]
	v_mov_b32_e32 v14, v13
	v_mov_b32_e32 v13, v12
	s_and_saveexec_b64 s[38:39], s[28:29]
; %bb.17655:                            ;   in Loop: Header=BB6_16537 Depth=3
	v_bfe_u32 v13, v12, 20, 1
	v_add_co_u32_e64 v13, s[28:29], v12, v13
	v_add_co_u32_e64 v13, s[28:29], -1, v13
; %bb.17656:                            ;   in Loop: Header=BB6_16537 Depth=3
	s_or_b64 exec, exec, s[38:39]
	v_add_u32_e32 v7, 0xffffff81, v7
	v_mov_b32_e32 v14, 0xffffff82
	v_cndmask_b32_e32 v7, v7, v14, vcc
	v_lshrrev_b32_e32 v14, 23, v12
	v_add3_u32 v15, v15, v7, v14
	v_add_u32_e32 v14, 6, v15
	v_and_b32_e32 v7, 0xfffff, v13
	v_add_u32_e32 v12, v7, v12
	v_mov_b32_e32 v13, v51
	v_cmp_ne_u32_e32 vcc, 0, v14
                                        ; implicit-def: $vgpr7
	s_and_saveexec_b64 s[28:29], vcc
	s_xor_b64 s[28:29], exec, s[28:29]
; %bb.17657:                            ;   in Loop: Header=BB6_16537 Depth=3
	v_cmp_lt_u64_e32 vcc, s[88:89], v[12:13]
	v_add_u32_e32 v7, 7, v15
	v_cndmask_b32_e32 v7, v14, v7, vcc
	v_cndmask_b32_e64 v14, 0, 1, vcc
	v_lshrrev_b64 v[12:13], v14, v[12:13]
; %bb.17658:                            ;   in Loop: Header=BB6_16537 Depth=3
	s_andn2_saveexec_b64 s[28:29], s[28:29]
; %bb.17659:                            ;   in Loop: Header=BB6_16537 Depth=3
	v_bfe_u32 v7, v12, 23, 1
; %bb.17660:                            ;   in Loop: Header=BB6_16537 Depth=3
	s_or_b64 exec, exec, s[28:29]
	v_lshrrev_b64 v[12:13], 20, v[12:13]
	v_cmp_gt_i32_e32 vcc, 16, v7
	v_cndmask_b32_e32 v13, 0, v13, vcc
	v_cndmask_b32_e32 v12, 7, v12, vcc
	v_cmp_eq_u32_e32 vcc, 0, v7
	v_min_i32_e32 v7, 15, v7
	v_cmp_eq_u64_e64 s[28:29], 0, v[12:13]
	v_lshlrev_b32_e32 v7, 3, v7
	v_and_b32_e32 v7, 0xf8, v7
	v_and_or_b32 v7, v12, 7, v7
	s_and_b64 s[28:29], vcc, s[28:29]
	v_cndmask_b32_e64 v7, v7, 0, s[28:29]
	v_or_b32_e32 v2, v7, v2
	buffer_store_dword v2, off, s[0:3], s33 offset:156 ; 4-byte Folded Spill
.LBB6_17661:                            ;   in Loop: Header=BB6_16537 Depth=3
	s_or_b64 exec, exec, s[36:37]
                                        ; implicit-def: $vgpr2
.LBB6_17662:                            ;   in Loop: Header=BB6_16537 Depth=3
	s_andn2_saveexec_b64 s[28:29], s[34:35]
	s_cbranch_execz .LBB6_17664
; %bb.17663:                            ;   in Loop: Header=BB6_16537 Depth=3
	v_or_b32_e32 v2, 0x7e, v2
	buffer_store_dword v2, off, s[0:3], s33 offset:156 ; 4-byte Folded Spill
.LBB6_17664:                            ;   in Loop: Header=BB6_16537 Depth=3
	s_or_b64 exec, exec, s[28:29]
                                        ; implicit-def: $vgpr7
.LBB6_17665:                            ;   in Loop: Header=BB6_16537 Depth=3
	s_andn2_saveexec_b64 s[28:29], s[30:31]
	s_cbranch_execz .LBB6_17667
; %bb.17666:                            ;   in Loop: Header=BB6_16537 Depth=3
	v_or_b32_sdwa v2, v7, s86 dst_sel:DWORD dst_unused:UNUSED_PAD src0_sel:BYTE_3 src1_sel:DWORD
	buffer_store_dword v2, off, s[0:3], s33 offset:156 ; 4-byte Folded Spill
.LBB6_17667:                            ;   in Loop: Header=BB6_16537 Depth=3
	s_or_b64 exec, exec, s[28:29]
	v_cmp_lt_u32_e32 vcc, s57, v8
	v_mov_b32_e32 v2, 0
	s_and_saveexec_b64 s[28:29], vcc
	s_cbranch_execz .LBB6_17673
; %bb.17668:                            ;   in Loop: Header=BB6_16537 Depth=3
	v_lshrrev_b32_e32 v12, 24, v8
	v_cmp_ne_u32_e32 vcc, s96, v12
	v_bfrev_b32_e32 v2, 1
	s_and_saveexec_b64 s[30:31], vcc
	s_cbranch_execz .LBB6_17672
; %bb.17669:                            ;   in Loop: Header=BB6_16537 Depth=3
	v_bfe_u32 v7, v8, 24, 7
	v_cmp_ne_u32_e32 vcc, s86, v7
	v_mov_b32_e32 v2, 0x7f800001
	s_and_saveexec_b64 s[34:35], vcc
	s_cbranch_execz .LBB6_17671
; %bb.17670:                            ;   in Loop: Header=BB6_16537 Depth=3
	v_and_b32_e32 v2, 7, v12
	v_lshrrev_b32_e32 v15, 3, v7
	v_cmp_gt_u32_e32 vcc, 8, v7
	v_ffbh_u32_e32 v7, v2
	v_min_u32_e32 v7, 32, v7
	v_subrev_u32_e32 v13, 28, v7
	v_lshlrev_b64 v[13:14], v13, v[12:13]
	v_sub_u32_e32 v7, 29, v7
	v_and_b32_e32 v13, 7, v13
	v_cndmask_b32_e32 v7, v15, v7, vcc
	v_cndmask_b32_e32 v2, v2, v13, vcc
	v_lshlrev_b32_e32 v12, 24, v12
	v_bfrev_b32_e32 v13, 60
	v_lshlrev_b32_e32 v2, 20, v2
	v_and_b32_e32 v12, 0x80000000, v12
	v_lshl_add_u32 v7, v7, 23, v13
	v_or3_b32 v2, v12, v7, v2
.LBB6_17671:                            ;   in Loop: Header=BB6_16537 Depth=3
	s_or_b64 exec, exec, s[34:35]
.LBB6_17672:                            ;   in Loop: Header=BB6_16537 Depth=3
	s_or_b64 exec, exec, s[30:31]
.LBB6_17673:                            ;   in Loop: Header=BB6_16537 Depth=3
	s_or_b64 exec, exec, s[28:29]
	v_mul_f32_e32 v7, v16, v2
	v_and_b32_e32 v12, 0x7f800000, v7
	v_mov_b32_e32 v13, v51
	v_cmp_ne_u64_e32 vcc, s[76:77], v[12:13]
                                        ; implicit-def: $vgpr2
                                        ; kill: killed $vgpr2
	s_and_saveexec_b64 s[28:29], vcc
	s_xor_b64 s[30:31], exec, s[28:29]
	s_cbranch_execz .LBB6_17687
; %bb.17674:                            ;   in Loop: Header=BB6_16537 Depth=3
	v_and_b32_e32 v12, 0x7fffffff, v7
	v_mov_b32_e32 v13, v51
	v_cmp_gt_u64_e32 vcc, s[78:79], v[12:13]
	v_and_b32_sdwa v2, v7, s96 dst_sel:DWORD dst_unused:UNUSED_PAD src0_sel:BYTE_3 src1_sel:DWORD
                                        ; implicit-def: $vgpr12
                                        ; kill: killed $vgpr12
	s_and_saveexec_b64 s[28:29], vcc
	s_xor_b64 s[34:35], exec, s[28:29]
	s_cbranch_execz .LBB6_17684
; %bb.17675:                            ;   in Loop: Header=BB6_16537 Depth=3
	v_mov_b32_e32 v12, 0
	v_cmp_ne_u32_e32 vcc, 0, v7
	buffer_store_dword v12, off, s[0:3], s33 offset:180 ; 4-byte Folded Spill
	s_and_saveexec_b64 s[36:37], vcc
	s_cbranch_execz .LBB6_17683
; %bb.17676:                            ;   in Loop: Header=BB6_16537 Depth=3
	v_and_b32_e32 v12, 0x7fffff, v7
	v_bfe_u32 v7, v7, 23, 8
	v_cmp_gt_u32_e64 s[28:29], s97, v7
	v_sub_u32_e32 v13, 0x79, v7
	v_cmp_eq_u32_e32 vcc, 0, v7
	v_cndmask_b32_e64 v13, 0, v13, s[28:29]
	v_mov_b32_e32 v15, 0x78
	v_or_b32_e32 v14, 0x800000, v12
	v_cndmask_b32_e32 v15, v13, v15, vcc
	v_cndmask_b32_e32 v12, v14, v12, vcc
	v_add_u32_e32 v14, 20, v15
	v_lshlrev_b64 v[17:18], v14, -1
	v_mov_b32_e32 v13, v51
	v_add_u32_e32 v14, 19, v15
	v_bfi_b32 v17, v17, 0, v12
	v_lshlrev_b64 v[19:20], v14, 1
	v_lshrrev_b64 v[12:13], v15, v[12:13]
	v_bfi_b32 v18, v18, 0, 0
	v_cmp_eq_u64_e64 s[28:29], v[17:18], v[19:20]
	v_mov_b32_e32 v14, v13
	v_mov_b32_e32 v13, v12
	s_and_saveexec_b64 s[38:39], s[28:29]
; %bb.17677:                            ;   in Loop: Header=BB6_16537 Depth=3
	v_bfe_u32 v13, v12, 20, 1
	v_add_co_u32_e64 v13, s[28:29], v12, v13
	v_add_co_u32_e64 v13, s[28:29], -1, v13
; %bb.17678:                            ;   in Loop: Header=BB6_16537 Depth=3
	s_or_b64 exec, exec, s[38:39]
	v_add_u32_e32 v7, 0xffffff81, v7
	v_mov_b32_e32 v14, 0xffffff82
	v_cndmask_b32_e32 v7, v7, v14, vcc
	v_lshrrev_b32_e32 v14, 23, v12
	v_add3_u32 v15, v15, v7, v14
	v_add_u32_e32 v14, 6, v15
	v_and_b32_e32 v7, 0xfffff, v13
	v_add_u32_e32 v12, v7, v12
	v_mov_b32_e32 v13, v51
	v_cmp_ne_u32_e32 vcc, 0, v14
                                        ; implicit-def: $vgpr7
	s_and_saveexec_b64 s[28:29], vcc
	s_xor_b64 s[28:29], exec, s[28:29]
; %bb.17679:                            ;   in Loop: Header=BB6_16537 Depth=3
	v_cmp_lt_u64_e32 vcc, s[88:89], v[12:13]
	v_add_u32_e32 v7, 7, v15
	v_cndmask_b32_e32 v7, v14, v7, vcc
	v_cndmask_b32_e64 v14, 0, 1, vcc
	v_lshrrev_b64 v[12:13], v14, v[12:13]
; %bb.17680:                            ;   in Loop: Header=BB6_16537 Depth=3
	s_andn2_saveexec_b64 s[28:29], s[28:29]
; %bb.17681:                            ;   in Loop: Header=BB6_16537 Depth=3
	v_bfe_u32 v7, v12, 23, 1
; %bb.17682:                            ;   in Loop: Header=BB6_16537 Depth=3
	s_or_b64 exec, exec, s[28:29]
	v_lshrrev_b64 v[12:13], 20, v[12:13]
	v_cmp_gt_i32_e32 vcc, 16, v7
	v_cndmask_b32_e32 v13, 0, v13, vcc
	v_cndmask_b32_e32 v12, 7, v12, vcc
	v_cmp_eq_u32_e32 vcc, 0, v7
	v_min_i32_e32 v7, 15, v7
	v_cmp_eq_u64_e64 s[28:29], 0, v[12:13]
	v_lshlrev_b32_e32 v7, 3, v7
	v_and_b32_e32 v7, 0xf8, v7
	v_and_or_b32 v7, v12, 7, v7
	s_and_b64 s[28:29], vcc, s[28:29]
	v_cndmask_b32_e64 v7, v7, 0, s[28:29]
	v_or_b32_e32 v2, v7, v2
	buffer_store_dword v2, off, s[0:3], s33 offset:180 ; 4-byte Folded Spill
.LBB6_17683:                            ;   in Loop: Header=BB6_16537 Depth=3
	s_or_b64 exec, exec, s[36:37]
                                        ; implicit-def: $vgpr2
.LBB6_17684:                            ;   in Loop: Header=BB6_16537 Depth=3
	s_andn2_saveexec_b64 s[28:29], s[34:35]
	s_cbranch_execz .LBB6_17686
; %bb.17685:                            ;   in Loop: Header=BB6_16537 Depth=3
	v_or_b32_e32 v2, 0x7e, v2
	buffer_store_dword v2, off, s[0:3], s33 offset:180 ; 4-byte Folded Spill
.LBB6_17686:                            ;   in Loop: Header=BB6_16537 Depth=3
	s_or_b64 exec, exec, s[28:29]
                                        ; implicit-def: $vgpr7
.LBB6_17687:                            ;   in Loop: Header=BB6_16537 Depth=3
	s_andn2_saveexec_b64 s[28:29], s[30:31]
	s_cbranch_execz .LBB6_17689
; %bb.17688:                            ;   in Loop: Header=BB6_16537 Depth=3
	v_or_b32_sdwa v2, v7, s86 dst_sel:DWORD dst_unused:UNUSED_PAD src0_sel:BYTE_3 src1_sel:DWORD
	buffer_store_dword v2, off, s[0:3], s33 offset:180 ; 4-byte Folded Spill
.LBB6_17689:                            ;   in Loop: Header=BB6_16537 Depth=3
	s_or_b64 exec, exec, s[28:29]
	v_mov_b32_e32 v12, v9
	v_mov_b32_e32 v13, v51
	v_cmp_ne_u16_sdwa vcc, v9, v51 src0_sel:BYTE_0 src1_sel:DWORD
	v_mov_b32_e32 v2, 0
	s_and_saveexec_b64 s[28:29], vcc
	s_cbranch_execz .LBB6_17695
; %bb.17690:                            ;   in Loop: Header=BB6_16537 Depth=3
	v_cmp_ne_u16_sdwa vcc, v9, s96 src0_sel:BYTE_0 src1_sel:DWORD
	v_bfrev_b32_e32 v2, 1
	s_and_saveexec_b64 s[30:31], vcc
	s_cbranch_execz .LBB6_17694
; %bb.17691:                            ;   in Loop: Header=BB6_16537 Depth=3
	v_and_b32_e32 v7, 0x7f, v9
	v_cmp_ne_u32_e32 vcc, s86, v7
	v_mov_b32_e32 v2, 0x7f800001
	s_and_saveexec_b64 s[34:35], vcc
	s_cbranch_execz .LBB6_17693
; %bb.17692:                            ;   in Loop: Header=BB6_16537 Depth=3
	v_and_b32_e32 v2, 7, v9
	v_ffbh_u32_e32 v2, v2
	v_min_u32_e32 v2, 32, v2
	v_lshrrev_b32_e32 v14, 3, v7
	v_cmp_gt_u32_e32 vcc, 8, v7
	v_subrev_u32_e32 v7, 28, v2
	v_sub_u32_e32 v2, 29, v2
	v_cndmask_b32_e32 v7, 0, v7, vcc
	v_cndmask_b32_e32 v2, v14, v2, vcc
	v_lshlrev_b64 v[13:14], v7, v[12:13]
	v_bfrev_b32_e32 v14, 60
	v_lshlrev_b32_e32 v7, 20, v13
	v_lshlrev_b32_e32 v13, 24, v12
	v_and_b32_e32 v7, 0x700000, v7
	v_and_b32_e32 v13, 0x80000000, v13
	v_lshl_add_u32 v2, v2, 23, v14
	v_or3_b32 v2, v13, v2, v7
.LBB6_17693:                            ;   in Loop: Header=BB6_16537 Depth=3
	s_or_b64 exec, exec, s[34:35]
.LBB6_17694:                            ;   in Loop: Header=BB6_16537 Depth=3
	s_or_b64 exec, exec, s[30:31]
.LBB6_17695:                            ;   in Loop: Header=BB6_16537 Depth=3
	s_or_b64 exec, exec, s[28:29]
	v_mul_f32_e32 v13, v16, v2
	v_and_b32_e32 v14, 0x7f800000, v13
	v_mov_b32_e32 v15, v51
	v_cmp_ne_u64_e32 vcc, s[76:77], v[14:15]
                                        ; implicit-def: $vgpr2
	s_and_saveexec_b64 s[28:29], vcc
	s_xor_b64 s[30:31], exec, s[28:29]
	s_cbranch_execz .LBB6_17709
; %bb.17696:                            ;   in Loop: Header=BB6_16537 Depth=3
	v_and_b32_e32 v14, 0x7fffffff, v13
	v_mov_b32_e32 v15, v51
	v_cmp_gt_u64_e32 vcc, s[78:79], v[14:15]
	v_and_b32_sdwa v7, v13, s96 dst_sel:DWORD dst_unused:UNUSED_PAD src0_sel:BYTE_3 src1_sel:DWORD
                                        ; implicit-def: $vgpr2
	s_and_saveexec_b64 s[28:29], vcc
	s_xor_b64 s[34:35], exec, s[28:29]
	s_cbranch_execz .LBB6_17706
; %bb.17697:                            ;   in Loop: Header=BB6_16537 Depth=3
	v_mov_b32_e32 v2, 0
	v_cmp_ne_u32_e32 vcc, 0, v13
	s_and_saveexec_b64 s[36:37], vcc
	s_cbranch_execz .LBB6_17705
; %bb.17698:                            ;   in Loop: Header=BB6_16537 Depth=3
	v_bfe_u32 v2, v13, 23, 8
	v_and_b32_e32 v14, 0x7fffff, v13
	v_cmp_gt_u32_e64 s[28:29], s97, v2
	v_sub_u32_e32 v13, 0x79, v2
	v_cmp_eq_u32_e32 vcc, 0, v2
	v_cndmask_b32_e64 v13, 0, v13, s[28:29]
	v_mov_b32_e32 v17, 0x78
	v_or_b32_e32 v15, 0x800000, v14
	v_cndmask_b32_e32 v17, v13, v17, vcc
	v_cndmask_b32_e32 v13, v15, v14, vcc
	v_add_u32_e32 v15, 20, v17
	v_lshlrev_b64 v[18:19], v15, -1
	v_mov_b32_e32 v14, v51
	v_add_u32_e32 v15, 19, v17
	v_bfi_b32 v18, v18, 0, v13
	v_lshlrev_b64 v[20:21], v15, 1
	v_lshrrev_b64 v[13:14], v17, v[13:14]
	v_bfi_b32 v19, v19, 0, 0
	v_cmp_eq_u64_e64 s[28:29], v[18:19], v[20:21]
	v_mov_b32_e32 v15, v14
	v_mov_b32_e32 v14, v13
	s_and_saveexec_b64 s[38:39], s[28:29]
; %bb.17699:                            ;   in Loop: Header=BB6_16537 Depth=3
	v_bfe_u32 v14, v13, 20, 1
	v_add_co_u32_e64 v14, s[28:29], v13, v14
	v_add_co_u32_e64 v14, s[28:29], -1, v14
; %bb.17700:                            ;   in Loop: Header=BB6_16537 Depth=3
	s_or_b64 exec, exec, s[38:39]
	v_add_u32_e32 v2, 0xffffff81, v2
	v_mov_b32_e32 v15, 0xffffff82
	v_cndmask_b32_e32 v2, v2, v15, vcc
	v_lshrrev_b32_e32 v15, 23, v13
	v_add3_u32 v17, v17, v2, v15
	v_add_u32_e32 v15, 6, v17
	v_and_b32_e32 v2, 0xfffff, v14
	v_add_u32_e32 v13, v2, v13
	v_mov_b32_e32 v14, v51
	v_cmp_ne_u32_e32 vcc, 0, v15
                                        ; implicit-def: $vgpr2
	s_and_saveexec_b64 s[28:29], vcc
	s_xor_b64 s[28:29], exec, s[28:29]
; %bb.17701:                            ;   in Loop: Header=BB6_16537 Depth=3
	v_cmp_lt_u64_e32 vcc, s[88:89], v[13:14]
	v_add_u32_e32 v2, 7, v17
	v_cndmask_b32_e32 v2, v15, v2, vcc
	v_cndmask_b32_e64 v15, 0, 1, vcc
	v_lshrrev_b64 v[13:14], v15, v[13:14]
; %bb.17702:                            ;   in Loop: Header=BB6_16537 Depth=3
	s_andn2_saveexec_b64 s[28:29], s[28:29]
; %bb.17703:                            ;   in Loop: Header=BB6_16537 Depth=3
	v_bfe_u32 v2, v13, 23, 1
; %bb.17704:                            ;   in Loop: Header=BB6_16537 Depth=3
	s_or_b64 exec, exec, s[28:29]
	v_lshrrev_b64 v[13:14], 20, v[13:14]
	v_cmp_gt_i32_e32 vcc, 16, v2
	v_cndmask_b32_e32 v14, 0, v14, vcc
	v_cndmask_b32_e32 v13, 7, v13, vcc
	v_cmp_eq_u32_e32 vcc, 0, v2
	v_min_i32_e32 v2, 15, v2
	v_cmp_eq_u64_e64 s[28:29], 0, v[13:14]
	v_lshlrev_b32_e32 v2, 3, v2
	v_and_b32_e32 v2, 0xf8, v2
	v_and_or_b32 v2, v13, 7, v2
	s_and_b64 s[28:29], vcc, s[28:29]
	v_cndmask_b32_e64 v2, v2, 0, s[28:29]
	v_or_b32_e32 v2, v2, v7
.LBB6_17705:                            ;   in Loop: Header=BB6_16537 Depth=3
	s_or_b64 exec, exec, s[36:37]
                                        ; implicit-def: $vgpr7
.LBB6_17706:                            ;   in Loop: Header=BB6_16537 Depth=3
	s_andn2_saveexec_b64 s[28:29], s[34:35]
; %bb.17707:                            ;   in Loop: Header=BB6_16537 Depth=3
	v_or_b32_e32 v2, 0x7e, v7
; %bb.17708:                            ;   in Loop: Header=BB6_16537 Depth=3
	s_or_b64 exec, exec, s[28:29]
                                        ; implicit-def: $vgpr13
.LBB6_17709:                            ;   in Loop: Header=BB6_16537 Depth=3
	s_andn2_saveexec_b64 s[28:29], s[30:31]
; %bb.17710:                            ;   in Loop: Header=BB6_16537 Depth=3
	v_or_b32_sdwa v2, v13, s86 dst_sel:DWORD dst_unused:UNUSED_PAD src0_sel:BYTE_3 src1_sel:DWORD
; %bb.17711:                            ;   in Loop: Header=BB6_16537 Depth=3
	s_or_b64 exec, exec, s[28:29]
	v_lshrrev_b16_e32 v13, 8, v12
	v_cmp_ne_u16_e32 vcc, 0, v13
	v_mov_b32_e32 v7, 0
	s_and_saveexec_b64 s[28:29], vcc
	s_cbranch_execz .LBB6_17717
; %bb.17712:                            ;   in Loop: Header=BB6_16537 Depth=3
	v_cmp_ne_u16_e32 vcc, s96, v13
	v_bfrev_b32_e32 v7, 1
	s_and_saveexec_b64 s[30:31], vcc
	s_cbranch_execz .LBB6_17716
; %bb.17713:                            ;   in Loop: Header=BB6_16537 Depth=3
	v_and_b32_e32 v14, 0x7f, v13
	v_cmp_ne_u32_e32 vcc, s86, v14
	v_mov_b32_e32 v7, 0x7f800001
	s_and_saveexec_b64 s[34:35], vcc
	s_cbranch_execz .LBB6_17715
; %bb.17714:                            ;   in Loop: Header=BB6_16537 Depth=3
	v_and_b32_e32 v7, 7, v13
	v_lshrrev_b32_e32 v15, 3, v14
	v_cmp_gt_u32_e32 vcc, 8, v14
	v_ffbh_u32_e32 v14, v7
	v_min_u32_e32 v17, 32, v14
	v_subrev_u32_e32 v14, 28, v17
	v_lshlrev_b64 v[13:14], v14, v[13:14]
	v_sub_u32_e32 v14, 29, v17
	v_and_b32_e32 v13, 7, v13
	v_cndmask_b32_e32 v14, v15, v14, vcc
	v_cndmask_b32_e32 v7, v7, v13, vcc
	v_lshlrev_b32_e32 v12, 16, v12
	v_bfrev_b32_e32 v13, 60
	v_lshlrev_b32_e32 v7, 20, v7
	v_and_b32_e32 v12, 0x80000000, v12
	v_lshl_add_u32 v13, v14, 23, v13
	v_or3_b32 v7, v12, v13, v7
.LBB6_17715:                            ;   in Loop: Header=BB6_16537 Depth=3
	s_or_b64 exec, exec, s[34:35]
.LBB6_17716:                            ;   in Loop: Header=BB6_16537 Depth=3
	s_or_b64 exec, exec, s[30:31]
.LBB6_17717:                            ;   in Loop: Header=BB6_16537 Depth=3
	s_or_b64 exec, exec, s[28:29]
	v_mul_f32_e32 v12, v16, v7
	v_and_b32_e32 v13, 0x7f800000, v12
	v_mov_b32_e32 v14, v51
	v_cmp_ne_u64_e32 vcc, s[76:77], v[13:14]
                                        ; implicit-def: $vgpr7
                                        ; kill: killed $vgpr7
	s_and_saveexec_b64 s[28:29], vcc
	s_xor_b64 s[30:31], exec, s[28:29]
	s_cbranch_execz .LBB6_17731
; %bb.17718:                            ;   in Loop: Header=BB6_16537 Depth=3
	v_and_b32_e32 v13, 0x7fffffff, v12
	v_mov_b32_e32 v14, v51
	v_cmp_gt_u64_e32 vcc, s[78:79], v[13:14]
	v_and_b32_sdwa v7, v12, s96 dst_sel:DWORD dst_unused:UNUSED_PAD src0_sel:BYTE_3 src1_sel:DWORD
                                        ; implicit-def: $vgpr13
                                        ; kill: killed $vgpr13
	s_and_saveexec_b64 s[28:29], vcc
	s_xor_b64 s[34:35], exec, s[28:29]
	s_cbranch_execz .LBB6_17728
; %bb.17719:                            ;   in Loop: Header=BB6_16537 Depth=3
	v_mov_b32_e32 v13, 0
	v_cmp_ne_u32_e32 vcc, 0, v12
	buffer_store_dword v13, off, s[0:3], s33 offset:120 ; 4-byte Folded Spill
	s_and_saveexec_b64 s[36:37], vcc
	s_cbranch_execz .LBB6_17727
; %bb.17720:                            ;   in Loop: Header=BB6_16537 Depth=3
	v_bfe_u32 v15, v12, 23, 8
	v_and_b32_e32 v13, 0x7fffff, v12
	v_cmp_gt_u32_e64 s[28:29], s97, v15
	v_sub_u32_e32 v12, 0x79, v15
	v_cmp_eq_u32_e32 vcc, 0, v15
	v_cndmask_b32_e64 v12, 0, v12, s[28:29]
	v_mov_b32_e32 v17, 0x78
	v_or_b32_e32 v14, 0x800000, v13
	v_cndmask_b32_e32 v17, v12, v17, vcc
	v_cndmask_b32_e32 v12, v14, v13, vcc
	v_add_u32_e32 v14, 20, v17
	v_lshlrev_b64 v[18:19], v14, -1
	v_mov_b32_e32 v13, v51
	v_add_u32_e32 v14, 19, v17
	v_bfi_b32 v18, v18, 0, v12
	v_lshlrev_b64 v[20:21], v14, 1
	v_lshrrev_b64 v[12:13], v17, v[12:13]
	v_bfi_b32 v19, v19, 0, 0
	v_cmp_eq_u64_e64 s[28:29], v[18:19], v[20:21]
	v_mov_b32_e32 v14, v13
	v_mov_b32_e32 v13, v12
	s_and_saveexec_b64 s[38:39], s[28:29]
; %bb.17721:                            ;   in Loop: Header=BB6_16537 Depth=3
	v_bfe_u32 v13, v12, 20, 1
	v_add_co_u32_e64 v13, s[28:29], v12, v13
	v_add_co_u32_e64 v13, s[28:29], -1, v13
; %bb.17722:                            ;   in Loop: Header=BB6_16537 Depth=3
	s_or_b64 exec, exec, s[38:39]
	v_add_u32_e32 v14, 0xffffff81, v15
	v_mov_b32_e32 v15, 0xffffff82
	v_cndmask_b32_e32 v14, v14, v15, vcc
	v_lshrrev_b32_e32 v15, 23, v12
	v_add3_u32 v17, v17, v14, v15
	v_add_u32_e32 v15, 6, v17
	v_and_b32_e32 v13, 0xfffff, v13
	v_add_u32_e32 v12, v13, v12
	v_mov_b32_e32 v13, v51
	v_cmp_ne_u32_e32 vcc, 0, v15
                                        ; implicit-def: $vgpr14
	s_and_saveexec_b64 s[28:29], vcc
	s_xor_b64 s[28:29], exec, s[28:29]
; %bb.17723:                            ;   in Loop: Header=BB6_16537 Depth=3
	v_cmp_lt_u64_e32 vcc, s[88:89], v[12:13]
	v_add_u32_e32 v14, 7, v17
	v_cndmask_b32_e32 v14, v15, v14, vcc
	v_cndmask_b32_e64 v15, 0, 1, vcc
	v_lshrrev_b64 v[12:13], v15, v[12:13]
; %bb.17724:                            ;   in Loop: Header=BB6_16537 Depth=3
	s_andn2_saveexec_b64 s[28:29], s[28:29]
; %bb.17725:                            ;   in Loop: Header=BB6_16537 Depth=3
	v_bfe_u32 v14, v12, 23, 1
; %bb.17726:                            ;   in Loop: Header=BB6_16537 Depth=3
	s_or_b64 exec, exec, s[28:29]
	v_lshrrev_b64 v[12:13], 20, v[12:13]
	v_cmp_gt_i32_e32 vcc, 16, v14
	v_cndmask_b32_e32 v13, 0, v13, vcc
	v_cndmask_b32_e32 v12, 7, v12, vcc
	v_cmp_eq_u64_e64 s[28:29], 0, v[12:13]
	v_min_i32_e32 v13, 15, v14
	v_lshlrev_b32_e32 v13, 3, v13
	v_cmp_eq_u32_e32 vcc, 0, v14
	v_and_b32_e32 v13, 0xf8, v13
	v_and_or_b32 v12, v12, 7, v13
	s_and_b64 s[28:29], vcc, s[28:29]
	v_cndmask_b32_e64 v12, v12, 0, s[28:29]
	v_or_b32_e32 v7, v12, v7
	buffer_store_dword v7, off, s[0:3], s33 offset:120 ; 4-byte Folded Spill
.LBB6_17727:                            ;   in Loop: Header=BB6_16537 Depth=3
	s_or_b64 exec, exec, s[36:37]
                                        ; implicit-def: $vgpr7
.LBB6_17728:                            ;   in Loop: Header=BB6_16537 Depth=3
	s_andn2_saveexec_b64 s[28:29], s[34:35]
	s_cbranch_execz .LBB6_17730
; %bb.17729:                            ;   in Loop: Header=BB6_16537 Depth=3
	v_or_b32_e32 v7, 0x7e, v7
	buffer_store_dword v7, off, s[0:3], s33 offset:120 ; 4-byte Folded Spill
.LBB6_17730:                            ;   in Loop: Header=BB6_16537 Depth=3
	s_or_b64 exec, exec, s[28:29]
                                        ; implicit-def: $vgpr12
.LBB6_17731:                            ;   in Loop: Header=BB6_16537 Depth=3
	s_andn2_saveexec_b64 s[28:29], s[30:31]
	s_cbranch_execz .LBB6_17733
; %bb.17732:                            ;   in Loop: Header=BB6_16537 Depth=3
	v_or_b32_sdwa v7, v12, s86 dst_sel:DWORD dst_unused:UNUSED_PAD src0_sel:BYTE_3 src1_sel:DWORD
	buffer_store_dword v7, off, s[0:3], s33 offset:120 ; 4-byte Folded Spill
.LBB6_17733:                            ;   in Loop: Header=BB6_16537 Depth=3
	s_or_b64 exec, exec, s[28:29]
	v_lshrrev_b32_e32 v12, 16, v9
	v_cmp_ne_u16_sdwa vcc, v12, v51 src0_sel:BYTE_0 src1_sel:DWORD
	v_mov_b32_e32 v7, 0
	s_and_saveexec_b64 s[28:29], vcc
	s_cbranch_execz .LBB6_17739
; %bb.17734:                            ;   in Loop: Header=BB6_16537 Depth=3
	v_cmp_ne_u16_sdwa vcc, v12, s96 src0_sel:BYTE_0 src1_sel:DWORD
	v_bfrev_b32_e32 v7, 1
	s_and_saveexec_b64 s[30:31], vcc
	s_cbranch_execz .LBB6_17738
; %bb.17735:                            ;   in Loop: Header=BB6_16537 Depth=3
	v_bfe_u32 v13, v9, 16, 7
	v_cmp_ne_u32_e32 vcc, s86, v13
	v_mov_b32_e32 v7, 0x7f800001
	s_and_saveexec_b64 s[34:35], vcc
	s_cbranch_execz .LBB6_17737
; %bb.17736:                            ;   in Loop: Header=BB6_16537 Depth=3
	v_and_b32_e32 v7, 7, v12
	v_lshrrev_b32_e32 v15, 3, v13
	v_cmp_gt_u32_e32 vcc, 8, v13
	v_ffbh_u32_e32 v13, v7
	v_min_u32_e32 v17, 32, v13
	v_subrev_u32_e32 v13, 28, v17
	v_lshlrev_b64 v[13:14], v13, v[12:13]
	v_sub_u32_e32 v14, 29, v17
	v_and_b32_e32 v13, 7, v13
	v_cndmask_b32_e32 v14, v15, v14, vcc
	v_cndmask_b32_e32 v7, v7, v13, vcc
	v_lshlrev_b32_e32 v12, 24, v12
	v_bfrev_b32_e32 v13, 60
	v_lshlrev_b32_e32 v7, 20, v7
	v_and_b32_e32 v12, 0x80000000, v12
	v_lshl_add_u32 v13, v14, 23, v13
	v_or3_b32 v7, v12, v13, v7
.LBB6_17737:                            ;   in Loop: Header=BB6_16537 Depth=3
	s_or_b64 exec, exec, s[34:35]
.LBB6_17738:                            ;   in Loop: Header=BB6_16537 Depth=3
	s_or_b64 exec, exec, s[30:31]
.LBB6_17739:                            ;   in Loop: Header=BB6_16537 Depth=3
	s_or_b64 exec, exec, s[28:29]
	v_mul_f32_e32 v12, v16, v7
	v_and_b32_e32 v13, 0x7f800000, v12
	v_mov_b32_e32 v14, v51
	v_cmp_ne_u64_e32 vcc, s[76:77], v[13:14]
                                        ; implicit-def: $vgpr7
                                        ; kill: killed $vgpr7
	s_and_saveexec_b64 s[28:29], vcc
	s_xor_b64 s[30:31], exec, s[28:29]
	s_cbranch_execz .LBB6_17753
; %bb.17740:                            ;   in Loop: Header=BB6_16537 Depth=3
	v_and_b32_e32 v13, 0x7fffffff, v12
	v_mov_b32_e32 v14, v51
	v_cmp_gt_u64_e32 vcc, s[78:79], v[13:14]
	v_and_b32_sdwa v7, v12, s96 dst_sel:DWORD dst_unused:UNUSED_PAD src0_sel:BYTE_3 src1_sel:DWORD
                                        ; implicit-def: $vgpr13
                                        ; kill: killed $vgpr13
	s_and_saveexec_b64 s[28:29], vcc
	s_xor_b64 s[34:35], exec, s[28:29]
	s_cbranch_execz .LBB6_17750
; %bb.17741:                            ;   in Loop: Header=BB6_16537 Depth=3
	v_mov_b32_e32 v13, 0
	v_cmp_ne_u32_e32 vcc, 0, v12
	buffer_store_dword v13, off, s[0:3], s33 offset:140 ; 4-byte Folded Spill
	s_and_saveexec_b64 s[36:37], vcc
	s_cbranch_execz .LBB6_17749
; %bb.17742:                            ;   in Loop: Header=BB6_16537 Depth=3
	v_bfe_u32 v15, v12, 23, 8
	v_and_b32_e32 v13, 0x7fffff, v12
	v_cmp_gt_u32_e64 s[28:29], s97, v15
	v_sub_u32_e32 v12, 0x79, v15
	v_cmp_eq_u32_e32 vcc, 0, v15
	v_cndmask_b32_e64 v12, 0, v12, s[28:29]
	v_mov_b32_e32 v17, 0x78
	v_or_b32_e32 v14, 0x800000, v13
	v_cndmask_b32_e32 v17, v12, v17, vcc
	v_cndmask_b32_e32 v12, v14, v13, vcc
	v_add_u32_e32 v14, 20, v17
	v_lshlrev_b64 v[18:19], v14, -1
	v_mov_b32_e32 v13, v51
	v_add_u32_e32 v14, 19, v17
	v_bfi_b32 v18, v18, 0, v12
	v_lshlrev_b64 v[20:21], v14, 1
	v_lshrrev_b64 v[12:13], v17, v[12:13]
	v_bfi_b32 v19, v19, 0, 0
	v_cmp_eq_u64_e64 s[28:29], v[18:19], v[20:21]
	v_mov_b32_e32 v14, v13
	v_mov_b32_e32 v13, v12
	s_and_saveexec_b64 s[38:39], s[28:29]
; %bb.17743:                            ;   in Loop: Header=BB6_16537 Depth=3
	v_bfe_u32 v13, v12, 20, 1
	v_add_co_u32_e64 v13, s[28:29], v12, v13
	v_add_co_u32_e64 v13, s[28:29], -1, v13
; %bb.17744:                            ;   in Loop: Header=BB6_16537 Depth=3
	s_or_b64 exec, exec, s[38:39]
	v_add_u32_e32 v14, 0xffffff81, v15
	v_mov_b32_e32 v15, 0xffffff82
	v_cndmask_b32_e32 v14, v14, v15, vcc
	v_lshrrev_b32_e32 v15, 23, v12
	v_add3_u32 v17, v17, v14, v15
	v_add_u32_e32 v15, 6, v17
	v_and_b32_e32 v13, 0xfffff, v13
	v_add_u32_e32 v12, v13, v12
	v_mov_b32_e32 v13, v51
	v_cmp_ne_u32_e32 vcc, 0, v15
                                        ; implicit-def: $vgpr14
	s_and_saveexec_b64 s[28:29], vcc
	s_xor_b64 s[28:29], exec, s[28:29]
; %bb.17745:                            ;   in Loop: Header=BB6_16537 Depth=3
	v_cmp_lt_u64_e32 vcc, s[88:89], v[12:13]
	v_add_u32_e32 v14, 7, v17
	v_cndmask_b32_e32 v14, v15, v14, vcc
	v_cndmask_b32_e64 v15, 0, 1, vcc
	v_lshrrev_b64 v[12:13], v15, v[12:13]
; %bb.17746:                            ;   in Loop: Header=BB6_16537 Depth=3
	s_andn2_saveexec_b64 s[28:29], s[28:29]
; %bb.17747:                            ;   in Loop: Header=BB6_16537 Depth=3
	v_bfe_u32 v14, v12, 23, 1
; %bb.17748:                            ;   in Loop: Header=BB6_16537 Depth=3
	s_or_b64 exec, exec, s[28:29]
	v_lshrrev_b64 v[12:13], 20, v[12:13]
	v_cmp_gt_i32_e32 vcc, 16, v14
	v_cndmask_b32_e32 v13, 0, v13, vcc
	v_cndmask_b32_e32 v12, 7, v12, vcc
	v_cmp_eq_u64_e64 s[28:29], 0, v[12:13]
	v_min_i32_e32 v13, 15, v14
	v_lshlrev_b32_e32 v13, 3, v13
	v_cmp_eq_u32_e32 vcc, 0, v14
	v_and_b32_e32 v13, 0xf8, v13
	v_and_or_b32 v12, v12, 7, v13
	s_and_b64 s[28:29], vcc, s[28:29]
	v_cndmask_b32_e64 v12, v12, 0, s[28:29]
	v_or_b32_e32 v7, v12, v7
	buffer_store_dword v7, off, s[0:3], s33 offset:140 ; 4-byte Folded Spill
.LBB6_17749:                            ;   in Loop: Header=BB6_16537 Depth=3
	s_or_b64 exec, exec, s[36:37]
                                        ; implicit-def: $vgpr7
.LBB6_17750:                            ;   in Loop: Header=BB6_16537 Depth=3
	s_andn2_saveexec_b64 s[28:29], s[34:35]
	s_cbranch_execz .LBB6_17752
; %bb.17751:                            ;   in Loop: Header=BB6_16537 Depth=3
	v_or_b32_e32 v7, 0x7e, v7
	buffer_store_dword v7, off, s[0:3], s33 offset:140 ; 4-byte Folded Spill
.LBB6_17752:                            ;   in Loop: Header=BB6_16537 Depth=3
	s_or_b64 exec, exec, s[28:29]
                                        ; implicit-def: $vgpr12
.LBB6_17753:                            ;   in Loop: Header=BB6_16537 Depth=3
	s_andn2_saveexec_b64 s[28:29], s[30:31]
	s_cbranch_execz .LBB6_17755
; %bb.17754:                            ;   in Loop: Header=BB6_16537 Depth=3
	v_or_b32_sdwa v7, v12, s86 dst_sel:DWORD dst_unused:UNUSED_PAD src0_sel:BYTE_3 src1_sel:DWORD
	buffer_store_dword v7, off, s[0:3], s33 offset:140 ; 4-byte Folded Spill
.LBB6_17755:                            ;   in Loop: Header=BB6_16537 Depth=3
	s_or_b64 exec, exec, s[28:29]
	v_cmp_lt_u64_e32 vcc, s[56:57], v[8:9]
	v_mov_b32_e32 v7, 0
	s_and_saveexec_b64 s[28:29], vcc
	s_cbranch_execz .LBB6_17761
; %bb.17756:                            ;   in Loop: Header=BB6_16537 Depth=3
	v_lshrrev_b32_e32 v8, 24, v9
	v_cmp_ne_u32_e32 vcc, s96, v8
	v_bfrev_b32_e32 v7, 1
	s_and_saveexec_b64 s[30:31], vcc
	s_cbranch_execz .LBB6_17760
; %bb.17757:                            ;   in Loop: Header=BB6_16537 Depth=3
	v_bfe_u32 v9, v9, 24, 7
	v_cmp_ne_u32_e32 vcc, s86, v9
	v_mov_b32_e32 v7, 0x7f800001
	s_and_saveexec_b64 s[34:35], vcc
	s_cbranch_execz .LBB6_17759
; %bb.17758:                            ;   in Loop: Header=BB6_16537 Depth=3
	v_and_b32_e32 v7, 7, v8
	v_lshrrev_b32_e32 v14, 3, v9
	v_cmp_gt_u32_e32 vcc, 8, v9
	v_ffbh_u32_e32 v9, v7
	v_min_u32_e32 v9, 32, v9
	v_subrev_u32_e32 v12, 28, v9
	v_lshlrev_b64 v[12:13], v12, v[8:9]
	v_sub_u32_e32 v9, 29, v9
	v_and_b32_e32 v12, 7, v12
	v_cndmask_b32_e32 v9, v14, v9, vcc
	v_cndmask_b32_e32 v7, v7, v12, vcc
	v_lshlrev_b32_e32 v8, 24, v8
	v_bfrev_b32_e32 v12, 60
	v_lshlrev_b32_e32 v7, 20, v7
	v_and_b32_e32 v8, 0x80000000, v8
	v_lshl_add_u32 v9, v9, 23, v12
	v_or3_b32 v7, v8, v9, v7
.LBB6_17759:                            ;   in Loop: Header=BB6_16537 Depth=3
	s_or_b64 exec, exec, s[34:35]
.LBB6_17760:                            ;   in Loop: Header=BB6_16537 Depth=3
	s_or_b64 exec, exec, s[30:31]
.LBB6_17761:                            ;   in Loop: Header=BB6_16537 Depth=3
	s_or_b64 exec, exec, s[28:29]
	v_mul_f32_e32 v8, v16, v7
	v_and_b32_e32 v12, 0x7f800000, v8
	v_mov_b32_e32 v13, v51
	v_cmp_ne_u64_e32 vcc, s[76:77], v[12:13]
                                        ; implicit-def: $vgpr7
                                        ; kill: killed $vgpr7
	s_and_saveexec_b64 s[28:29], vcc
	s_xor_b64 s[30:31], exec, s[28:29]
	s_cbranch_execz .LBB6_17775
; %bb.17762:                            ;   in Loop: Header=BB6_16537 Depth=3
	v_and_b32_e32 v12, 0x7fffffff, v8
	v_mov_b32_e32 v13, v51
	v_cmp_gt_u64_e32 vcc, s[78:79], v[12:13]
	v_and_b32_sdwa v7, v8, s96 dst_sel:DWORD dst_unused:UNUSED_PAD src0_sel:BYTE_3 src1_sel:DWORD
                                        ; implicit-def: $vgpr9
                                        ; kill: killed $vgpr9
	s_and_saveexec_b64 s[28:29], vcc
	s_xor_b64 s[34:35], exec, s[28:29]
	s_cbranch_execz .LBB6_17772
; %bb.17763:                            ;   in Loop: Header=BB6_16537 Depth=3
	v_mov_b32_e32 v9, 0
	v_cmp_ne_u32_e32 vcc, 0, v8
	buffer_store_dword v9, off, s[0:3], s33 offset:160 ; 4-byte Folded Spill
	s_and_saveexec_b64 s[36:37], vcc
	s_cbranch_execz .LBB6_17771
; %bb.17764:                            ;   in Loop: Header=BB6_16537 Depth=3
	v_bfe_u32 v14, v8, 23, 8
	v_and_b32_e32 v9, 0x7fffff, v8
	v_cmp_gt_u32_e64 s[28:29], s97, v14
	v_sub_u32_e32 v8, 0x79, v14
	v_cmp_eq_u32_e32 vcc, 0, v14
	v_cndmask_b32_e64 v8, 0, v8, s[28:29]
	v_mov_b32_e32 v13, 0x78
	v_or_b32_e32 v12, 0x800000, v9
	v_cndmask_b32_e32 v15, v8, v13, vcc
	v_cndmask_b32_e32 v8, v12, v9, vcc
	v_add_u32_e32 v12, 20, v15
	v_lshlrev_b64 v[12:13], v12, -1
	v_mov_b32_e32 v9, v51
	v_add_u32_e32 v17, 19, v15
	v_bfi_b32 v12, v12, 0, v8
	v_lshlrev_b64 v[17:18], v17, 1
	v_lshrrev_b64 v[8:9], v15, v[8:9]
	v_bfi_b32 v13, v13, 0, 0
	v_cmp_eq_u64_e64 s[28:29], v[12:13], v[17:18]
	v_mov_b32_e32 v13, v9
	v_mov_b32_e32 v12, v8
	s_and_saveexec_b64 s[38:39], s[28:29]
; %bb.17765:                            ;   in Loop: Header=BB6_16537 Depth=3
	v_bfe_u32 v9, v8, 20, 1
	v_add_co_u32_e64 v9, s[28:29], v8, v9
	v_add_co_u32_e64 v12, s[28:29], -1, v9
; %bb.17766:                            ;   in Loop: Header=BB6_16537 Depth=3
	s_or_b64 exec, exec, s[38:39]
	v_add_u32_e32 v9, 0xffffff81, v14
	v_mov_b32_e32 v13, 0xffffff82
	v_cndmask_b32_e32 v9, v9, v13, vcc
	v_lshrrev_b32_e32 v13, 23, v8
	v_add3_u32 v14, v15, v9, v13
	v_add_u32_e32 v13, 6, v14
	v_and_b32_e32 v9, 0xfffff, v12
	v_add_u32_e32 v8, v9, v8
	v_mov_b32_e32 v9, v51
	v_cmp_ne_u32_e32 vcc, 0, v13
                                        ; implicit-def: $vgpr12
	s_and_saveexec_b64 s[28:29], vcc
	s_xor_b64 s[28:29], exec, s[28:29]
; %bb.17767:                            ;   in Loop: Header=BB6_16537 Depth=3
	v_cmp_lt_u64_e32 vcc, s[88:89], v[8:9]
	v_add_u32_e32 v12, 7, v14
	v_cndmask_b32_e32 v12, v13, v12, vcc
	v_cndmask_b32_e64 v13, 0, 1, vcc
	v_lshrrev_b64 v[8:9], v13, v[8:9]
; %bb.17768:                            ;   in Loop: Header=BB6_16537 Depth=3
	s_andn2_saveexec_b64 s[28:29], s[28:29]
; %bb.17769:                            ;   in Loop: Header=BB6_16537 Depth=3
	v_bfe_u32 v12, v8, 23, 1
; %bb.17770:                            ;   in Loop: Header=BB6_16537 Depth=3
	s_or_b64 exec, exec, s[28:29]
	v_lshrrev_b64 v[8:9], 20, v[8:9]
	v_cmp_gt_i32_e32 vcc, 16, v12
	v_cndmask_b32_e32 v9, 0, v9, vcc
	v_cndmask_b32_e32 v8, 7, v8, vcc
	v_cmp_eq_u64_e64 s[28:29], 0, v[8:9]
	v_min_i32_e32 v9, 15, v12
	v_lshlrev_b32_e32 v9, 3, v9
	v_cmp_eq_u32_e32 vcc, 0, v12
	v_and_b32_e32 v9, 0xf8, v9
	v_and_or_b32 v8, v8, 7, v9
	s_and_b64 s[28:29], vcc, s[28:29]
	v_cndmask_b32_e64 v8, v8, 0, s[28:29]
	v_or_b32_e32 v7, v8, v7
	buffer_store_dword v7, off, s[0:3], s33 offset:160 ; 4-byte Folded Spill
.LBB6_17771:                            ;   in Loop: Header=BB6_16537 Depth=3
	s_or_b64 exec, exec, s[36:37]
                                        ; implicit-def: $vgpr7
.LBB6_17772:                            ;   in Loop: Header=BB6_16537 Depth=3
	s_andn2_saveexec_b64 s[28:29], s[34:35]
	s_cbranch_execz .LBB6_17774
; %bb.17773:                            ;   in Loop: Header=BB6_16537 Depth=3
	v_or_b32_e32 v7, 0x7e, v7
	buffer_store_dword v7, off, s[0:3], s33 offset:160 ; 4-byte Folded Spill
.LBB6_17774:                            ;   in Loop: Header=BB6_16537 Depth=3
	s_or_b64 exec, exec, s[28:29]
                                        ; implicit-def: $vgpr8
.LBB6_17775:                            ;   in Loop: Header=BB6_16537 Depth=3
	s_andn2_saveexec_b64 s[28:29], s[30:31]
	s_cbranch_execz .LBB6_17777
; %bb.17776:                            ;   in Loop: Header=BB6_16537 Depth=3
	v_or_b32_sdwa v7, v8, s86 dst_sel:DWORD dst_unused:UNUSED_PAD src0_sel:BYTE_3 src1_sel:DWORD
	buffer_store_dword v7, off, s[0:3], s33 offset:160 ; 4-byte Folded Spill
.LBB6_17777:                            ;   in Loop: Header=BB6_16537 Depth=3
	s_or_b64 exec, exec, s[28:29]
	v_cmp_ne_u16_sdwa vcc, v10, v51 src0_sel:BYTE_0 src1_sel:DWORD
	v_mov_b32_e32 v7, 0
	s_and_saveexec_b64 s[28:29], vcc
	s_cbranch_execz .LBB6_17783
; %bb.17778:                            ;   in Loop: Header=BB6_16537 Depth=3
	v_cmp_ne_u16_sdwa vcc, v10, s96 src0_sel:BYTE_0 src1_sel:DWORD
	v_bfrev_b32_e32 v7, 1
	s_and_saveexec_b64 s[30:31], vcc
	s_cbranch_execz .LBB6_17782
; %bb.17779:                            ;   in Loop: Header=BB6_16537 Depth=3
	v_and_b32_e32 v8, 0x7f, v10
	v_cmp_ne_u32_e32 vcc, s86, v8
	v_mov_b32_e32 v7, 0x7f800001
	s_and_saveexec_b64 s[34:35], vcc
	s_cbranch_execz .LBB6_17781
; %bb.17780:                            ;   in Loop: Header=BB6_16537 Depth=3
	v_and_b32_e32 v7, 7, v10
	v_ffbh_u32_e32 v7, v7
	v_min_u32_e32 v7, 32, v7
	v_lshrrev_b32_e32 v9, 3, v8
	v_cmp_gt_u32_e32 vcc, 8, v8
	v_subrev_u32_e32 v8, 28, v7
	v_sub_u32_e32 v7, 29, v7
	v_cndmask_b32_e32 v9, v9, v7, vcc
	v_cndmask_b32_e32 v7, 0, v8, vcc
	v_lshlrev_b64 v[7:8], v7, v[10:11]
	v_lshlrev_b32_e32 v8, 24, v10
	v_lshlrev_b32_e32 v7, 20, v7
	v_bfrev_b32_e32 v12, 60
	v_and_b32_e32 v7, 0x700000, v7
	v_and_b32_e32 v8, 0x80000000, v8
	v_lshl_add_u32 v9, v9, 23, v12
	v_or3_b32 v7, v8, v9, v7
.LBB6_17781:                            ;   in Loop: Header=BB6_16537 Depth=3
	s_or_b64 exec, exec, s[34:35]
.LBB6_17782:                            ;   in Loop: Header=BB6_16537 Depth=3
	s_or_b64 exec, exec, s[30:31]
.LBB6_17783:                            ;   in Loop: Header=BB6_16537 Depth=3
	s_or_b64 exec, exec, s[28:29]
	v_mul_f32_e32 v8, v16, v7
	v_and_b32_e32 v12, 0x7f800000, v8
	v_mov_b32_e32 v13, v51
	v_cmp_ne_u64_e32 vcc, s[76:77], v[12:13]
                                        ; implicit-def: $vgpr42
	s_and_saveexec_b64 s[28:29], vcc
	s_xor_b64 s[30:31], exec, s[28:29]
	s_cbranch_execz .LBB6_17797
; %bb.17784:                            ;   in Loop: Header=BB6_16537 Depth=3
	v_and_b32_e32 v12, 0x7fffffff, v8
	v_mov_b32_e32 v13, v51
	v_cmp_gt_u64_e32 vcc, s[78:79], v[12:13]
	v_and_b32_sdwa v7, v8, s96 dst_sel:DWORD dst_unused:UNUSED_PAD src0_sel:BYTE_3 src1_sel:DWORD
                                        ; implicit-def: $vgpr42
	s_and_saveexec_b64 s[28:29], vcc
	s_xor_b64 s[34:35], exec, s[28:29]
	s_cbranch_execz .LBB6_17794
; %bb.17785:                            ;   in Loop: Header=BB6_16537 Depth=3
	v_mov_b32_e32 v42, 0
	v_cmp_ne_u32_e32 vcc, 0, v8
	s_and_saveexec_b64 s[36:37], vcc
	s_cbranch_execz .LBB6_17793
; %bb.17786:                            ;   in Loop: Header=BB6_16537 Depth=3
	v_bfe_u32 v14, v8, 23, 8
	v_and_b32_e32 v9, 0x7fffff, v8
	v_cmp_gt_u32_e64 s[28:29], s97, v14
	v_sub_u32_e32 v8, 0x79, v14
	v_cmp_eq_u32_e32 vcc, 0, v14
	v_cndmask_b32_e64 v8, 0, v8, s[28:29]
	v_mov_b32_e32 v13, 0x78
	v_or_b32_e32 v12, 0x800000, v9
	v_cndmask_b32_e32 v15, v8, v13, vcc
	v_cndmask_b32_e32 v8, v12, v9, vcc
	v_add_u32_e32 v12, 20, v15
	v_lshlrev_b64 v[12:13], v12, -1
	v_mov_b32_e32 v9, v51
	v_add_u32_e32 v17, 19, v15
	v_bfi_b32 v12, v12, 0, v8
	v_lshlrev_b64 v[17:18], v17, 1
	v_lshrrev_b64 v[8:9], v15, v[8:9]
	v_bfi_b32 v13, v13, 0, 0
	v_cmp_eq_u64_e64 s[28:29], v[12:13], v[17:18]
	v_mov_b32_e32 v13, v9
	v_mov_b32_e32 v12, v8
	s_and_saveexec_b64 s[38:39], s[28:29]
; %bb.17787:                            ;   in Loop: Header=BB6_16537 Depth=3
	v_bfe_u32 v9, v8, 20, 1
	v_add_co_u32_e64 v9, s[28:29], v8, v9
	v_add_co_u32_e64 v12, s[28:29], -1, v9
; %bb.17788:                            ;   in Loop: Header=BB6_16537 Depth=3
	s_or_b64 exec, exec, s[38:39]
	v_add_u32_e32 v9, 0xffffff81, v14
	v_mov_b32_e32 v13, 0xffffff82
	v_cndmask_b32_e32 v9, v9, v13, vcc
	v_lshrrev_b32_e32 v13, 23, v8
	v_add3_u32 v14, v15, v9, v13
	v_add_u32_e32 v13, 6, v14
	v_and_b32_e32 v9, 0xfffff, v12
	v_add_u32_e32 v8, v9, v8
	v_mov_b32_e32 v9, v51
	v_cmp_ne_u32_e32 vcc, 0, v13
                                        ; implicit-def: $vgpr12
	s_and_saveexec_b64 s[28:29], vcc
	s_xor_b64 s[28:29], exec, s[28:29]
; %bb.17789:                            ;   in Loop: Header=BB6_16537 Depth=3
	v_cmp_lt_u64_e32 vcc, s[88:89], v[8:9]
	v_add_u32_e32 v12, 7, v14
	v_cndmask_b32_e32 v12, v13, v12, vcc
	v_cndmask_b32_e64 v13, 0, 1, vcc
	v_lshrrev_b64 v[8:9], v13, v[8:9]
; %bb.17790:                            ;   in Loop: Header=BB6_16537 Depth=3
	s_andn2_saveexec_b64 s[28:29], s[28:29]
; %bb.17791:                            ;   in Loop: Header=BB6_16537 Depth=3
	v_bfe_u32 v12, v8, 23, 1
; %bb.17792:                            ;   in Loop: Header=BB6_16537 Depth=3
	s_or_b64 exec, exec, s[28:29]
	v_lshrrev_b64 v[8:9], 20, v[8:9]
	v_cmp_gt_i32_e32 vcc, 16, v12
	v_cndmask_b32_e32 v9, 0, v9, vcc
	v_cndmask_b32_e32 v8, 7, v8, vcc
	v_cmp_eq_u64_e64 s[28:29], 0, v[8:9]
	v_min_i32_e32 v9, 15, v12
	v_lshlrev_b32_e32 v9, 3, v9
	v_cmp_eq_u32_e32 vcc, 0, v12
	v_and_b32_e32 v9, 0xf8, v9
	v_and_or_b32 v8, v8, 7, v9
	s_and_b64 s[28:29], vcc, s[28:29]
	v_cndmask_b32_e64 v8, v8, 0, s[28:29]
	v_or_b32_e32 v42, v8, v7
.LBB6_17793:                            ;   in Loop: Header=BB6_16537 Depth=3
	s_or_b64 exec, exec, s[36:37]
                                        ; implicit-def: $vgpr7
.LBB6_17794:                            ;   in Loop: Header=BB6_16537 Depth=3
	s_andn2_saveexec_b64 s[28:29], s[34:35]
; %bb.17795:                            ;   in Loop: Header=BB6_16537 Depth=3
	v_or_b32_e32 v42, 0x7e, v7
; %bb.17796:                            ;   in Loop: Header=BB6_16537 Depth=3
	s_or_b64 exec, exec, s[28:29]
                                        ; implicit-def: $vgpr8
.LBB6_17797:                            ;   in Loop: Header=BB6_16537 Depth=3
	s_andn2_saveexec_b64 s[28:29], s[30:31]
; %bb.17798:                            ;   in Loop: Header=BB6_16537 Depth=3
	v_or_b32_sdwa v42, v8, s86 dst_sel:DWORD dst_unused:UNUSED_PAD src0_sel:BYTE_3 src1_sel:DWORD
; %bb.17799:                            ;   in Loop: Header=BB6_16537 Depth=3
	s_or_b64 exec, exec, s[28:29]
	v_lshrrev_b16_e32 v8, 8, v10
	v_cmp_ne_u16_e32 vcc, 0, v8
	v_mov_b32_e32 v7, 0
	s_and_saveexec_b64 s[28:29], vcc
	s_cbranch_execz .LBB6_17805
; %bb.17800:                            ;   in Loop: Header=BB6_16537 Depth=3
	v_cmp_ne_u16_e32 vcc, s96, v8
	v_bfrev_b32_e32 v7, 1
	s_and_saveexec_b64 s[30:31], vcc
	s_cbranch_execz .LBB6_17804
; %bb.17801:                            ;   in Loop: Header=BB6_16537 Depth=3
	v_and_b32_e32 v9, 0x7f, v8
	v_cmp_ne_u32_e32 vcc, s86, v9
	v_mov_b32_e32 v7, 0x7f800001
	s_and_saveexec_b64 s[34:35], vcc
	s_cbranch_execz .LBB6_17803
; %bb.17802:                            ;   in Loop: Header=BB6_16537 Depth=3
	v_and_b32_e32 v12, 7, v8
	v_ffbh_u32_e32 v7, v12
	v_lshrrev_b32_e32 v13, 3, v9
	v_cmp_gt_u32_e32 vcc, 8, v9
	v_min_u32_e32 v9, 32, v7
	v_subrev_u32_e32 v7, 28, v9
	v_lshlrev_b64 v[7:8], v7, v[8:9]
	v_sub_u32_e32 v8, 29, v9
	v_and_b32_e32 v7, 7, v7
	v_cndmask_b32_e32 v8, v13, v8, vcc
	v_cndmask_b32_e32 v7, v12, v7, vcc
	v_lshlrev_b32_e32 v9, 16, v10
	v_bfrev_b32_e32 v12, 60
	v_lshlrev_b32_e32 v7, 20, v7
	v_and_b32_e32 v9, 0x80000000, v9
	v_lshl_add_u32 v8, v8, 23, v12
	v_or3_b32 v7, v9, v8, v7
.LBB6_17803:                            ;   in Loop: Header=BB6_16537 Depth=3
	s_or_b64 exec, exec, s[34:35]
.LBB6_17804:                            ;   in Loop: Header=BB6_16537 Depth=3
	s_or_b64 exec, exec, s[30:31]
.LBB6_17805:                            ;   in Loop: Header=BB6_16537 Depth=3
	s_or_b64 exec, exec, s[28:29]
	v_mul_f32_e32 v8, v16, v7
	v_and_b32_e32 v12, 0x7f800000, v8
	v_mov_b32_e32 v13, v51
	v_cmp_ne_u64_e32 vcc, s[76:77], v[12:13]
                                        ; implicit-def: $vgpr7
                                        ; kill: killed $vgpr7
	s_and_saveexec_b64 s[28:29], vcc
	s_xor_b64 s[30:31], exec, s[28:29]
	s_cbranch_execz .LBB6_17819
; %bb.17806:                            ;   in Loop: Header=BB6_16537 Depth=3
	v_and_b32_e32 v12, 0x7fffffff, v8
	v_mov_b32_e32 v13, v51
	v_cmp_gt_u64_e32 vcc, s[78:79], v[12:13]
	v_and_b32_sdwa v7, v8, s96 dst_sel:DWORD dst_unused:UNUSED_PAD src0_sel:BYTE_3 src1_sel:DWORD
                                        ; implicit-def: $vgpr9
                                        ; kill: killed $vgpr9
	s_and_saveexec_b64 s[28:29], vcc
	s_xor_b64 s[34:35], exec, s[28:29]
	s_cbranch_execz .LBB6_17816
; %bb.17807:                            ;   in Loop: Header=BB6_16537 Depth=3
	v_mov_b32_e32 v9, 0
	v_cmp_ne_u32_e32 vcc, 0, v8
	buffer_store_dword v9, off, s[0:3], s33 offset:112 ; 4-byte Folded Spill
	s_and_saveexec_b64 s[36:37], vcc
	s_cbranch_execz .LBB6_17815
; %bb.17808:                            ;   in Loop: Header=BB6_16537 Depth=3
	v_bfe_u32 v14, v8, 23, 8
	v_and_b32_e32 v9, 0x7fffff, v8
	v_cmp_gt_u32_e64 s[28:29], s97, v14
	v_sub_u32_e32 v8, 0x79, v14
	v_cmp_eq_u32_e32 vcc, 0, v14
	v_cndmask_b32_e64 v8, 0, v8, s[28:29]
	v_mov_b32_e32 v13, 0x78
	v_or_b32_e32 v12, 0x800000, v9
	v_cndmask_b32_e32 v15, v8, v13, vcc
	v_cndmask_b32_e32 v8, v12, v9, vcc
	v_add_u32_e32 v12, 20, v15
	v_lshlrev_b64 v[12:13], v12, -1
	v_mov_b32_e32 v9, v51
	v_add_u32_e32 v17, 19, v15
	v_bfi_b32 v12, v12, 0, v8
	v_lshlrev_b64 v[17:18], v17, 1
	v_lshrrev_b64 v[8:9], v15, v[8:9]
	v_bfi_b32 v13, v13, 0, 0
	v_cmp_eq_u64_e64 s[28:29], v[12:13], v[17:18]
	v_mov_b32_e32 v13, v9
	v_mov_b32_e32 v12, v8
	s_and_saveexec_b64 s[38:39], s[28:29]
; %bb.17809:                            ;   in Loop: Header=BB6_16537 Depth=3
	v_bfe_u32 v9, v8, 20, 1
	v_add_co_u32_e64 v9, s[28:29], v8, v9
	v_add_co_u32_e64 v12, s[28:29], -1, v9
; %bb.17810:                            ;   in Loop: Header=BB6_16537 Depth=3
	s_or_b64 exec, exec, s[38:39]
	v_add_u32_e32 v9, 0xffffff81, v14
	v_mov_b32_e32 v13, 0xffffff82
	v_cndmask_b32_e32 v9, v9, v13, vcc
	v_lshrrev_b32_e32 v13, 23, v8
	v_add3_u32 v14, v15, v9, v13
	v_add_u32_e32 v13, 6, v14
	v_and_b32_e32 v9, 0xfffff, v12
	v_add_u32_e32 v8, v9, v8
	v_mov_b32_e32 v9, v51
	v_cmp_ne_u32_e32 vcc, 0, v13
                                        ; implicit-def: $vgpr12
	s_and_saveexec_b64 s[28:29], vcc
	s_xor_b64 s[28:29], exec, s[28:29]
; %bb.17811:                            ;   in Loop: Header=BB6_16537 Depth=3
	v_cmp_lt_u64_e32 vcc, s[88:89], v[8:9]
	v_add_u32_e32 v12, 7, v14
	v_cndmask_b32_e32 v12, v13, v12, vcc
	v_cndmask_b32_e64 v13, 0, 1, vcc
	v_lshrrev_b64 v[8:9], v13, v[8:9]
; %bb.17812:                            ;   in Loop: Header=BB6_16537 Depth=3
	s_andn2_saveexec_b64 s[28:29], s[28:29]
; %bb.17813:                            ;   in Loop: Header=BB6_16537 Depth=3
	v_bfe_u32 v12, v8, 23, 1
; %bb.17814:                            ;   in Loop: Header=BB6_16537 Depth=3
	s_or_b64 exec, exec, s[28:29]
	v_lshrrev_b64 v[8:9], 20, v[8:9]
	v_cmp_gt_i32_e32 vcc, 16, v12
	v_cndmask_b32_e32 v9, 0, v9, vcc
	v_cndmask_b32_e32 v8, 7, v8, vcc
	v_cmp_eq_u64_e64 s[28:29], 0, v[8:9]
	v_min_i32_e32 v9, 15, v12
	v_lshlrev_b32_e32 v9, 3, v9
	v_cmp_eq_u32_e32 vcc, 0, v12
	v_and_b32_e32 v9, 0xf8, v9
	v_and_or_b32 v8, v8, 7, v9
	s_and_b64 s[28:29], vcc, s[28:29]
	v_cndmask_b32_e64 v8, v8, 0, s[28:29]
	v_or_b32_e32 v7, v8, v7
	buffer_store_dword v7, off, s[0:3], s33 offset:112 ; 4-byte Folded Spill
.LBB6_17815:                            ;   in Loop: Header=BB6_16537 Depth=3
	s_or_b64 exec, exec, s[36:37]
                                        ; implicit-def: $vgpr7
.LBB6_17816:                            ;   in Loop: Header=BB6_16537 Depth=3
	s_andn2_saveexec_b64 s[28:29], s[34:35]
	s_cbranch_execz .LBB6_17818
; %bb.17817:                            ;   in Loop: Header=BB6_16537 Depth=3
	v_or_b32_e32 v7, 0x7e, v7
	buffer_store_dword v7, off, s[0:3], s33 offset:112 ; 4-byte Folded Spill
.LBB6_17818:                            ;   in Loop: Header=BB6_16537 Depth=3
	s_or_b64 exec, exec, s[28:29]
                                        ; implicit-def: $vgpr8
.LBB6_17819:                            ;   in Loop: Header=BB6_16537 Depth=3
	s_andn2_saveexec_b64 s[28:29], s[30:31]
	s_cbranch_execz .LBB6_17821
; %bb.17820:                            ;   in Loop: Header=BB6_16537 Depth=3
	v_or_b32_sdwa v7, v8, s86 dst_sel:DWORD dst_unused:UNUSED_PAD src0_sel:BYTE_3 src1_sel:DWORD
	buffer_store_dword v7, off, s[0:3], s33 offset:112 ; 4-byte Folded Spill
.LBB6_17821:                            ;   in Loop: Header=BB6_16537 Depth=3
	s_or_b64 exec, exec, s[28:29]
	v_lshrrev_b32_e32 v8, 16, v10
	v_cmp_ne_u16_sdwa vcc, v8, v51 src0_sel:BYTE_0 src1_sel:DWORD
	v_mov_b32_e32 v7, 0
	s_and_saveexec_b64 s[28:29], vcc
	s_cbranch_execz .LBB6_17827
; %bb.17822:                            ;   in Loop: Header=BB6_16537 Depth=3
	v_cmp_ne_u16_sdwa vcc, v8, s96 src0_sel:BYTE_0 src1_sel:DWORD
	v_bfrev_b32_e32 v7, 1
	s_and_saveexec_b64 s[30:31], vcc
	s_cbranch_execz .LBB6_17826
; %bb.17823:                            ;   in Loop: Header=BB6_16537 Depth=3
	v_bfe_u32 v9, v10, 16, 7
	v_cmp_ne_u32_e32 vcc, s86, v9
	v_mov_b32_e32 v7, 0x7f800001
	s_and_saveexec_b64 s[34:35], vcc
	s_cbranch_execz .LBB6_17825
; %bb.17824:                            ;   in Loop: Header=BB6_16537 Depth=3
	v_and_b32_e32 v7, 7, v8
	v_lshrrev_b32_e32 v14, 3, v9
	v_cmp_gt_u32_e32 vcc, 8, v9
	v_ffbh_u32_e32 v9, v7
	v_min_u32_e32 v9, 32, v9
	v_subrev_u32_e32 v12, 28, v9
	v_lshlrev_b64 v[12:13], v12, v[8:9]
	v_sub_u32_e32 v9, 29, v9
	v_and_b32_e32 v12, 7, v12
	v_cndmask_b32_e32 v9, v14, v9, vcc
	v_cndmask_b32_e32 v7, v7, v12, vcc
	v_lshlrev_b32_e32 v8, 24, v8
	v_bfrev_b32_e32 v12, 60
	v_lshlrev_b32_e32 v7, 20, v7
	v_and_b32_e32 v8, 0x80000000, v8
	v_lshl_add_u32 v9, v9, 23, v12
	v_or3_b32 v7, v8, v9, v7
.LBB6_17825:                            ;   in Loop: Header=BB6_16537 Depth=3
	s_or_b64 exec, exec, s[34:35]
.LBB6_17826:                            ;   in Loop: Header=BB6_16537 Depth=3
	s_or_b64 exec, exec, s[30:31]
.LBB6_17827:                            ;   in Loop: Header=BB6_16537 Depth=3
	s_or_b64 exec, exec, s[28:29]
	v_mul_f32_e32 v8, v16, v7
	v_and_b32_e32 v12, 0x7f800000, v8
	v_mov_b32_e32 v13, v51
	v_cmp_ne_u64_e32 vcc, s[76:77], v[12:13]
                                        ; implicit-def: $vgpr7
                                        ; kill: killed $vgpr7
	s_and_saveexec_b64 s[28:29], vcc
	s_xor_b64 s[30:31], exec, s[28:29]
	s_cbranch_execz .LBB6_17841
; %bb.17828:                            ;   in Loop: Header=BB6_16537 Depth=3
	v_and_b32_e32 v12, 0x7fffffff, v8
	v_mov_b32_e32 v13, v51
	v_cmp_gt_u64_e32 vcc, s[78:79], v[12:13]
	v_and_b32_sdwa v7, v8, s96 dst_sel:DWORD dst_unused:UNUSED_PAD src0_sel:BYTE_3 src1_sel:DWORD
                                        ; implicit-def: $vgpr9
                                        ; kill: killed $vgpr9
	s_and_saveexec_b64 s[28:29], vcc
	s_xor_b64 s[34:35], exec, s[28:29]
	s_cbranch_execz .LBB6_17838
; %bb.17829:                            ;   in Loop: Header=BB6_16537 Depth=3
	v_mov_b32_e32 v9, 0
	v_cmp_ne_u32_e32 vcc, 0, v8
	buffer_store_dword v9, off, s[0:3], s33 offset:128 ; 4-byte Folded Spill
	s_and_saveexec_b64 s[36:37], vcc
	s_cbranch_execz .LBB6_17837
; %bb.17830:                            ;   in Loop: Header=BB6_16537 Depth=3
	v_bfe_u32 v14, v8, 23, 8
	v_and_b32_e32 v9, 0x7fffff, v8
	v_cmp_gt_u32_e64 s[28:29], s97, v14
	v_sub_u32_e32 v8, 0x79, v14
	v_cmp_eq_u32_e32 vcc, 0, v14
	v_cndmask_b32_e64 v8, 0, v8, s[28:29]
	v_mov_b32_e32 v13, 0x78
	v_or_b32_e32 v12, 0x800000, v9
	v_cndmask_b32_e32 v15, v8, v13, vcc
	v_cndmask_b32_e32 v8, v12, v9, vcc
	v_add_u32_e32 v12, 20, v15
	v_lshlrev_b64 v[12:13], v12, -1
	v_mov_b32_e32 v9, v51
	v_add_u32_e32 v17, 19, v15
	v_bfi_b32 v12, v12, 0, v8
	v_lshlrev_b64 v[17:18], v17, 1
	v_lshrrev_b64 v[8:9], v15, v[8:9]
	v_bfi_b32 v13, v13, 0, 0
	v_cmp_eq_u64_e64 s[28:29], v[12:13], v[17:18]
	v_mov_b32_e32 v13, v9
	v_mov_b32_e32 v12, v8
	s_and_saveexec_b64 s[38:39], s[28:29]
; %bb.17831:                            ;   in Loop: Header=BB6_16537 Depth=3
	v_bfe_u32 v9, v8, 20, 1
	v_add_co_u32_e64 v9, s[28:29], v8, v9
	v_add_co_u32_e64 v12, s[28:29], -1, v9
; %bb.17832:                            ;   in Loop: Header=BB6_16537 Depth=3
	s_or_b64 exec, exec, s[38:39]
	v_add_u32_e32 v9, 0xffffff81, v14
	v_mov_b32_e32 v13, 0xffffff82
	v_cndmask_b32_e32 v9, v9, v13, vcc
	v_lshrrev_b32_e32 v13, 23, v8
	v_add3_u32 v14, v15, v9, v13
	v_add_u32_e32 v13, 6, v14
	v_and_b32_e32 v9, 0xfffff, v12
	v_add_u32_e32 v8, v9, v8
	v_mov_b32_e32 v9, v51
	v_cmp_ne_u32_e32 vcc, 0, v13
                                        ; implicit-def: $vgpr12
	s_and_saveexec_b64 s[28:29], vcc
	s_xor_b64 s[28:29], exec, s[28:29]
; %bb.17833:                            ;   in Loop: Header=BB6_16537 Depth=3
	v_cmp_lt_u64_e32 vcc, s[88:89], v[8:9]
	v_add_u32_e32 v12, 7, v14
	v_cndmask_b32_e32 v12, v13, v12, vcc
	v_cndmask_b32_e64 v13, 0, 1, vcc
	v_lshrrev_b64 v[8:9], v13, v[8:9]
; %bb.17834:                            ;   in Loop: Header=BB6_16537 Depth=3
	s_andn2_saveexec_b64 s[28:29], s[28:29]
; %bb.17835:                            ;   in Loop: Header=BB6_16537 Depth=3
	v_bfe_u32 v12, v8, 23, 1
; %bb.17836:                            ;   in Loop: Header=BB6_16537 Depth=3
	s_or_b64 exec, exec, s[28:29]
	v_lshrrev_b64 v[8:9], 20, v[8:9]
	v_cmp_gt_i32_e32 vcc, 16, v12
	v_cndmask_b32_e32 v9, 0, v9, vcc
	v_cndmask_b32_e32 v8, 7, v8, vcc
	v_cmp_eq_u64_e64 s[28:29], 0, v[8:9]
	v_min_i32_e32 v9, 15, v12
	v_lshlrev_b32_e32 v9, 3, v9
	v_cmp_eq_u32_e32 vcc, 0, v12
	v_and_b32_e32 v9, 0xf8, v9
	v_and_or_b32 v8, v8, 7, v9
	s_and_b64 s[28:29], vcc, s[28:29]
	v_cndmask_b32_e64 v8, v8, 0, s[28:29]
	v_or_b32_e32 v7, v8, v7
	buffer_store_dword v7, off, s[0:3], s33 offset:128 ; 4-byte Folded Spill
.LBB6_17837:                            ;   in Loop: Header=BB6_16537 Depth=3
	s_or_b64 exec, exec, s[36:37]
                                        ; implicit-def: $vgpr7
.LBB6_17838:                            ;   in Loop: Header=BB6_16537 Depth=3
	s_andn2_saveexec_b64 s[28:29], s[34:35]
	s_cbranch_execz .LBB6_17840
; %bb.17839:                            ;   in Loop: Header=BB6_16537 Depth=3
	v_or_b32_e32 v7, 0x7e, v7
	buffer_store_dword v7, off, s[0:3], s33 offset:128 ; 4-byte Folded Spill
.LBB6_17840:                            ;   in Loop: Header=BB6_16537 Depth=3
	s_or_b64 exec, exec, s[28:29]
                                        ; implicit-def: $vgpr8
.LBB6_17841:                            ;   in Loop: Header=BB6_16537 Depth=3
	s_andn2_saveexec_b64 s[28:29], s[30:31]
	s_cbranch_execz .LBB6_17843
; %bb.17842:                            ;   in Loop: Header=BB6_16537 Depth=3
	v_or_b32_sdwa v7, v8, s86 dst_sel:DWORD dst_unused:UNUSED_PAD src0_sel:BYTE_3 src1_sel:DWORD
	buffer_store_dword v7, off, s[0:3], s33 offset:128 ; 4-byte Folded Spill
.LBB6_17843:                            ;   in Loop: Header=BB6_16537 Depth=3
	s_or_b64 exec, exec, s[28:29]
	v_cmp_lt_u32_e32 vcc, s57, v10
	v_mov_b32_e32 v7, 0
	s_and_saveexec_b64 s[28:29], vcc
	s_cbranch_execz .LBB6_17849
; %bb.17844:                            ;   in Loop: Header=BB6_16537 Depth=3
	v_lshrrev_b32_e32 v8, 24, v10
	v_cmp_ne_u32_e32 vcc, s96, v8
	v_bfrev_b32_e32 v7, 1
	s_and_saveexec_b64 s[30:31], vcc
	s_cbranch_execz .LBB6_17848
; %bb.17845:                            ;   in Loop: Header=BB6_16537 Depth=3
	v_bfe_u32 v9, v10, 24, 7
	v_cmp_ne_u32_e32 vcc, s86, v9
	v_mov_b32_e32 v7, 0x7f800001
	s_and_saveexec_b64 s[34:35], vcc
	s_cbranch_execz .LBB6_17847
; %bb.17846:                            ;   in Loop: Header=BB6_16537 Depth=3
	v_and_b32_e32 v7, 7, v8
	v_lshrrev_b32_e32 v14, 3, v9
	v_cmp_gt_u32_e32 vcc, 8, v9
	v_ffbh_u32_e32 v9, v7
	v_min_u32_e32 v9, 32, v9
	v_subrev_u32_e32 v12, 28, v9
	v_lshlrev_b64 v[12:13], v12, v[8:9]
	v_sub_u32_e32 v9, 29, v9
	v_and_b32_e32 v12, 7, v12
	v_cndmask_b32_e32 v9, v14, v9, vcc
	v_cndmask_b32_e32 v7, v7, v12, vcc
	v_lshlrev_b32_e32 v8, 24, v8
	v_bfrev_b32_e32 v12, 60
	v_lshlrev_b32_e32 v7, 20, v7
	v_and_b32_e32 v8, 0x80000000, v8
	v_lshl_add_u32 v9, v9, 23, v12
	v_or3_b32 v7, v8, v9, v7
.LBB6_17847:                            ;   in Loop: Header=BB6_16537 Depth=3
	s_or_b64 exec, exec, s[34:35]
.LBB6_17848:                            ;   in Loop: Header=BB6_16537 Depth=3
	s_or_b64 exec, exec, s[30:31]
.LBB6_17849:                            ;   in Loop: Header=BB6_16537 Depth=3
	s_or_b64 exec, exec, s[28:29]
	v_mul_f32_e32 v8, v16, v7
	v_and_b32_e32 v12, 0x7f800000, v8
	v_mov_b32_e32 v13, v51
	v_cmp_ne_u64_e32 vcc, s[76:77], v[12:13]
                                        ; implicit-def: $vgpr7
                                        ; kill: killed $vgpr7
	s_and_saveexec_b64 s[28:29], vcc
	s_xor_b64 s[30:31], exec, s[28:29]
	s_cbranch_execz .LBB6_17863
; %bb.17850:                            ;   in Loop: Header=BB6_16537 Depth=3
	v_and_b32_e32 v12, 0x7fffffff, v8
	v_mov_b32_e32 v13, v51
	v_cmp_gt_u64_e32 vcc, s[78:79], v[12:13]
	v_and_b32_sdwa v7, v8, s96 dst_sel:DWORD dst_unused:UNUSED_PAD src0_sel:BYTE_3 src1_sel:DWORD
                                        ; implicit-def: $vgpr9
                                        ; kill: killed $vgpr9
	s_and_saveexec_b64 s[28:29], vcc
	s_xor_b64 s[34:35], exec, s[28:29]
	s_cbranch_execz .LBB6_17860
; %bb.17851:                            ;   in Loop: Header=BB6_16537 Depth=3
	v_mov_b32_e32 v9, 0
	v_cmp_ne_u32_e32 vcc, 0, v8
	buffer_store_dword v9, off, s[0:3], s33 offset:144 ; 4-byte Folded Spill
	s_and_saveexec_b64 s[36:37], vcc
	s_cbranch_execz .LBB6_17859
; %bb.17852:                            ;   in Loop: Header=BB6_16537 Depth=3
	v_bfe_u32 v14, v8, 23, 8
	v_and_b32_e32 v9, 0x7fffff, v8
	v_cmp_gt_u32_e64 s[28:29], s97, v14
	v_sub_u32_e32 v8, 0x79, v14
	v_cmp_eq_u32_e32 vcc, 0, v14
	v_cndmask_b32_e64 v8, 0, v8, s[28:29]
	v_mov_b32_e32 v13, 0x78
	v_or_b32_e32 v12, 0x800000, v9
	v_cndmask_b32_e32 v15, v8, v13, vcc
	v_cndmask_b32_e32 v8, v12, v9, vcc
	v_add_u32_e32 v12, 20, v15
	v_lshlrev_b64 v[12:13], v12, -1
	v_mov_b32_e32 v9, v51
	v_add_u32_e32 v17, 19, v15
	v_bfi_b32 v12, v12, 0, v8
	v_lshlrev_b64 v[17:18], v17, 1
	v_lshrrev_b64 v[8:9], v15, v[8:9]
	v_bfi_b32 v13, v13, 0, 0
	v_cmp_eq_u64_e64 s[28:29], v[12:13], v[17:18]
	v_mov_b32_e32 v13, v9
	v_mov_b32_e32 v12, v8
	s_and_saveexec_b64 s[38:39], s[28:29]
; %bb.17853:                            ;   in Loop: Header=BB6_16537 Depth=3
	v_bfe_u32 v9, v8, 20, 1
	v_add_co_u32_e64 v9, s[28:29], v8, v9
	v_add_co_u32_e64 v12, s[28:29], -1, v9
; %bb.17854:                            ;   in Loop: Header=BB6_16537 Depth=3
	s_or_b64 exec, exec, s[38:39]
	v_add_u32_e32 v9, 0xffffff81, v14
	v_mov_b32_e32 v13, 0xffffff82
	v_cndmask_b32_e32 v9, v9, v13, vcc
	v_lshrrev_b32_e32 v13, 23, v8
	v_add3_u32 v14, v15, v9, v13
	v_add_u32_e32 v13, 6, v14
	v_and_b32_e32 v9, 0xfffff, v12
	v_add_u32_e32 v8, v9, v8
	v_mov_b32_e32 v9, v51
	v_cmp_ne_u32_e32 vcc, 0, v13
                                        ; implicit-def: $vgpr12
	s_and_saveexec_b64 s[28:29], vcc
	s_xor_b64 s[28:29], exec, s[28:29]
; %bb.17855:                            ;   in Loop: Header=BB6_16537 Depth=3
	v_cmp_lt_u64_e32 vcc, s[88:89], v[8:9]
	v_add_u32_e32 v12, 7, v14
	v_cndmask_b32_e32 v12, v13, v12, vcc
	v_cndmask_b32_e64 v13, 0, 1, vcc
	v_lshrrev_b64 v[8:9], v13, v[8:9]
; %bb.17856:                            ;   in Loop: Header=BB6_16537 Depth=3
	s_andn2_saveexec_b64 s[28:29], s[28:29]
; %bb.17857:                            ;   in Loop: Header=BB6_16537 Depth=3
	v_bfe_u32 v12, v8, 23, 1
; %bb.17858:                            ;   in Loop: Header=BB6_16537 Depth=3
	s_or_b64 exec, exec, s[28:29]
	v_lshrrev_b64 v[8:9], 20, v[8:9]
	v_cmp_gt_i32_e32 vcc, 16, v12
	v_cndmask_b32_e32 v9, 0, v9, vcc
	v_cndmask_b32_e32 v8, 7, v8, vcc
	v_cmp_eq_u64_e64 s[28:29], 0, v[8:9]
	v_min_i32_e32 v9, 15, v12
	v_lshlrev_b32_e32 v9, 3, v9
	v_cmp_eq_u32_e32 vcc, 0, v12
	v_and_b32_e32 v9, 0xf8, v9
	v_and_or_b32 v8, v8, 7, v9
	s_and_b64 s[28:29], vcc, s[28:29]
	v_cndmask_b32_e64 v8, v8, 0, s[28:29]
	v_or_b32_e32 v7, v8, v7
	buffer_store_dword v7, off, s[0:3], s33 offset:144 ; 4-byte Folded Spill
.LBB6_17859:                            ;   in Loop: Header=BB6_16537 Depth=3
	s_or_b64 exec, exec, s[36:37]
                                        ; implicit-def: $vgpr7
.LBB6_17860:                            ;   in Loop: Header=BB6_16537 Depth=3
	s_andn2_saveexec_b64 s[28:29], s[34:35]
	s_cbranch_execz .LBB6_17862
; %bb.17861:                            ;   in Loop: Header=BB6_16537 Depth=3
	v_or_b32_e32 v7, 0x7e, v7
	buffer_store_dword v7, off, s[0:3], s33 offset:144 ; 4-byte Folded Spill
.LBB6_17862:                            ;   in Loop: Header=BB6_16537 Depth=3
	s_or_b64 exec, exec, s[28:29]
                                        ; implicit-def: $vgpr8
.LBB6_17863:                            ;   in Loop: Header=BB6_16537 Depth=3
	s_andn2_saveexec_b64 s[28:29], s[30:31]
	s_cbranch_execz .LBB6_17865
; %bb.17864:                            ;   in Loop: Header=BB6_16537 Depth=3
	v_or_b32_sdwa v7, v8, s86 dst_sel:DWORD dst_unused:UNUSED_PAD src0_sel:BYTE_3 src1_sel:DWORD
	buffer_store_dword v7, off, s[0:3], s33 offset:144 ; 4-byte Folded Spill
.LBB6_17865:                            ;   in Loop: Header=BB6_16537 Depth=3
	s_or_b64 exec, exec, s[28:29]
	v_mov_b32_e32 v8, v11
	v_mov_b32_e32 v9, v51
	v_cmp_ne_u16_sdwa vcc, v11, v51 src0_sel:BYTE_0 src1_sel:DWORD
	v_mov_b32_e32 v7, 0
	s_and_saveexec_b64 s[28:29], vcc
	s_cbranch_execz .LBB6_17871
; %bb.17866:                            ;   in Loop: Header=BB6_16537 Depth=3
	v_cmp_ne_u16_sdwa vcc, v11, s96 src0_sel:BYTE_0 src1_sel:DWORD
	v_bfrev_b32_e32 v7, 1
	s_and_saveexec_b64 s[30:31], vcc
	s_cbranch_execz .LBB6_17870
; %bb.17867:                            ;   in Loop: Header=BB6_16537 Depth=3
	v_and_b32_e32 v12, 0x7f, v11
	v_cmp_ne_u32_e32 vcc, s86, v12
	v_mov_b32_e32 v7, 0x7f800001
	s_and_saveexec_b64 s[34:35], vcc
	s_cbranch_execz .LBB6_17869
; %bb.17868:                            ;   in Loop: Header=BB6_16537 Depth=3
	v_and_b32_e32 v7, 7, v11
	v_ffbh_u32_e32 v7, v7
	v_min_u32_e32 v7, 32, v7
	v_lshrrev_b32_e32 v13, 3, v12
	v_cmp_gt_u32_e32 vcc, 8, v12
	v_subrev_u32_e32 v12, 28, v7
	v_sub_u32_e32 v7, 29, v7
	v_cndmask_b32_e32 v12, 0, v12, vcc
	v_cndmask_b32_e32 v7, v13, v7, vcc
	v_lshlrev_b64 v[12:13], v12, v[8:9]
	v_bfrev_b32_e32 v13, 60
	v_lshlrev_b32_e32 v9, 20, v12
	v_lshlrev_b32_e32 v12, 24, v8
	v_and_b32_e32 v9, 0x700000, v9
	v_and_b32_e32 v12, 0x80000000, v12
	v_lshl_add_u32 v7, v7, 23, v13
	v_or3_b32 v7, v12, v7, v9
.LBB6_17869:                            ;   in Loop: Header=BB6_16537 Depth=3
	s_or_b64 exec, exec, s[34:35]
.LBB6_17870:                            ;   in Loop: Header=BB6_16537 Depth=3
	s_or_b64 exec, exec, s[30:31]
.LBB6_17871:                            ;   in Loop: Header=BB6_16537 Depth=3
	s_or_b64 exec, exec, s[28:29]
	v_mul_f32_e32 v12, v16, v7
	v_and_b32_e32 v13, 0x7f800000, v12
	v_mov_b32_e32 v14, v51
	v_cmp_ne_u64_e32 vcc, s[76:77], v[13:14]
                                        ; implicit-def: $vgpr7
	s_and_saveexec_b64 s[28:29], vcc
	s_xor_b64 s[30:31], exec, s[28:29]
	s_cbranch_execz .LBB6_17885
; %bb.17872:                            ;   in Loop: Header=BB6_16537 Depth=3
	v_and_b32_e32 v13, 0x7fffffff, v12
	v_mov_b32_e32 v14, v51
	v_cmp_gt_u64_e32 vcc, s[78:79], v[13:14]
	v_and_b32_sdwa v9, v12, s96 dst_sel:DWORD dst_unused:UNUSED_PAD src0_sel:BYTE_3 src1_sel:DWORD
                                        ; implicit-def: $vgpr7
	s_and_saveexec_b64 s[28:29], vcc
	s_xor_b64 s[34:35], exec, s[28:29]
	s_cbranch_execz .LBB6_17882
; %bb.17873:                            ;   in Loop: Header=BB6_16537 Depth=3
	v_mov_b32_e32 v7, 0
	v_cmp_ne_u32_e32 vcc, 0, v12
	s_and_saveexec_b64 s[36:37], vcc
	s_cbranch_execz .LBB6_17881
; %bb.17874:                            ;   in Loop: Header=BB6_16537 Depth=3
	v_bfe_u32 v7, v12, 23, 8
	v_and_b32_e32 v13, 0x7fffff, v12
	v_cmp_gt_u32_e64 s[28:29], s97, v7
	v_sub_u32_e32 v12, 0x79, v7
	v_cmp_eq_u32_e32 vcc, 0, v7
	v_cndmask_b32_e64 v12, 0, v12, s[28:29]
	v_mov_b32_e32 v15, 0x78
	v_or_b32_e32 v14, 0x800000, v13
	v_cndmask_b32_e32 v15, v12, v15, vcc
	v_cndmask_b32_e32 v12, v14, v13, vcc
	v_add_u32_e32 v14, 20, v15
	v_lshlrev_b64 v[17:18], v14, -1
	v_mov_b32_e32 v13, v51
	v_add_u32_e32 v14, 19, v15
	v_bfi_b32 v17, v17, 0, v12
	v_lshlrev_b64 v[19:20], v14, 1
	v_lshrrev_b64 v[12:13], v15, v[12:13]
	v_bfi_b32 v18, v18, 0, 0
	v_cmp_eq_u64_e64 s[28:29], v[17:18], v[19:20]
	v_mov_b32_e32 v14, v13
	v_mov_b32_e32 v13, v12
	s_and_saveexec_b64 s[38:39], s[28:29]
; %bb.17875:                            ;   in Loop: Header=BB6_16537 Depth=3
	v_bfe_u32 v13, v12, 20, 1
	v_add_co_u32_e64 v13, s[28:29], v12, v13
	v_add_co_u32_e64 v13, s[28:29], -1, v13
; %bb.17876:                            ;   in Loop: Header=BB6_16537 Depth=3
	s_or_b64 exec, exec, s[38:39]
	v_add_u32_e32 v7, 0xffffff81, v7
	v_mov_b32_e32 v14, 0xffffff82
	v_cndmask_b32_e32 v7, v7, v14, vcc
	v_lshrrev_b32_e32 v14, 23, v12
	v_add3_u32 v15, v15, v7, v14
	v_add_u32_e32 v14, 6, v15
	v_and_b32_e32 v7, 0xfffff, v13
	v_add_u32_e32 v12, v7, v12
	v_mov_b32_e32 v13, v51
	v_cmp_ne_u32_e32 vcc, 0, v14
                                        ; implicit-def: $vgpr7
	s_and_saveexec_b64 s[28:29], vcc
	s_xor_b64 s[28:29], exec, s[28:29]
; %bb.17877:                            ;   in Loop: Header=BB6_16537 Depth=3
	v_cmp_lt_u64_e32 vcc, s[88:89], v[12:13]
	v_add_u32_e32 v7, 7, v15
	v_cndmask_b32_e32 v7, v14, v7, vcc
	v_cndmask_b32_e64 v14, 0, 1, vcc
	v_lshrrev_b64 v[12:13], v14, v[12:13]
; %bb.17878:                            ;   in Loop: Header=BB6_16537 Depth=3
	s_andn2_saveexec_b64 s[28:29], s[28:29]
; %bb.17879:                            ;   in Loop: Header=BB6_16537 Depth=3
	v_bfe_u32 v7, v12, 23, 1
; %bb.17880:                            ;   in Loop: Header=BB6_16537 Depth=3
	s_or_b64 exec, exec, s[28:29]
	v_lshrrev_b64 v[12:13], 20, v[12:13]
	v_cmp_gt_i32_e32 vcc, 16, v7
	v_cndmask_b32_e32 v13, 0, v13, vcc
	v_cndmask_b32_e32 v12, 7, v12, vcc
	v_cmp_eq_u32_e32 vcc, 0, v7
	v_min_i32_e32 v7, 15, v7
	v_cmp_eq_u64_e64 s[28:29], 0, v[12:13]
	v_lshlrev_b32_e32 v7, 3, v7
	v_and_b32_e32 v7, 0xf8, v7
	v_and_or_b32 v7, v12, 7, v7
	s_and_b64 s[28:29], vcc, s[28:29]
	v_cndmask_b32_e64 v7, v7, 0, s[28:29]
	v_or_b32_e32 v7, v7, v9
.LBB6_17881:                            ;   in Loop: Header=BB6_16537 Depth=3
	s_or_b64 exec, exec, s[36:37]
                                        ; implicit-def: $vgpr9
.LBB6_17882:                            ;   in Loop: Header=BB6_16537 Depth=3
	s_andn2_saveexec_b64 s[28:29], s[34:35]
; %bb.17883:                            ;   in Loop: Header=BB6_16537 Depth=3
	v_or_b32_e32 v7, 0x7e, v9
; %bb.17884:                            ;   in Loop: Header=BB6_16537 Depth=3
	s_or_b64 exec, exec, s[28:29]
                                        ; implicit-def: $vgpr12
.LBB6_17885:                            ;   in Loop: Header=BB6_16537 Depth=3
	s_andn2_saveexec_b64 s[28:29], s[30:31]
; %bb.17886:                            ;   in Loop: Header=BB6_16537 Depth=3
	v_or_b32_sdwa v7, v12, s86 dst_sel:DWORD dst_unused:UNUSED_PAD src0_sel:BYTE_3 src1_sel:DWORD
; %bb.17887:                            ;   in Loop: Header=BB6_16537 Depth=3
	s_or_b64 exec, exec, s[28:29]
	v_lshrrev_b16_e32 v9, 8, v8
	v_cmp_ne_u16_e32 vcc, 0, v9
	v_mov_b32_e32 v12, 0
	s_and_saveexec_b64 s[28:29], vcc
	s_cbranch_execz .LBB6_17893
; %bb.17888:                            ;   in Loop: Header=BB6_16537 Depth=3
	v_cmp_ne_u16_e32 vcc, s96, v9
	v_bfrev_b32_e32 v12, 1
	s_and_saveexec_b64 s[30:31], vcc
	s_cbranch_execz .LBB6_17892
; %bb.17889:                            ;   in Loop: Header=BB6_16537 Depth=3
	v_and_b32_e32 v13, 0x7f, v9
	v_cmp_ne_u32_e32 vcc, s86, v13
	v_mov_b32_e32 v12, 0x7f800001
	s_and_saveexec_b64 s[34:35], vcc
	s_cbranch_execz .LBB6_17891
; %bb.17890:                            ;   in Loop: Header=BB6_16537 Depth=3
	v_and_b32_e32 v14, 7, v9
	v_ffbh_u32_e32 v12, v14
	v_min_u32_e32 v17, 32, v12
	v_subrev_u32_e32 v12, 28, v17
	v_lshrrev_b32_e32 v15, 3, v13
	v_cmp_gt_u32_e32 vcc, 8, v13
	v_lshlrev_b64 v[12:13], v12, v[9:10]
	v_sub_u32_e32 v9, 29, v17
	v_and_b32_e32 v12, 7, v12
	v_cndmask_b32_e32 v9, v15, v9, vcc
	v_cndmask_b32_e32 v12, v14, v12, vcc
	v_lshlrev_b32_e32 v8, 16, v8
	v_bfrev_b32_e32 v13, 60
	v_lshlrev_b32_e32 v12, 20, v12
	v_and_b32_e32 v8, 0x80000000, v8
	v_lshl_add_u32 v9, v9, 23, v13
	v_or3_b32 v12, v8, v9, v12
.LBB6_17891:                            ;   in Loop: Header=BB6_16537 Depth=3
	s_or_b64 exec, exec, s[34:35]
.LBB6_17892:                            ;   in Loop: Header=BB6_16537 Depth=3
	s_or_b64 exec, exec, s[30:31]
.LBB6_17893:                            ;   in Loop: Header=BB6_16537 Depth=3
	s_or_b64 exec, exec, s[28:29]
	v_mul_f32_e32 v8, v16, v12
	v_and_b32_e32 v12, 0x7f800000, v8
	v_mov_b32_e32 v13, v51
	v_cmp_ne_u64_e32 vcc, s[76:77], v[12:13]
                                        ; implicit-def: $vgpr9
                                        ; kill: killed $vgpr9
	s_and_saveexec_b64 s[28:29], vcc
	s_xor_b64 s[30:31], exec, s[28:29]
	s_cbranch_execz .LBB6_17907
; %bb.17894:                            ;   in Loop: Header=BB6_16537 Depth=3
	v_and_b32_e32 v12, 0x7fffffff, v8
	v_mov_b32_e32 v13, v51
	v_cmp_gt_u64_e32 vcc, s[78:79], v[12:13]
	v_and_b32_sdwa v14, v8, s96 dst_sel:DWORD dst_unused:UNUSED_PAD src0_sel:BYTE_3 src1_sel:DWORD
                                        ; implicit-def: $vgpr9
                                        ; kill: killed $vgpr9
	s_and_saveexec_b64 s[28:29], vcc
	s_xor_b64 s[34:35], exec, s[28:29]
	s_cbranch_execz .LBB6_17904
; %bb.17895:                            ;   in Loop: Header=BB6_16537 Depth=3
	v_mov_b32_e32 v9, 0
	v_cmp_ne_u32_e32 vcc, 0, v8
	buffer_store_dword v9, off, s[0:3], s33 offset:104 ; 4-byte Folded Spill
	s_and_saveexec_b64 s[36:37], vcc
	s_cbranch_execz .LBB6_17903
; %bb.17896:                            ;   in Loop: Header=BB6_16537 Depth=3
	v_bfe_u32 v15, v8, 23, 8
	v_and_b32_e32 v9, 0x7fffff, v8
	v_cmp_gt_u32_e64 s[28:29], s97, v15
	v_sub_u32_e32 v8, 0x79, v15
	v_cmp_eq_u32_e32 vcc, 0, v15
	v_cndmask_b32_e64 v8, 0, v8, s[28:29]
	v_mov_b32_e32 v13, 0x78
	v_or_b32_e32 v12, 0x800000, v9
	v_cndmask_b32_e32 v17, v8, v13, vcc
	v_cndmask_b32_e32 v8, v12, v9, vcc
	v_add_u32_e32 v12, 20, v17
	v_lshlrev_b64 v[12:13], v12, -1
	v_mov_b32_e32 v9, v51
	v_add_u32_e32 v18, 19, v17
	v_bfi_b32 v12, v12, 0, v8
	v_lshlrev_b64 v[18:19], v18, 1
	v_lshrrev_b64 v[8:9], v17, v[8:9]
	v_bfi_b32 v13, v13, 0, 0
	v_cmp_eq_u64_e64 s[28:29], v[12:13], v[18:19]
	v_mov_b32_e32 v13, v9
	v_mov_b32_e32 v12, v8
	s_and_saveexec_b64 s[38:39], s[28:29]
; %bb.17897:                            ;   in Loop: Header=BB6_16537 Depth=3
	v_bfe_u32 v9, v8, 20, 1
	v_add_co_u32_e64 v9, s[28:29], v8, v9
	v_add_co_u32_e64 v12, s[28:29], -1, v9
; %bb.17898:                            ;   in Loop: Header=BB6_16537 Depth=3
	s_or_b64 exec, exec, s[38:39]
	v_add_u32_e32 v9, 0xffffff81, v15
	v_mov_b32_e32 v13, 0xffffff82
	v_cndmask_b32_e32 v9, v9, v13, vcc
	v_lshrrev_b32_e32 v13, 23, v8
	v_add3_u32 v15, v17, v9, v13
	v_add_u32_e32 v13, 6, v15
	v_and_b32_e32 v9, 0xfffff, v12
	v_add_u32_e32 v8, v9, v8
	v_mov_b32_e32 v9, v51
	v_cmp_ne_u32_e32 vcc, 0, v13
                                        ; implicit-def: $vgpr12
	s_and_saveexec_b64 s[28:29], vcc
	s_xor_b64 s[28:29], exec, s[28:29]
; %bb.17899:                            ;   in Loop: Header=BB6_16537 Depth=3
	v_cmp_lt_u64_e32 vcc, s[88:89], v[8:9]
	v_add_u32_e32 v12, 7, v15
	v_cndmask_b32_e32 v12, v13, v12, vcc
	v_cndmask_b32_e64 v13, 0, 1, vcc
	v_lshrrev_b64 v[8:9], v13, v[8:9]
; %bb.17900:                            ;   in Loop: Header=BB6_16537 Depth=3
	s_andn2_saveexec_b64 s[28:29], s[28:29]
; %bb.17901:                            ;   in Loop: Header=BB6_16537 Depth=3
	v_bfe_u32 v12, v8, 23, 1
; %bb.17902:                            ;   in Loop: Header=BB6_16537 Depth=3
	s_or_b64 exec, exec, s[28:29]
	v_lshrrev_b64 v[8:9], 20, v[8:9]
	v_cmp_gt_i32_e32 vcc, 16, v12
	v_cndmask_b32_e32 v9, 0, v9, vcc
	v_cndmask_b32_e32 v8, 7, v8, vcc
	v_cmp_eq_u64_e64 s[28:29], 0, v[8:9]
	v_min_i32_e32 v9, 15, v12
	v_lshlrev_b32_e32 v9, 3, v9
	v_cmp_eq_u32_e32 vcc, 0, v12
	v_and_b32_e32 v9, 0xf8, v9
	v_and_or_b32 v8, v8, 7, v9
	s_and_b64 s[28:29], vcc, s[28:29]
	v_cndmask_b32_e64 v8, v8, 0, s[28:29]
	v_or_b32_e32 v8, v8, v14
	buffer_store_dword v8, off, s[0:3], s33 offset:104 ; 4-byte Folded Spill
.LBB6_17903:                            ;   in Loop: Header=BB6_16537 Depth=3
	s_or_b64 exec, exec, s[36:37]
                                        ; implicit-def: $vgpr14
.LBB6_17904:                            ;   in Loop: Header=BB6_16537 Depth=3
	s_andn2_saveexec_b64 s[28:29], s[34:35]
	s_cbranch_execz .LBB6_17906
; %bb.17905:                            ;   in Loop: Header=BB6_16537 Depth=3
	v_or_b32_e32 v8, 0x7e, v14
	buffer_store_dword v8, off, s[0:3], s33 offset:104 ; 4-byte Folded Spill
.LBB6_17906:                            ;   in Loop: Header=BB6_16537 Depth=3
	s_or_b64 exec, exec, s[28:29]
                                        ; implicit-def: $vgpr8
.LBB6_17907:                            ;   in Loop: Header=BB6_16537 Depth=3
	s_andn2_saveexec_b64 s[28:29], s[30:31]
	s_cbranch_execz .LBB6_17909
; %bb.17908:                            ;   in Loop: Header=BB6_16537 Depth=3
	v_or_b32_sdwa v8, v8, s86 dst_sel:DWORD dst_unused:UNUSED_PAD src0_sel:BYTE_3 src1_sel:DWORD
	buffer_store_dword v8, off, s[0:3], s33 offset:104 ; 4-byte Folded Spill
.LBB6_17909:                            ;   in Loop: Header=BB6_16537 Depth=3
	s_or_b64 exec, exec, s[28:29]
	v_lshrrev_b32_e32 v8, 16, v11
	v_cmp_ne_u16_sdwa vcc, v8, v51 src0_sel:BYTE_0 src1_sel:DWORD
	v_mov_b32_e32 v9, 0
	s_and_saveexec_b64 s[28:29], vcc
	s_cbranch_execz .LBB6_17915
; %bb.17910:                            ;   in Loop: Header=BB6_16537 Depth=3
	v_cmp_ne_u16_sdwa vcc, v8, s96 src0_sel:BYTE_0 src1_sel:DWORD
	v_bfrev_b32_e32 v9, 1
	s_and_saveexec_b64 s[30:31], vcc
	s_cbranch_execz .LBB6_17914
; %bb.17911:                            ;   in Loop: Header=BB6_16537 Depth=3
	v_bfe_u32 v12, v11, 16, 7
	v_cmp_ne_u32_e32 vcc, s86, v12
	v_mov_b32_e32 v9, 0x7f800001
	s_and_saveexec_b64 s[34:35], vcc
	s_cbranch_execz .LBB6_17913
; %bb.17912:                            ;   in Loop: Header=BB6_16537 Depth=3
	v_and_b32_e32 v9, 7, v8
	v_lshrrev_b32_e32 v14, 3, v12
	v_cmp_gt_u32_e32 vcc, 8, v12
	v_ffbh_u32_e32 v12, v9
	v_min_u32_e32 v15, 32, v12
	v_subrev_u32_e32 v12, 28, v15
	v_lshlrev_b64 v[12:13], v12, v[8:9]
	v_sub_u32_e32 v13, 29, v15
	v_and_b32_e32 v12, 7, v12
	v_cndmask_b32_e32 v13, v14, v13, vcc
	v_cndmask_b32_e32 v9, v9, v12, vcc
	v_lshlrev_b32_e32 v8, 24, v8
	v_bfrev_b32_e32 v12, 60
	v_lshlrev_b32_e32 v9, 20, v9
	v_and_b32_e32 v8, 0x80000000, v8
	v_lshl_add_u32 v12, v13, 23, v12
	v_or3_b32 v9, v8, v12, v9
.LBB6_17913:                            ;   in Loop: Header=BB6_16537 Depth=3
	s_or_b64 exec, exec, s[34:35]
.LBB6_17914:                            ;   in Loop: Header=BB6_16537 Depth=3
	s_or_b64 exec, exec, s[30:31]
.LBB6_17915:                            ;   in Loop: Header=BB6_16537 Depth=3
	s_or_b64 exec, exec, s[28:29]
	v_mul_f32_e32 v8, v16, v9
	v_and_b32_e32 v12, 0x7f800000, v8
	v_mov_b32_e32 v13, v51
	v_cmp_ne_u64_e32 vcc, s[76:77], v[12:13]
                                        ; implicit-def: $vgpr9
                                        ; kill: killed $vgpr9
	s_and_saveexec_b64 s[28:29], vcc
	s_xor_b64 s[30:31], exec, s[28:29]
	s_cbranch_execz .LBB6_17929
; %bb.17916:                            ;   in Loop: Header=BB6_16537 Depth=3
	v_and_b32_e32 v12, 0x7fffffff, v8
	v_mov_b32_e32 v13, v51
	v_cmp_gt_u64_e32 vcc, s[78:79], v[12:13]
	v_and_b32_sdwa v14, v8, s96 dst_sel:DWORD dst_unused:UNUSED_PAD src0_sel:BYTE_3 src1_sel:DWORD
                                        ; implicit-def: $vgpr9
                                        ; kill: killed $vgpr9
	s_and_saveexec_b64 s[28:29], vcc
	s_xor_b64 s[34:35], exec, s[28:29]
	s_cbranch_execz .LBB6_17926
; %bb.17917:                            ;   in Loop: Header=BB6_16537 Depth=3
	v_mov_b32_e32 v9, 0
	v_cmp_ne_u32_e32 vcc, 0, v8
	buffer_store_dword v9, off, s[0:3], s33 offset:116 ; 4-byte Folded Spill
	s_and_saveexec_b64 s[36:37], vcc
	s_cbranch_execz .LBB6_17925
; %bb.17918:                            ;   in Loop: Header=BB6_16537 Depth=3
	v_bfe_u32 v15, v8, 23, 8
	v_and_b32_e32 v9, 0x7fffff, v8
	v_cmp_gt_u32_e64 s[28:29], s97, v15
	v_sub_u32_e32 v8, 0x79, v15
	v_cmp_eq_u32_e32 vcc, 0, v15
	v_cndmask_b32_e64 v8, 0, v8, s[28:29]
	v_mov_b32_e32 v13, 0x78
	v_or_b32_e32 v12, 0x800000, v9
	v_cndmask_b32_e32 v17, v8, v13, vcc
	v_cndmask_b32_e32 v8, v12, v9, vcc
	v_add_u32_e32 v12, 20, v17
	v_lshlrev_b64 v[12:13], v12, -1
	v_mov_b32_e32 v9, v51
	v_add_u32_e32 v18, 19, v17
	v_bfi_b32 v12, v12, 0, v8
	v_lshlrev_b64 v[18:19], v18, 1
	v_lshrrev_b64 v[8:9], v17, v[8:9]
	v_bfi_b32 v13, v13, 0, 0
	v_cmp_eq_u64_e64 s[28:29], v[12:13], v[18:19]
	v_mov_b32_e32 v13, v9
	v_mov_b32_e32 v12, v8
	s_and_saveexec_b64 s[38:39], s[28:29]
; %bb.17919:                            ;   in Loop: Header=BB6_16537 Depth=3
	v_bfe_u32 v9, v8, 20, 1
	v_add_co_u32_e64 v9, s[28:29], v8, v9
	v_add_co_u32_e64 v12, s[28:29], -1, v9
; %bb.17920:                            ;   in Loop: Header=BB6_16537 Depth=3
	s_or_b64 exec, exec, s[38:39]
	v_add_u32_e32 v9, 0xffffff81, v15
	v_mov_b32_e32 v13, 0xffffff82
	v_cndmask_b32_e32 v9, v9, v13, vcc
	v_lshrrev_b32_e32 v13, 23, v8
	v_add3_u32 v15, v17, v9, v13
	v_add_u32_e32 v13, 6, v15
	v_and_b32_e32 v9, 0xfffff, v12
	v_add_u32_e32 v8, v9, v8
	v_mov_b32_e32 v9, v51
	v_cmp_ne_u32_e32 vcc, 0, v13
                                        ; implicit-def: $vgpr12
	s_and_saveexec_b64 s[28:29], vcc
	s_xor_b64 s[28:29], exec, s[28:29]
; %bb.17921:                            ;   in Loop: Header=BB6_16537 Depth=3
	v_cmp_lt_u64_e32 vcc, s[88:89], v[8:9]
	v_add_u32_e32 v12, 7, v15
	v_cndmask_b32_e32 v12, v13, v12, vcc
	v_cndmask_b32_e64 v13, 0, 1, vcc
	v_lshrrev_b64 v[8:9], v13, v[8:9]
; %bb.17922:                            ;   in Loop: Header=BB6_16537 Depth=3
	s_andn2_saveexec_b64 s[28:29], s[28:29]
; %bb.17923:                            ;   in Loop: Header=BB6_16537 Depth=3
	v_bfe_u32 v12, v8, 23, 1
; %bb.17924:                            ;   in Loop: Header=BB6_16537 Depth=3
	s_or_b64 exec, exec, s[28:29]
	v_lshrrev_b64 v[8:9], 20, v[8:9]
	v_cmp_gt_i32_e32 vcc, 16, v12
	v_cndmask_b32_e32 v9, 0, v9, vcc
	v_cndmask_b32_e32 v8, 7, v8, vcc
	v_cmp_eq_u64_e64 s[28:29], 0, v[8:9]
	v_min_i32_e32 v9, 15, v12
	v_lshlrev_b32_e32 v9, 3, v9
	v_cmp_eq_u32_e32 vcc, 0, v12
	v_and_b32_e32 v9, 0xf8, v9
	v_and_or_b32 v8, v8, 7, v9
	s_and_b64 s[28:29], vcc, s[28:29]
	v_cndmask_b32_e64 v8, v8, 0, s[28:29]
	v_or_b32_e32 v8, v8, v14
	buffer_store_dword v8, off, s[0:3], s33 offset:116 ; 4-byte Folded Spill
.LBB6_17925:                            ;   in Loop: Header=BB6_16537 Depth=3
	s_or_b64 exec, exec, s[36:37]
                                        ; implicit-def: $vgpr14
.LBB6_17926:                            ;   in Loop: Header=BB6_16537 Depth=3
	s_andn2_saveexec_b64 s[28:29], s[34:35]
	s_cbranch_execz .LBB6_17928
; %bb.17927:                            ;   in Loop: Header=BB6_16537 Depth=3
	v_or_b32_e32 v8, 0x7e, v14
	buffer_store_dword v8, off, s[0:3], s33 offset:116 ; 4-byte Folded Spill
.LBB6_17928:                            ;   in Loop: Header=BB6_16537 Depth=3
	s_or_b64 exec, exec, s[28:29]
                                        ; implicit-def: $vgpr8
.LBB6_17929:                            ;   in Loop: Header=BB6_16537 Depth=3
	s_andn2_saveexec_b64 s[28:29], s[30:31]
	s_cbranch_execz .LBB6_17931
; %bb.17930:                            ;   in Loop: Header=BB6_16537 Depth=3
	v_or_b32_sdwa v8, v8, s86 dst_sel:DWORD dst_unused:UNUSED_PAD src0_sel:BYTE_3 src1_sel:DWORD
	buffer_store_dword v8, off, s[0:3], s33 offset:116 ; 4-byte Folded Spill
.LBB6_17931:                            ;   in Loop: Header=BB6_16537 Depth=3
	s_or_b64 exec, exec, s[28:29]
	v_cmp_lt_u64_e32 vcc, s[56:57], v[10:11]
	v_mov_b32_e32 v9, 0
	s_and_saveexec_b64 s[28:29], vcc
	s_cbranch_execz .LBB6_17937
; %bb.17932:                            ;   in Loop: Header=BB6_16537 Depth=3
	v_lshrrev_b32_e32 v8, 24, v11
	v_cmp_ne_u32_e32 vcc, s96, v8
	v_bfrev_b32_e32 v9, 1
	s_and_saveexec_b64 s[30:31], vcc
	s_cbranch_execz .LBB6_17936
; %bb.17933:                            ;   in Loop: Header=BB6_16537 Depth=3
	v_bfe_u32 v10, v11, 24, 7
	v_cmp_ne_u32_e32 vcc, s86, v10
	v_mov_b32_e32 v9, 0x7f800001
	s_and_saveexec_b64 s[34:35], vcc
	s_cbranch_execz .LBB6_17935
; %bb.17934:                            ;   in Loop: Header=BB6_16537 Depth=3
	v_and_b32_e32 v11, 7, v8
	v_ffbh_u32_e32 v9, v11
	v_min_u32_e32 v13, 32, v9
	v_subrev_u32_e32 v9, 28, v13
	v_lshrrev_b32_e32 v12, 3, v10
	v_cmp_gt_u32_e32 vcc, 8, v10
	v_lshlrev_b64 v[9:10], v9, v[8:9]
	v_sub_u32_e32 v10, 29, v13
	v_and_b32_e32 v9, 7, v9
	v_cndmask_b32_e32 v10, v12, v10, vcc
	v_cndmask_b32_e32 v9, v11, v9, vcc
	v_lshlrev_b32_e32 v8, 24, v8
	v_bfrev_b32_e32 v11, 60
	v_lshlrev_b32_e32 v9, 20, v9
	v_and_b32_e32 v8, 0x80000000, v8
	v_lshl_add_u32 v10, v10, 23, v11
	v_or3_b32 v9, v8, v10, v9
.LBB6_17935:                            ;   in Loop: Header=BB6_16537 Depth=3
	s_or_b64 exec, exec, s[34:35]
.LBB6_17936:                            ;   in Loop: Header=BB6_16537 Depth=3
	s_or_b64 exec, exec, s[30:31]
.LBB6_17937:                            ;   in Loop: Header=BB6_16537 Depth=3
	s_or_b64 exec, exec, s[28:29]
	v_mul_f32_e32 v8, v16, v9
	v_and_b32_e32 v9, 0x7f800000, v8
	v_mov_b32_e32 v10, v51
	v_cmp_ne_u64_e32 vcc, s[76:77], v[9:10]
                                        ; implicit-def: $vgpr9
                                        ; kill: killed $vgpr9
	s_and_saveexec_b64 s[28:29], vcc
	s_xor_b64 s[30:31], exec, s[28:29]
	s_cbranch_execz .LBB6_17951
; %bb.17938:                            ;   in Loop: Header=BB6_16537 Depth=3
	v_and_b32_e32 v9, 0x7fffffff, v8
	v_mov_b32_e32 v10, v51
	v_cmp_gt_u64_e32 vcc, s[78:79], v[9:10]
	v_and_b32_sdwa v11, v8, s96 dst_sel:DWORD dst_unused:UNUSED_PAD src0_sel:BYTE_3 src1_sel:DWORD
                                        ; implicit-def: $vgpr9
                                        ; kill: killed $vgpr9
	s_and_saveexec_b64 s[28:29], vcc
	s_xor_b64 s[34:35], exec, s[28:29]
	s_cbranch_execz .LBB6_17948
; %bb.17939:                            ;   in Loop: Header=BB6_16537 Depth=3
	v_mov_b32_e32 v9, 0
	v_cmp_ne_u32_e32 vcc, 0, v8
	buffer_store_dword v9, off, s[0:3], s33 offset:132 ; 4-byte Folded Spill
	s_and_saveexec_b64 s[36:37], vcc
	s_cbranch_execz .LBB6_17947
; %bb.17940:                            ;   in Loop: Header=BB6_16537 Depth=3
	v_bfe_u32 v12, v8, 23, 8
	v_and_b32_e32 v9, 0x7fffff, v8
	v_cmp_gt_u32_e64 s[28:29], s97, v12
	v_sub_u32_e32 v8, 0x79, v12
	v_cmp_eq_u32_e32 vcc, 0, v12
	v_cndmask_b32_e64 v8, 0, v8, s[28:29]
	v_mov_b32_e32 v13, 0x78
	v_or_b32_e32 v10, 0x800000, v9
	v_cndmask_b32_e32 v13, v8, v13, vcc
	v_cndmask_b32_e32 v8, v10, v9, vcc
	v_add_u32_e32 v10, 20, v13
	v_lshlrev_b64 v[14:15], v10, -1
	v_mov_b32_e32 v9, v51
	v_add_u32_e32 v10, 19, v13
	v_bfi_b32 v14, v14, 0, v8
	v_lshlrev_b64 v[16:17], v10, 1
	v_lshrrev_b64 v[8:9], v13, v[8:9]
	v_bfi_b32 v15, v15, 0, 0
	v_cmp_eq_u64_e64 s[28:29], v[14:15], v[16:17]
	v_mov_b32_e32 v10, v9
	v_mov_b32_e32 v9, v8
	s_and_saveexec_b64 s[38:39], s[28:29]
; %bb.17941:                            ;   in Loop: Header=BB6_16537 Depth=3
	v_bfe_u32 v9, v8, 20, 1
	v_add_co_u32_e64 v9, s[28:29], v8, v9
	v_add_co_u32_e64 v9, s[28:29], -1, v9
; %bb.17942:                            ;   in Loop: Header=BB6_16537 Depth=3
	s_or_b64 exec, exec, s[38:39]
	v_add_u32_e32 v10, 0xffffff81, v12
	v_mov_b32_e32 v12, 0xffffff82
	v_cndmask_b32_e32 v10, v10, v12, vcc
	v_lshrrev_b32_e32 v12, 23, v8
	v_add3_u32 v13, v13, v10, v12
	v_add_u32_e32 v12, 6, v13
	v_and_b32_e32 v9, 0xfffff, v9
	v_add_u32_e32 v8, v9, v8
	v_mov_b32_e32 v9, v51
	v_cmp_ne_u32_e32 vcc, 0, v12
                                        ; implicit-def: $vgpr10
	s_and_saveexec_b64 s[28:29], vcc
	s_xor_b64 s[28:29], exec, s[28:29]
; %bb.17943:                            ;   in Loop: Header=BB6_16537 Depth=3
	v_cmp_lt_u64_e32 vcc, s[88:89], v[8:9]
	v_add_u32_e32 v10, 7, v13
	v_cndmask_b32_e32 v10, v12, v10, vcc
	v_cndmask_b32_e64 v12, 0, 1, vcc
	v_lshrrev_b64 v[8:9], v12, v[8:9]
; %bb.17944:                            ;   in Loop: Header=BB6_16537 Depth=3
	s_andn2_saveexec_b64 s[28:29], s[28:29]
; %bb.17945:                            ;   in Loop: Header=BB6_16537 Depth=3
	v_bfe_u32 v10, v8, 23, 1
; %bb.17946:                            ;   in Loop: Header=BB6_16537 Depth=3
	s_or_b64 exec, exec, s[28:29]
	v_lshrrev_b64 v[8:9], 20, v[8:9]
	v_cmp_gt_i32_e32 vcc, 16, v10
	v_cndmask_b32_e32 v9, 0, v9, vcc
	v_cndmask_b32_e32 v8, 7, v8, vcc
	v_cmp_eq_u64_e64 s[28:29], 0, v[8:9]
	v_min_i32_e32 v9, 15, v10
	v_lshlrev_b32_e32 v9, 3, v9
	v_cmp_eq_u32_e32 vcc, 0, v10
	v_and_b32_e32 v9, 0xf8, v9
	v_and_or_b32 v8, v8, 7, v9
	s_and_b64 s[28:29], vcc, s[28:29]
	v_cndmask_b32_e64 v8, v8, 0, s[28:29]
	v_or_b32_e32 v8, v8, v11
	buffer_store_dword v8, off, s[0:3], s33 offset:132 ; 4-byte Folded Spill
.LBB6_17947:                            ;   in Loop: Header=BB6_16537 Depth=3
	s_or_b64 exec, exec, s[36:37]
                                        ; implicit-def: $vgpr11
.LBB6_17948:                            ;   in Loop: Header=BB6_16537 Depth=3
	s_andn2_saveexec_b64 s[28:29], s[34:35]
	s_cbranch_execz .LBB6_17950
; %bb.17949:                            ;   in Loop: Header=BB6_16537 Depth=3
	v_or_b32_e32 v8, 0x7e, v11
	buffer_store_dword v8, off, s[0:3], s33 offset:132 ; 4-byte Folded Spill
.LBB6_17950:                            ;   in Loop: Header=BB6_16537 Depth=3
	s_or_b64 exec, exec, s[28:29]
                                        ; implicit-def: $vgpr8
.LBB6_17951:                            ;   in Loop: Header=BB6_16537 Depth=3
	s_andn2_saveexec_b64 s[28:29], s[30:31]
	s_cbranch_execz .LBB6_17953
; %bb.17952:                            ;   in Loop: Header=BB6_16537 Depth=3
	v_or_b32_sdwa v8, v8, s86 dst_sel:DWORD dst_unused:UNUSED_PAD src0_sel:BYTE_3 src1_sel:DWORD
	buffer_store_dword v8, off, s[0:3], s33 offset:132 ; 4-byte Folded Spill
.LBB6_17953:                            ;   in Loop: Header=BB6_16537 Depth=3
	s_or_b64 exec, exec, s[28:29]
	global_load_dwordx4 v[20:23], v[58:59], off glc slc
	global_load_dwordx4 v[16:19], v[58:59], off offset:1024 glc slc
	global_load_dwordx4 v[12:15], v[58:59], off offset:2048 glc slc
	;; [unrolled: 1-line block ×3, first 2 shown]
	v_lshl_or_b32 v48, v24, 8, v28
	v_lshlrev_b32_e32 v24, 16, v25
	v_lshlrev_b32_e32 v25, 24, v29
	v_or3_b32 v24, v24, v25, v48
	v_mov_b32_e32 v25, v51
	v_cmp_ne_u32_e32 vcc, 0, v28
	v_mov_b32_e32 v29, 0
	v_mov_b32_e32 v52, 0
	s_and_saveexec_b64 s[28:29], vcc
	s_cbranch_execz .LBB6_17959
; %bb.17954:                            ;   in Loop: Header=BB6_16537 Depth=3
	v_cmp_ne_u32_e32 vcc, s96, v28
	v_bfrev_b32_e32 v52, 1
	s_and_saveexec_b64 s[30:31], vcc
	s_cbranch_execz .LBB6_17958
; %bb.17955:                            ;   in Loop: Header=BB6_16537 Depth=3
	v_and_b32_e32 v32, 0x7f, v28
	v_cmp_ne_u32_e32 vcc, s86, v32
	v_mov_b32_e32 v52, 0x7f800001
	s_and_saveexec_b64 s[34:35], vcc
	s_cbranch_execz .LBB6_17957
; %bb.17956:                            ;   in Loop: Header=BB6_16537 Depth=3
	v_and_b32_e32 v28, 7, v28
	v_ffbh_u32_e32 v28, v28
	v_min_u32_e32 v28, 32, v28
	v_lshrrev_b32_e32 v49, 3, v32
	v_cmp_gt_u32_e32 vcc, 8, v32
	v_subrev_u32_e32 v32, 28, v28
	v_cndmask_b32_e32 v32, 0, v32, vcc
	v_lshlrev_b64 v[52:53], v32, v[24:25]
	v_sub_u32_e32 v28, 29, v28
	v_cndmask_b32_e32 v28, v49, v28, vcc
	v_lshlrev_b32_e32 v25, 20, v52
	v_lshlrev_b32_e32 v32, 24, v24
	v_bfrev_b32_e32 v49, 60
	v_and_b32_e32 v25, 0x700000, v25
	v_and_b32_e32 v32, 0x80000000, v32
	v_lshl_add_u32 v28, v28, 23, v49
	v_or3_b32 v52, v32, v28, v25
.LBB6_17957:                            ;   in Loop: Header=BB6_16537 Depth=3
	s_or_b64 exec, exec, s[34:35]
.LBB6_17958:                            ;   in Loop: Header=BB6_16537 Depth=3
	s_or_b64 exec, exec, s[30:31]
.LBB6_17959:                            ;   in Loop: Header=BB6_16537 Depth=3
	s_or_b64 exec, exec, s[28:29]
	s_waitcnt vmcnt(3)
	v_cmp_ne_u16_sdwa vcc, v20, v51 src0_sel:BYTE_0 src1_sel:DWORD
	s_and_saveexec_b64 s[28:29], vcc
	s_cbranch_execz .LBB6_17965
; %bb.17960:                            ;   in Loop: Header=BB6_16537 Depth=3
	v_cmp_ne_u16_sdwa vcc, v20, s96 src0_sel:BYTE_0 src1_sel:DWORD
	v_bfrev_b32_e32 v29, 1
	s_and_saveexec_b64 s[30:31], vcc
	s_cbranch_execz .LBB6_17964
; %bb.17961:                            ;   in Loop: Header=BB6_16537 Depth=3
	v_and_b32_e32 v25, 0x7f, v20
	v_cmp_ne_u32_e32 vcc, s86, v25
	v_mov_b32_e32 v29, 0x7f800001
	s_and_saveexec_b64 s[34:35], vcc
	s_cbranch_execz .LBB6_17963
; %bb.17962:                            ;   in Loop: Header=BB6_16537 Depth=3
	v_and_b32_e32 v28, 7, v20
	v_lshrrev_b32_e32 v29, 3, v25
	v_cmp_gt_u32_e32 vcc, 8, v25
	v_ffbh_u32_e32 v25, v28
	v_min_u32_e32 v25, 32, v25
	v_subrev_u32_e32 v28, 28, v25
	v_sub_u32_e32 v25, 29, v25
	v_cndmask_b32_e32 v28, 0, v28, vcc
	v_cndmask_b32_e32 v25, v29, v25, vcc
	v_lshlrev_b64 v[28:29], v28, v[20:21]
	v_lshlrev_b32_e32 v29, 24, v20
	v_lshlrev_b32_e32 v28, 20, v28
	v_bfrev_b32_e32 v32, 60
	v_and_b32_e32 v28, 0x700000, v28
	v_and_b32_e32 v29, 0x80000000, v29
	v_lshl_add_u32 v25, v25, 23, v32
	v_or3_b32 v29, v29, v25, v28
.LBB6_17963:                            ;   in Loop: Header=BB6_16537 Depth=3
	s_or_b64 exec, exec, s[34:35]
.LBB6_17964:                            ;   in Loop: Header=BB6_16537 Depth=3
	s_or_b64 exec, exec, s[30:31]
.LBB6_17965:                            ;   in Loop: Header=BB6_16537 Depth=3
	s_or_b64 exec, exec, s[28:29]
	v_add_f32_e32 v28, v52, v29
	v_and_b32_e32 v52, 0x7f800000, v28
	v_mov_b32_e32 v53, v51
	v_cmp_ne_u64_e32 vcc, s[76:77], v[52:53]
                                        ; implicit-def: $vgpr25
                                        ; kill: killed $vgpr25
	s_and_saveexec_b64 s[28:29], vcc
	s_xor_b64 s[30:31], exec, s[28:29]
	s_cbranch_execz .LBB6_17979
; %bb.17966:                            ;   in Loop: Header=BB6_16537 Depth=3
	v_and_b32_e32 v52, 0x7fffffff, v28
	v_mov_b32_e32 v53, v51
	v_cmp_gt_u64_e32 vcc, s[78:79], v[52:53]
	v_and_b32_sdwa v25, v28, s96 dst_sel:DWORD dst_unused:UNUSED_PAD src0_sel:BYTE_3 src1_sel:DWORD
                                        ; implicit-def: $vgpr29
                                        ; kill: killed $vgpr29
	s_and_saveexec_b64 s[28:29], vcc
	s_xor_b64 s[34:35], exec, s[28:29]
	s_cbranch_execz .LBB6_17976
; %bb.17967:                            ;   in Loop: Header=BB6_16537 Depth=3
	v_mov_b32_e32 v29, 0
	v_cmp_ne_u32_e32 vcc, 0, v28
	buffer_store_dword v29, off, s[0:3], s33 offset:96 ; 4-byte Folded Spill
	s_and_saveexec_b64 s[36:37], vcc
	s_cbranch_execz .LBB6_17975
; %bb.17968:                            ;   in Loop: Header=BB6_16537 Depth=3
	v_bfe_u32 v49, v28, 23, 8
	v_and_b32_e32 v29, 0x7fffff, v28
	v_cmp_gt_u32_e64 s[28:29], s97, v49
	v_sub_u32_e32 v28, 0x79, v49
	v_cmp_eq_u32_e32 vcc, 0, v49
	v_cndmask_b32_e64 v28, 0, v28, s[28:29]
	v_mov_b32_e32 v32, 0x78
	v_or_b32_e32 v52, 0x800000, v29
	v_cndmask_b32_e32 v32, v28, v32, vcc
	v_cndmask_b32_e32 v28, v52, v29, vcc
	v_add_u32_e32 v52, 20, v32
	v_lshlrev_b64 v[52:53], v52, -1
	v_mov_b32_e32 v39, v43
	v_mov_b32_e32 v29, v51
	v_add_u32_e32 v43, 19, v32
	v_mov_b32_e32 v31, v44
	v_bfi_b32 v52, v52, 0, v28
	v_lshlrev_b64 v[43:44], v43, 1
	v_lshrrev_b64 v[28:29], v32, v[28:29]
	v_bfi_b32 v53, v53, 0, 0
	v_cmp_eq_u64_e64 s[28:29], v[52:53], v[43:44]
	v_mov_b32_e32 v53, v29
	v_mov_b32_e32 v52, v28
	s_and_saveexec_b64 s[38:39], s[28:29]
; %bb.17969:                            ;   in Loop: Header=BB6_16537 Depth=3
	v_bfe_u32 v29, v28, 20, 1
	v_add_co_u32_e64 v29, s[28:29], v28, v29
	v_add_co_u32_e64 v52, s[28:29], -1, v29
; %bb.17970:                            ;   in Loop: Header=BB6_16537 Depth=3
	s_or_b64 exec, exec, s[38:39]
	v_add_u32_e32 v29, 0xffffff81, v49
	v_mov_b32_e32 v49, 0xffffff82
	v_cndmask_b32_e32 v29, v29, v49, vcc
	v_lshrrev_b32_e32 v49, 23, v28
	v_add3_u32 v53, v32, v29, v49
	v_add_u32_e32 v32, 6, v53
	v_and_b32_e32 v29, 0xfffff, v52
	v_add_u32_e32 v28, v29, v28
	v_mov_b32_e32 v29, v51
	v_cmp_ne_u32_e32 vcc, 0, v32
                                        ; implicit-def: $vgpr49
	s_and_saveexec_b64 s[28:29], vcc
	s_xor_b64 s[28:29], exec, s[28:29]
; %bb.17971:                            ;   in Loop: Header=BB6_16537 Depth=3
	v_cmp_lt_u64_e32 vcc, s[88:89], v[28:29]
	v_add_u32_e32 v49, 7, v53
	v_cndmask_b32_e32 v49, v32, v49, vcc
	v_cndmask_b32_e64 v32, 0, 1, vcc
	v_lshrrev_b64 v[28:29], v32, v[28:29]
; %bb.17972:                            ;   in Loop: Header=BB6_16537 Depth=3
	s_or_saveexec_b64 s[28:29], s[28:29]
	v_mov_b32_e32 v43, v39
	v_mov_b32_e32 v44, v31
	s_xor_b64 exec, exec, s[28:29]
; %bb.17973:                            ;   in Loop: Header=BB6_16537 Depth=3
	v_bfe_u32 v49, v28, 23, 1
; %bb.17974:                            ;   in Loop: Header=BB6_16537 Depth=3
	s_or_b64 exec, exec, s[28:29]
	v_lshrrev_b64 v[28:29], 20, v[28:29]
	v_cmp_gt_i32_e32 vcc, 16, v49
	v_cndmask_b32_e32 v29, 0, v29, vcc
	v_cndmask_b32_e32 v28, 7, v28, vcc
	v_cmp_eq_u64_e64 s[28:29], 0, v[28:29]
	v_min_i32_e32 v29, 15, v49
	v_lshlrev_b32_e32 v29, 3, v29
	v_cmp_eq_u32_e32 vcc, 0, v49
	v_and_b32_e32 v29, 0xf8, v29
	v_and_or_b32 v28, v28, 7, v29
	s_and_b64 s[28:29], vcc, s[28:29]
	v_cndmask_b32_e64 v28, v28, 0, s[28:29]
	v_or_b32_e32 v25, v28, v25
	buffer_store_dword v25, off, s[0:3], s33 offset:96 ; 4-byte Folded Spill
.LBB6_17975:                            ;   in Loop: Header=BB6_16537 Depth=3
	s_or_b64 exec, exec, s[36:37]
                                        ; implicit-def: $vgpr25
.LBB6_17976:                            ;   in Loop: Header=BB6_16537 Depth=3
	s_andn2_saveexec_b64 s[28:29], s[34:35]
	s_cbranch_execz .LBB6_17978
; %bb.17977:                            ;   in Loop: Header=BB6_16537 Depth=3
	v_or_b32_e32 v25, 0x7e, v25
	buffer_store_dword v25, off, s[0:3], s33 offset:96 ; 4-byte Folded Spill
.LBB6_17978:                            ;   in Loop: Header=BB6_16537 Depth=3
	s_or_b64 exec, exec, s[28:29]
                                        ; implicit-def: $vgpr28
.LBB6_17979:                            ;   in Loop: Header=BB6_16537 Depth=3
	s_andn2_saveexec_b64 s[28:29], s[30:31]
	s_cbranch_execz .LBB6_17981
; %bb.17980:                            ;   in Loop: Header=BB6_16537 Depth=3
	v_or_b32_sdwa v25, v28, s86 dst_sel:DWORD dst_unused:UNUSED_PAD src0_sel:BYTE_3 src1_sel:DWORD
	buffer_store_dword v25, off, s[0:3], s33 offset:96 ; 4-byte Folded Spill
.LBB6_17981:                            ;   in Loop: Header=BB6_16537 Depth=3
	s_or_b64 exec, exec, s[28:29]
	v_lshrrev_b16_e32 v25, 8, v48
	v_cmp_ne_u16_e32 vcc, 0, v25
	v_mov_b32_e32 v28, 0
	v_mov_b32_e32 v29, 0
	s_and_saveexec_b64 s[28:29], vcc
	s_cbranch_execz .LBB6_17987
; %bb.17982:                            ;   in Loop: Header=BB6_16537 Depth=3
	v_cmp_ne_u16_e32 vcc, s96, v25
	v_bfrev_b32_e32 v29, 1
	s_and_saveexec_b64 s[30:31], vcc
	s_cbranch_execz .LBB6_17986
; %bb.17983:                            ;   in Loop: Header=BB6_16537 Depth=3
	v_and_b32_e32 v32, 0x7f, v25
	v_cmp_ne_u32_e32 vcc, s86, v32
	v_mov_b32_e32 v29, 0x7f800001
	s_and_saveexec_b64 s[34:35], vcc
	s_cbranch_execz .LBB6_17985
; %bb.17984:                            ;   in Loop: Header=BB6_16537 Depth=3
	v_and_b32_e32 v29, 7, v25
	v_lshrrev_b32_e32 v49, 3, v32
	v_cmp_gt_u32_e32 vcc, 8, v32
	v_ffbh_u32_e32 v32, v29
	v_min_u32_e32 v32, 32, v32
	v_subrev_u32_e32 v52, 28, v32
	v_lshlrev_b64 v[52:53], v52, v[25:26]
	v_sub_u32_e32 v25, 29, v32
	v_and_b32_e32 v32, 7, v52
	v_cndmask_b32_e32 v25, v49, v25, vcc
	v_cndmask_b32_e32 v29, v29, v32, vcc
	v_lshlrev_b32_e32 v32, 16, v48
	v_bfrev_b32_e32 v48, 60
	v_lshlrev_b32_e32 v29, 20, v29
	v_and_b32_e32 v32, 0x80000000, v32
	v_lshl_add_u32 v25, v25, 23, v48
	v_or3_b32 v29, v32, v25, v29
.LBB6_17985:                            ;   in Loop: Header=BB6_16537 Depth=3
	s_or_b64 exec, exec, s[34:35]
.LBB6_17986:                            ;   in Loop: Header=BB6_16537 Depth=3
	s_or_b64 exec, exec, s[30:31]
.LBB6_17987:                            ;   in Loop: Header=BB6_16537 Depth=3
	s_or_b64 exec, exec, s[28:29]
	v_lshrrev_b16_e32 v25, 8, v20
	v_cmp_ne_u16_e32 vcc, 0, v25
	s_and_saveexec_b64 s[28:29], vcc
	s_cbranch_execz .LBB6_17993
; %bb.17988:                            ;   in Loop: Header=BB6_16537 Depth=3
	v_cmp_ne_u16_e32 vcc, s96, v25
	v_bfrev_b32_e32 v28, 1
	s_and_saveexec_b64 s[30:31], vcc
	s_cbranch_execz .LBB6_17992
; %bb.17989:                            ;   in Loop: Header=BB6_16537 Depth=3
	v_and_b32_e32 v32, 0x7f, v25
	v_cmp_ne_u32_e32 vcc, s86, v32
	v_mov_b32_e32 v28, 0x7f800001
	s_and_saveexec_b64 s[34:35], vcc
	s_cbranch_execz .LBB6_17991
; %bb.17990:                            ;   in Loop: Header=BB6_16537 Depth=3
	v_and_b32_e32 v28, 7, v25
	v_lshrrev_b32_e32 v52, 3, v32
	v_cmp_gt_u32_e32 vcc, 8, v32
	v_ffbh_u32_e32 v32, v28
	v_min_u32_e32 v32, 32, v32
	v_subrev_u32_e32 v48, 28, v32
	v_lshlrev_b64 v[48:49], v48, v[25:26]
	v_sub_u32_e32 v25, 29, v32
	v_and_b32_e32 v32, 7, v48
	v_cndmask_b32_e32 v25, v52, v25, vcc
	v_cndmask_b32_e32 v28, v28, v32, vcc
	v_lshlrev_b32_e32 v32, 16, v20
	v_bfrev_b32_e32 v48, 60
	v_lshlrev_b32_e32 v28, 20, v28
	v_and_b32_e32 v32, 0x80000000, v32
	v_lshl_add_u32 v25, v25, 23, v48
	v_or3_b32 v28, v32, v25, v28
.LBB6_17991:                            ;   in Loop: Header=BB6_16537 Depth=3
	s_or_b64 exec, exec, s[34:35]
.LBB6_17992:                            ;   in Loop: Header=BB6_16537 Depth=3
	s_or_b64 exec, exec, s[30:31]
.LBB6_17993:                            ;   in Loop: Header=BB6_16537 Depth=3
	s_or_b64 exec, exec, s[28:29]
	v_add_f32_e32 v28, v29, v28
	v_and_b32_e32 v48, 0x7f800000, v28
	v_mov_b32_e32 v49, v51
	v_cmp_ne_u64_e32 vcc, s[76:77], v[48:49]
                                        ; implicit-def: $vgpr25
                                        ; kill: killed $vgpr25
	s_and_saveexec_b64 s[28:29], vcc
	s_xor_b64 s[30:31], exec, s[28:29]
	s_cbranch_execz .LBB6_18007
; %bb.17994:                            ;   in Loop: Header=BB6_16537 Depth=3
	v_and_b32_e32 v48, 0x7fffffff, v28
	v_mov_b32_e32 v49, v51
	v_cmp_gt_u64_e32 vcc, s[78:79], v[48:49]
	v_and_b32_sdwa v25, v28, s96 dst_sel:DWORD dst_unused:UNUSED_PAD src0_sel:BYTE_3 src1_sel:DWORD
                                        ; implicit-def: $vgpr29
                                        ; kill: killed $vgpr29
	s_and_saveexec_b64 s[28:29], vcc
	s_xor_b64 s[34:35], exec, s[28:29]
	s_cbranch_execz .LBB6_18004
; %bb.17995:                            ;   in Loop: Header=BB6_16537 Depth=3
	v_mov_b32_e32 v29, 0
	v_cmp_ne_u32_e32 vcc, 0, v28
	buffer_store_dword v29, off, s[0:3], s33 offset:100 ; 4-byte Folded Spill
	s_and_saveexec_b64 s[36:37], vcc
	s_cbranch_execz .LBB6_18003
; %bb.17996:                            ;   in Loop: Header=BB6_16537 Depth=3
	v_bfe_u32 v48, v28, 23, 8
	v_and_b32_e32 v29, 0x7fffff, v28
	v_cmp_gt_u32_e64 s[28:29], s97, v48
	v_sub_u32_e32 v28, 0x79, v48
	v_cmp_eq_u32_e32 vcc, 0, v48
	v_cndmask_b32_e64 v28, 0, v28, s[28:29]
	v_mov_b32_e32 v32, 0x78
	v_or_b32_e32 v49, 0x800000, v29
	v_cndmask_b32_e32 v32, v28, v32, vcc
	v_cndmask_b32_e32 v28, v49, v29, vcc
	v_add_u32_e32 v49, 20, v32
	v_lshlrev_b64 v[52:53], v49, -1
	v_mov_b32_e32 v29, v51
	v_add_u32_e32 v49, 19, v32
	v_mov_b32_e32 v31, v44
	v_mov_b32_e32 v39, v43
	v_bfi_b32 v52, v52, 0, v28
	v_lshlrev_b64 v[43:44], v49, 1
	v_lshrrev_b64 v[28:29], v32, v[28:29]
	v_bfi_b32 v53, v53, 0, 0
	v_cmp_eq_u64_e64 s[28:29], v[52:53], v[43:44]
	v_mov_b32_e32 v53, v29
	v_mov_b32_e32 v52, v28
	s_and_saveexec_b64 s[38:39], s[28:29]
; %bb.17997:                            ;   in Loop: Header=BB6_16537 Depth=3
	v_bfe_u32 v29, v28, 20, 1
	v_add_co_u32_e64 v29, s[28:29], v28, v29
	v_add_co_u32_e64 v52, s[28:29], -1, v29
; %bb.17998:                            ;   in Loop: Header=BB6_16537 Depth=3
	s_or_b64 exec, exec, s[38:39]
	v_add_u32_e32 v29, 0xffffff81, v48
	v_mov_b32_e32 v48, 0xffffff82
	v_cndmask_b32_e32 v29, v29, v48, vcc
	v_lshrrev_b32_e32 v48, 23, v28
	v_add3_u32 v49, v32, v29, v48
	v_add_u32_e32 v32, 6, v49
	v_and_b32_e32 v29, 0xfffff, v52
	v_add_u32_e32 v28, v29, v28
	v_mov_b32_e32 v29, v51
	v_cmp_ne_u32_e32 vcc, 0, v32
                                        ; implicit-def: $vgpr48
	s_and_saveexec_b64 s[28:29], vcc
	s_xor_b64 s[28:29], exec, s[28:29]
; %bb.17999:                            ;   in Loop: Header=BB6_16537 Depth=3
	v_cmp_lt_u64_e32 vcc, s[88:89], v[28:29]
	v_add_u32_e32 v48, 7, v49
	v_cndmask_b32_e32 v48, v32, v48, vcc
	v_cndmask_b32_e64 v32, 0, 1, vcc
	v_lshrrev_b64 v[28:29], v32, v[28:29]
; %bb.18000:                            ;   in Loop: Header=BB6_16537 Depth=3
	s_or_saveexec_b64 s[28:29], s[28:29]
	v_mov_b32_e32 v43, v39
	v_mov_b32_e32 v44, v31
	s_xor_b64 exec, exec, s[28:29]
; %bb.18001:                            ;   in Loop: Header=BB6_16537 Depth=3
	v_bfe_u32 v48, v28, 23, 1
; %bb.18002:                            ;   in Loop: Header=BB6_16537 Depth=3
	s_or_b64 exec, exec, s[28:29]
	v_lshrrev_b64 v[28:29], 20, v[28:29]
	v_cmp_gt_i32_e32 vcc, 16, v48
	v_cndmask_b32_e32 v29, 0, v29, vcc
	v_cndmask_b32_e32 v28, 7, v28, vcc
	v_cmp_eq_u64_e64 s[28:29], 0, v[28:29]
	v_min_i32_e32 v29, 15, v48
	v_lshlrev_b32_e32 v29, 3, v29
	v_cmp_eq_u32_e32 vcc, 0, v48
	v_and_b32_e32 v29, 0xf8, v29
	v_and_or_b32 v28, v28, 7, v29
	s_and_b64 s[28:29], vcc, s[28:29]
	v_cndmask_b32_e64 v28, v28, 0, s[28:29]
	v_or_b32_e32 v25, v28, v25
	buffer_store_dword v25, off, s[0:3], s33 offset:100 ; 4-byte Folded Spill
.LBB6_18003:                            ;   in Loop: Header=BB6_16537 Depth=3
	s_or_b64 exec, exec, s[36:37]
                                        ; implicit-def: $vgpr25
.LBB6_18004:                            ;   in Loop: Header=BB6_16537 Depth=3
	s_andn2_saveexec_b64 s[28:29], s[34:35]
	s_cbranch_execz .LBB6_18006
; %bb.18005:                            ;   in Loop: Header=BB6_16537 Depth=3
	v_or_b32_e32 v25, 0x7e, v25
	buffer_store_dword v25, off, s[0:3], s33 offset:100 ; 4-byte Folded Spill
.LBB6_18006:                            ;   in Loop: Header=BB6_16537 Depth=3
	s_or_b64 exec, exec, s[28:29]
                                        ; implicit-def: $vgpr28
.LBB6_18007:                            ;   in Loop: Header=BB6_16537 Depth=3
	s_andn2_saveexec_b64 s[28:29], s[30:31]
	s_cbranch_execz .LBB6_18009
; %bb.18008:                            ;   in Loop: Header=BB6_16537 Depth=3
	v_or_b32_sdwa v25, v28, s86 dst_sel:DWORD dst_unused:UNUSED_PAD src0_sel:BYTE_3 src1_sel:DWORD
	buffer_store_dword v25, off, s[0:3], s33 offset:100 ; 4-byte Folded Spill
.LBB6_18009:                            ;   in Loop: Header=BB6_16537 Depth=3
	s_or_b64 exec, exec, s[28:29]
	v_lshrrev_b32_e32 v25, 16, v24
	v_cmp_ne_u16_sdwa vcc, v25, v51 src0_sel:BYTE_0 src1_sel:DWORD
	v_mov_b32_e32 v28, 0
	v_mov_b32_e32 v29, 0
	s_and_saveexec_b64 s[28:29], vcc
	s_cbranch_execz .LBB6_18015
; %bb.18010:                            ;   in Loop: Header=BB6_16537 Depth=3
	v_cmp_ne_u16_sdwa vcc, v25, s96 src0_sel:BYTE_0 src1_sel:DWORD
	v_bfrev_b32_e32 v29, 1
	s_and_saveexec_b64 s[30:31], vcc
	s_cbranch_execz .LBB6_18014
; %bb.18011:                            ;   in Loop: Header=BB6_16537 Depth=3
	v_bfe_u32 v32, v24, 16, 7
	v_cmp_ne_u32_e32 vcc, s86, v32
	v_mov_b32_e32 v29, 0x7f800001
	s_and_saveexec_b64 s[34:35], vcc
	s_cbranch_execz .LBB6_18013
; %bb.18012:                            ;   in Loop: Header=BB6_16537 Depth=3
	v_and_b32_e32 v29, 7, v25
	v_lshrrev_b32_e32 v52, 3, v32
	v_cmp_gt_u32_e32 vcc, 8, v32
	v_ffbh_u32_e32 v32, v29
	v_min_u32_e32 v32, 32, v32
	v_subrev_u32_e32 v48, 28, v32
	v_lshlrev_b64 v[48:49], v48, v[25:26]
	v_sub_u32_e32 v32, 29, v32
	v_and_b32_e32 v48, 7, v48
	v_cndmask_b32_e32 v32, v52, v32, vcc
	v_cndmask_b32_e32 v29, v29, v48, vcc
	v_lshlrev_b32_e32 v25, 24, v25
	v_bfrev_b32_e32 v48, 60
	v_lshlrev_b32_e32 v29, 20, v29
	v_and_b32_e32 v25, 0x80000000, v25
	v_lshl_add_u32 v32, v32, 23, v48
	v_or3_b32 v29, v25, v32, v29
.LBB6_18013:                            ;   in Loop: Header=BB6_16537 Depth=3
	s_or_b64 exec, exec, s[34:35]
.LBB6_18014:                            ;   in Loop: Header=BB6_16537 Depth=3
	s_or_b64 exec, exec, s[30:31]
.LBB6_18015:                            ;   in Loop: Header=BB6_16537 Depth=3
	s_or_b64 exec, exec, s[28:29]
	v_lshrrev_b32_e32 v25, 16, v20
	v_cmp_ne_u16_sdwa vcc, v25, v51 src0_sel:BYTE_0 src1_sel:DWORD
	s_and_saveexec_b64 s[28:29], vcc
	s_cbranch_execz .LBB6_18021
; %bb.18016:                            ;   in Loop: Header=BB6_16537 Depth=3
	v_cmp_ne_u16_sdwa vcc, v25, s96 src0_sel:BYTE_0 src1_sel:DWORD
	v_bfrev_b32_e32 v28, 1
	s_and_saveexec_b64 s[30:31], vcc
	s_cbranch_execz .LBB6_18020
; %bb.18017:                            ;   in Loop: Header=BB6_16537 Depth=3
	v_bfe_u32 v32, v20, 16, 7
	v_cmp_ne_u32_e32 vcc, s86, v32
	v_mov_b32_e32 v28, 0x7f800001
	s_and_saveexec_b64 s[34:35], vcc
	s_cbranch_execz .LBB6_18019
; %bb.18018:                            ;   in Loop: Header=BB6_16537 Depth=3
	v_and_b32_e32 v28, 7, v25
	v_lshrrev_b32_e32 v52, 3, v32
	v_cmp_gt_u32_e32 vcc, 8, v32
	v_ffbh_u32_e32 v32, v28
	v_min_u32_e32 v32, 32, v32
	v_subrev_u32_e32 v48, 28, v32
	v_lshlrev_b64 v[48:49], v48, v[25:26]
	v_sub_u32_e32 v25, 29, v32
	v_and_b32_e32 v32, 7, v48
	v_cndmask_b32_e32 v25, v52, v25, vcc
	v_cndmask_b32_e32 v28, v28, v32, vcc
	v_lshlrev_b32_e32 v32, 8, v20
	v_bfrev_b32_e32 v48, 60
	v_lshlrev_b32_e32 v28, 20, v28
	v_and_b32_e32 v32, 0x80000000, v32
	v_lshl_add_u32 v25, v25, 23, v48
	v_or3_b32 v28, v32, v25, v28
.LBB6_18019:                            ;   in Loop: Header=BB6_16537 Depth=3
	s_or_b64 exec, exec, s[34:35]
.LBB6_18020:                            ;   in Loop: Header=BB6_16537 Depth=3
	s_or_b64 exec, exec, s[30:31]
.LBB6_18021:                            ;   in Loop: Header=BB6_16537 Depth=3
	s_or_b64 exec, exec, s[28:29]
	v_add_f32_e32 v28, v29, v28
	v_and_b32_e32 v48, 0x7f800000, v28
	v_mov_b32_e32 v49, v51
	v_cmp_ne_u64_e32 vcc, s[76:77], v[48:49]
                                        ; implicit-def: $vgpr25
                                        ; kill: killed $vgpr25
	s_and_saveexec_b64 s[28:29], vcc
	s_xor_b64 s[30:31], exec, s[28:29]
	s_cbranch_execz .LBB6_18035
; %bb.18022:                            ;   in Loop: Header=BB6_16537 Depth=3
	v_and_b32_e32 v48, 0x7fffffff, v28
	v_mov_b32_e32 v49, v51
	v_cmp_gt_u64_e32 vcc, s[78:79], v[48:49]
	v_and_b32_sdwa v25, v28, s96 dst_sel:DWORD dst_unused:UNUSED_PAD src0_sel:BYTE_3 src1_sel:DWORD
                                        ; implicit-def: $vgpr29
                                        ; kill: killed $vgpr29
	s_and_saveexec_b64 s[28:29], vcc
	s_xor_b64 s[34:35], exec, s[28:29]
	s_cbranch_execz .LBB6_18032
; %bb.18023:                            ;   in Loop: Header=BB6_16537 Depth=3
	v_mov_b32_e32 v29, 0
	v_cmp_ne_u32_e32 vcc, 0, v28
	buffer_store_dword v29, off, s[0:3], s33 offset:108 ; 4-byte Folded Spill
	s_and_saveexec_b64 s[36:37], vcc
	s_cbranch_execz .LBB6_18031
; %bb.18024:                            ;   in Loop: Header=BB6_16537 Depth=3
	v_bfe_u32 v48, v28, 23, 8
	v_and_b32_e32 v29, 0x7fffff, v28
	v_cmp_gt_u32_e64 s[28:29], s97, v48
	v_sub_u32_e32 v28, 0x79, v48
	v_cmp_eq_u32_e32 vcc, 0, v48
	v_cndmask_b32_e64 v28, 0, v28, s[28:29]
	v_mov_b32_e32 v32, 0x78
	v_or_b32_e32 v49, 0x800000, v29
	v_cndmask_b32_e32 v32, v28, v32, vcc
	v_cndmask_b32_e32 v28, v49, v29, vcc
	v_add_u32_e32 v49, 20, v32
	v_lshlrev_b64 v[52:53], v49, -1
	v_mov_b32_e32 v29, v51
	v_add_u32_e32 v49, 19, v32
	v_mov_b32_e32 v31, v44
	v_mov_b32_e32 v39, v43
	v_bfi_b32 v52, v52, 0, v28
	v_lshlrev_b64 v[43:44], v49, 1
	v_lshrrev_b64 v[28:29], v32, v[28:29]
	v_bfi_b32 v53, v53, 0, 0
	v_cmp_eq_u64_e64 s[28:29], v[52:53], v[43:44]
	v_mov_b32_e32 v53, v29
	v_mov_b32_e32 v52, v28
	s_and_saveexec_b64 s[38:39], s[28:29]
; %bb.18025:                            ;   in Loop: Header=BB6_16537 Depth=3
	v_bfe_u32 v29, v28, 20, 1
	v_add_co_u32_e64 v29, s[28:29], v28, v29
	v_add_co_u32_e64 v52, s[28:29], -1, v29
; %bb.18026:                            ;   in Loop: Header=BB6_16537 Depth=3
	s_or_b64 exec, exec, s[38:39]
	v_add_u32_e32 v29, 0xffffff81, v48
	v_mov_b32_e32 v48, 0xffffff82
	v_cndmask_b32_e32 v29, v29, v48, vcc
	v_lshrrev_b32_e32 v48, 23, v28
	v_add3_u32 v49, v32, v29, v48
	v_add_u32_e32 v32, 6, v49
	v_and_b32_e32 v29, 0xfffff, v52
	v_add_u32_e32 v28, v29, v28
	v_mov_b32_e32 v29, v51
	v_cmp_ne_u32_e32 vcc, 0, v32
                                        ; implicit-def: $vgpr48
	s_and_saveexec_b64 s[28:29], vcc
	s_xor_b64 s[28:29], exec, s[28:29]
; %bb.18027:                            ;   in Loop: Header=BB6_16537 Depth=3
	v_cmp_lt_u64_e32 vcc, s[88:89], v[28:29]
	v_add_u32_e32 v48, 7, v49
	v_cndmask_b32_e32 v48, v32, v48, vcc
	v_cndmask_b32_e64 v32, 0, 1, vcc
	v_lshrrev_b64 v[28:29], v32, v[28:29]
; %bb.18028:                            ;   in Loop: Header=BB6_16537 Depth=3
	s_or_saveexec_b64 s[28:29], s[28:29]
	v_mov_b32_e32 v43, v39
	v_mov_b32_e32 v44, v31
	s_xor_b64 exec, exec, s[28:29]
; %bb.18029:                            ;   in Loop: Header=BB6_16537 Depth=3
	v_bfe_u32 v48, v28, 23, 1
; %bb.18030:                            ;   in Loop: Header=BB6_16537 Depth=3
	s_or_b64 exec, exec, s[28:29]
	v_lshrrev_b64 v[28:29], 20, v[28:29]
	v_cmp_gt_i32_e32 vcc, 16, v48
	v_cndmask_b32_e32 v29, 0, v29, vcc
	v_cndmask_b32_e32 v28, 7, v28, vcc
	v_cmp_eq_u64_e64 s[28:29], 0, v[28:29]
	v_min_i32_e32 v29, 15, v48
	v_lshlrev_b32_e32 v29, 3, v29
	v_cmp_eq_u32_e32 vcc, 0, v48
	v_and_b32_e32 v29, 0xf8, v29
	v_and_or_b32 v28, v28, 7, v29
	s_and_b64 s[28:29], vcc, s[28:29]
	v_cndmask_b32_e64 v28, v28, 0, s[28:29]
	v_or_b32_e32 v25, v28, v25
	buffer_store_dword v25, off, s[0:3], s33 offset:108 ; 4-byte Folded Spill
.LBB6_18031:                            ;   in Loop: Header=BB6_16537 Depth=3
	s_or_b64 exec, exec, s[36:37]
                                        ; implicit-def: $vgpr25
.LBB6_18032:                            ;   in Loop: Header=BB6_16537 Depth=3
	s_andn2_saveexec_b64 s[28:29], s[34:35]
	s_cbranch_execz .LBB6_18034
; %bb.18033:                            ;   in Loop: Header=BB6_16537 Depth=3
	v_or_b32_e32 v25, 0x7e, v25
	buffer_store_dword v25, off, s[0:3], s33 offset:108 ; 4-byte Folded Spill
.LBB6_18034:                            ;   in Loop: Header=BB6_16537 Depth=3
	s_or_b64 exec, exec, s[28:29]
                                        ; implicit-def: $vgpr28
.LBB6_18035:                            ;   in Loop: Header=BB6_16537 Depth=3
	s_andn2_saveexec_b64 s[28:29], s[30:31]
	s_cbranch_execz .LBB6_18037
; %bb.18036:                            ;   in Loop: Header=BB6_16537 Depth=3
	v_or_b32_sdwa v25, v28, s86 dst_sel:DWORD dst_unused:UNUSED_PAD src0_sel:BYTE_3 src1_sel:DWORD
	buffer_store_dword v25, off, s[0:3], s33 offset:108 ; 4-byte Folded Spill
.LBB6_18037:                            ;   in Loop: Header=BB6_16537 Depth=3
	s_or_b64 exec, exec, s[28:29]
	v_cmp_lt_u32_e32 vcc, s57, v24
	v_mov_b32_e32 v28, 0
	v_mov_b32_e32 v29, 0
	s_and_saveexec_b64 s[28:29], vcc
	s_cbranch_execz .LBB6_18043
; %bb.18038:                            ;   in Loop: Header=BB6_16537 Depth=3
	v_lshrrev_b32_e32 v25, 24, v24
	v_cmp_ne_u32_sdwa vcc, v24, s96 src0_sel:BYTE_3 src1_sel:DWORD
	v_bfrev_b32_e32 v29, 1
	s_and_saveexec_b64 s[30:31], vcc
	s_cbranch_execz .LBB6_18042
; %bb.18039:                            ;   in Loop: Header=BB6_16537 Depth=3
	v_bfe_u32 v32, v24, 24, 7
	v_cmp_ne_u32_e32 vcc, s86, v32
	v_mov_b32_e32 v29, 0x7f800001
	s_and_saveexec_b64 s[34:35], vcc
	s_cbranch_execz .LBB6_18041
; %bb.18040:                            ;   in Loop: Header=BB6_16537 Depth=3
	v_and_b32_e32 v29, 7, v25
	v_lshrrev_b32_e32 v52, 3, v32
	v_cmp_gt_u32_e32 vcc, 8, v32
	v_ffbh_u32_e32 v32, v29
	v_min_u32_e32 v32, 32, v32
	v_subrev_u32_e32 v48, 28, v32
	v_lshlrev_b64 v[48:49], v48, v[25:26]
	v_sub_u32_e32 v25, 29, v32
	v_and_b32_e32 v32, 7, v48
	v_cndmask_b32_e32 v29, v29, v32, vcc
	v_mov_b32_e32 v32, 24
	v_cndmask_b32_e32 v25, v52, v25, vcc
	v_lshlrev_b32_sdwa v24, v32, v24 dst_sel:DWORD dst_unused:UNUSED_PAD src0_sel:DWORD src1_sel:BYTE_3
	v_bfrev_b32_e32 v32, 60
	v_lshlrev_b32_e32 v29, 20, v29
	v_and_b32_e32 v24, 0x80000000, v24
	v_lshl_add_u32 v25, v25, 23, v32
	v_or3_b32 v29, v24, v25, v29
.LBB6_18041:                            ;   in Loop: Header=BB6_16537 Depth=3
	s_or_b64 exec, exec, s[34:35]
.LBB6_18042:                            ;   in Loop: Header=BB6_16537 Depth=3
	s_or_b64 exec, exec, s[30:31]
.LBB6_18043:                            ;   in Loop: Header=BB6_16537 Depth=3
	s_or_b64 exec, exec, s[28:29]
	v_cmp_lt_u32_e32 vcc, s57, v20
	s_and_saveexec_b64 s[28:29], vcc
	s_cbranch_execz .LBB6_18049
; %bb.18044:                            ;   in Loop: Header=BB6_16537 Depth=3
	v_lshrrev_b32_e32 v24, 24, v20
	v_cmp_ne_u32_e32 vcc, s96, v24
	v_bfrev_b32_e32 v28, 1
	s_and_saveexec_b64 s[30:31], vcc
	s_cbranch_execz .LBB6_18048
; %bb.18045:                            ;   in Loop: Header=BB6_16537 Depth=3
	v_bfe_u32 v25, v20, 24, 7
	v_cmp_ne_u32_e32 vcc, s86, v25
	v_mov_b32_e32 v28, 0x7f800001
	s_and_saveexec_b64 s[34:35], vcc
	s_cbranch_execz .LBB6_18047
; %bb.18046:                            ;   in Loop: Header=BB6_16537 Depth=3
	v_and_b32_e32 v28, 7, v24
	v_lshrrev_b32_e32 v32, 3, v25
	v_cmp_gt_u32_e32 vcc, 8, v25
	v_ffbh_u32_e32 v25, v28
	v_min_u32_e32 v25, 32, v25
	v_subrev_u32_e32 v48, 28, v25
	v_lshlrev_b64 v[48:49], v48, v[24:25]
	v_sub_u32_e32 v25, 29, v25
	v_and_b32_e32 v48, 7, v48
	v_cndmask_b32_e32 v25, v32, v25, vcc
	v_cndmask_b32_e32 v28, v28, v48, vcc
	v_lshlrev_b32_e32 v24, 24, v24
	v_bfrev_b32_e32 v32, 60
	v_lshlrev_b32_e32 v28, 20, v28
	v_and_b32_e32 v24, 0x80000000, v24
	v_lshl_add_u32 v25, v25, 23, v32
	v_or3_b32 v28, v24, v25, v28
.LBB6_18047:                            ;   in Loop: Header=BB6_16537 Depth=3
	s_or_b64 exec, exec, s[34:35]
.LBB6_18048:                            ;   in Loop: Header=BB6_16537 Depth=3
	s_or_b64 exec, exec, s[30:31]
.LBB6_18049:                            ;   in Loop: Header=BB6_16537 Depth=3
	s_or_b64 exec, exec, s[28:29]
	v_add_f32_e32 v24, v29, v28
	v_and_b32_e32 v28, 0x7f800000, v24
	v_mov_b32_e32 v29, v51
	v_cmp_ne_u64_e32 vcc, s[76:77], v[28:29]
                                        ; implicit-def: $vgpr25
                                        ; kill: killed $vgpr25
	s_and_saveexec_b64 s[28:29], vcc
	s_xor_b64 s[30:31], exec, s[28:29]
	s_cbranch_execz .LBB6_18063
; %bb.18050:                            ;   in Loop: Header=BB6_16537 Depth=3
	v_and_b32_e32 v28, 0x7fffffff, v24
	v_mov_b32_e32 v29, v51
	v_cmp_gt_u64_e32 vcc, s[78:79], v[28:29]
	v_and_b32_sdwa v48, v24, s96 dst_sel:DWORD dst_unused:UNUSED_PAD src0_sel:BYTE_3 src1_sel:DWORD
                                        ; implicit-def: $vgpr25
                                        ; kill: killed $vgpr25
	s_and_saveexec_b64 s[28:29], vcc
	s_xor_b64 s[34:35], exec, s[28:29]
	s_cbranch_execz .LBB6_18060
; %bb.18051:                            ;   in Loop: Header=BB6_16537 Depth=3
	v_mov_b32_e32 v25, 0
	v_cmp_ne_u32_e32 vcc, 0, v24
	buffer_store_dword v25, off, s[0:3], s33 offset:124 ; 4-byte Folded Spill
	s_and_saveexec_b64 s[36:37], vcc
	s_cbranch_execz .LBB6_18059
; %bb.18052:                            ;   in Loop: Header=BB6_16537 Depth=3
	v_bfe_u32 v49, v24, 23, 8
	v_and_b32_e32 v25, 0x7fffff, v24
	v_cmp_gt_u32_e64 s[28:29], s97, v49
	v_sub_u32_e32 v24, 0x79, v49
	v_cmp_eq_u32_e32 vcc, 0, v49
	v_cndmask_b32_e64 v24, 0, v24, s[28:29]
	v_mov_b32_e32 v29, 0x78
	v_or_b32_e32 v28, 0x800000, v25
	v_cndmask_b32_e32 v32, v24, v29, vcc
	v_cndmask_b32_e32 v24, v28, v25, vcc
	v_add_u32_e32 v28, 20, v32
	v_lshlrev_b64 v[28:29], v28, -1
	v_mov_b32_e32 v25, v51
	v_add_u32_e32 v52, 19, v32
	v_bfi_b32 v28, v28, 0, v24
	v_lshlrev_b64 v[52:53], v52, 1
	v_lshrrev_b64 v[24:25], v32, v[24:25]
	v_bfi_b32 v29, v29, 0, 0
	v_cmp_eq_u64_e64 s[28:29], v[28:29], v[52:53]
	v_mov_b32_e32 v29, v25
	v_mov_b32_e32 v28, v24
	s_and_saveexec_b64 s[38:39], s[28:29]
; %bb.18053:                            ;   in Loop: Header=BB6_16537 Depth=3
	v_bfe_u32 v25, v24, 20, 1
	v_add_co_u32_e64 v25, s[28:29], v24, v25
	v_add_co_u32_e64 v28, s[28:29], -1, v25
; %bb.18054:                            ;   in Loop: Header=BB6_16537 Depth=3
	s_or_b64 exec, exec, s[38:39]
	v_add_u32_e32 v25, 0xffffff81, v49
	v_mov_b32_e32 v29, 0xffffff82
	v_cndmask_b32_e32 v25, v25, v29, vcc
	v_lshrrev_b32_e32 v29, 23, v24
	v_add3_u32 v32, v32, v25, v29
	v_add_u32_e32 v29, 6, v32
	v_and_b32_e32 v25, 0xfffff, v28
	v_add_u32_e32 v24, v25, v24
	v_mov_b32_e32 v25, v51
	v_cmp_ne_u32_e32 vcc, 0, v29
                                        ; implicit-def: $vgpr28
	s_and_saveexec_b64 s[28:29], vcc
	s_xor_b64 s[28:29], exec, s[28:29]
; %bb.18055:                            ;   in Loop: Header=BB6_16537 Depth=3
	v_cmp_lt_u64_e32 vcc, s[88:89], v[24:25]
	v_add_u32_e32 v28, 7, v32
	v_cndmask_b32_e32 v28, v29, v28, vcc
	v_cndmask_b32_e64 v29, 0, 1, vcc
	v_lshrrev_b64 v[24:25], v29, v[24:25]
; %bb.18056:                            ;   in Loop: Header=BB6_16537 Depth=3
	s_andn2_saveexec_b64 s[28:29], s[28:29]
; %bb.18057:                            ;   in Loop: Header=BB6_16537 Depth=3
	v_bfe_u32 v28, v24, 23, 1
; %bb.18058:                            ;   in Loop: Header=BB6_16537 Depth=3
	s_or_b64 exec, exec, s[28:29]
	v_lshrrev_b64 v[24:25], 20, v[24:25]
	v_cmp_gt_i32_e32 vcc, 16, v28
	v_cndmask_b32_e32 v25, 0, v25, vcc
	v_cndmask_b32_e32 v24, 7, v24, vcc
	v_cmp_eq_u64_e64 s[28:29], 0, v[24:25]
	v_min_i32_e32 v25, 15, v28
	v_lshlrev_b32_e32 v25, 3, v25
	v_cmp_eq_u32_e32 vcc, 0, v28
	v_and_b32_e32 v25, 0xf8, v25
	v_and_or_b32 v24, v24, 7, v25
	s_and_b64 s[28:29], vcc, s[28:29]
	v_cndmask_b32_e64 v24, v24, 0, s[28:29]
	v_or_b32_e32 v24, v24, v48
	buffer_store_dword v24, off, s[0:3], s33 offset:124 ; 4-byte Folded Spill
.LBB6_18059:                            ;   in Loop: Header=BB6_16537 Depth=3
	s_or_b64 exec, exec, s[36:37]
                                        ; implicit-def: $vgpr48
.LBB6_18060:                            ;   in Loop: Header=BB6_16537 Depth=3
	s_andn2_saveexec_b64 s[28:29], s[34:35]
	s_cbranch_execz .LBB6_18062
; %bb.18061:                            ;   in Loop: Header=BB6_16537 Depth=3
	v_or_b32_e32 v24, 0x7e, v48
	buffer_store_dword v24, off, s[0:3], s33 offset:124 ; 4-byte Folded Spill
.LBB6_18062:                            ;   in Loop: Header=BB6_16537 Depth=3
	s_or_b64 exec, exec, s[28:29]
                                        ; implicit-def: $vgpr24
.LBB6_18063:                            ;   in Loop: Header=BB6_16537 Depth=3
	s_andn2_saveexec_b64 s[28:29], s[30:31]
	s_cbranch_execz .LBB6_18065
; %bb.18064:                            ;   in Loop: Header=BB6_16537 Depth=3
	v_or_b32_sdwa v24, v24, s86 dst_sel:DWORD dst_unused:UNUSED_PAD src0_sel:BYTE_3 src1_sel:DWORD
	buffer_store_dword v24, off, s[0:3], s33 offset:124 ; 4-byte Folded Spill
.LBB6_18065:                            ;   in Loop: Header=BB6_16537 Depth=3
	s_or_b64 exec, exec, s[28:29]
	v_lshl_or_b32 v5, v5, 8, v35
	v_lshlrev_b32_e32 v24, 16, v33
	v_lshlrev_b32_e32 v25, 24, v40
	v_or3_b32 v24, v24, v25, v5
	v_mov_b32_e32 v25, v51
	v_cmp_ne_u32_e32 vcc, 0, v35
	v_mov_b32_e32 v29, 0
	v_mov_b32_e32 v28, 0
	s_and_saveexec_b64 s[28:29], vcc
	s_cbranch_execz .LBB6_18071
; %bb.18066:                            ;   in Loop: Header=BB6_16537 Depth=3
	v_cmp_ne_u32_e32 vcc, s96, v35
	v_bfrev_b32_e32 v28, 1
	s_and_saveexec_b64 s[30:31], vcc
	s_cbranch_execz .LBB6_18070
; %bb.18067:                            ;   in Loop: Header=BB6_16537 Depth=3
	v_and_b32_e32 v32, 0x7f, v35
	v_cmp_ne_u32_e32 vcc, s86, v32
	v_mov_b32_e32 v28, 0x7f800001
	s_and_saveexec_b64 s[34:35], vcc
	s_cbranch_execz .LBB6_18069
; %bb.18068:                            ;   in Loop: Header=BB6_16537 Depth=3
	v_and_b32_e32 v28, 7, v35
	v_ffbh_u32_e32 v28, v28
	v_min_u32_e32 v28, 32, v28
	v_lshrrev_b32_e32 v33, 3, v32
	v_cmp_gt_u32_e32 vcc, 8, v32
	v_subrev_u32_e32 v32, 28, v28
	v_sub_u32_e32 v28, 29, v28
	v_cndmask_b32_e32 v32, 0, v32, vcc
	v_cndmask_b32_e32 v28, v33, v28, vcc
	v_lshlrev_b64 v[32:33], v32, v[24:25]
	v_bfrev_b32_e32 v33, 60
	v_lshlrev_b32_e32 v25, 20, v32
	v_lshlrev_b32_e32 v32, 24, v24
	v_and_b32_e32 v25, 0x700000, v25
	v_and_b32_e32 v32, 0x80000000, v32
	v_lshl_add_u32 v28, v28, 23, v33
	v_or3_b32 v28, v32, v28, v25
.LBB6_18069:                            ;   in Loop: Header=BB6_16537 Depth=3
	s_or_b64 exec, exec, s[34:35]
.LBB6_18070:                            ;   in Loop: Header=BB6_16537 Depth=3
	s_or_b64 exec, exec, s[30:31]
.LBB6_18071:                            ;   in Loop: Header=BB6_16537 Depth=3
	s_or_b64 exec, exec, s[28:29]
	v_cmp_ne_u16_sdwa vcc, v21, v51 src0_sel:BYTE_0 src1_sel:DWORD
	s_and_saveexec_b64 s[28:29], vcc
	s_cbranch_execz .LBB6_18077
; %bb.18072:                            ;   in Loop: Header=BB6_16537 Depth=3
	v_cmp_ne_u16_sdwa vcc, v21, s96 src0_sel:BYTE_0 src1_sel:DWORD
	v_bfrev_b32_e32 v29, 1
	s_and_saveexec_b64 s[30:31], vcc
	s_cbranch_execz .LBB6_18076
; %bb.18073:                            ;   in Loop: Header=BB6_16537 Depth=3
	v_and_b32_e32 v25, 0x7f, v21
	v_cmp_ne_u32_e32 vcc, s86, v25
	v_mov_b32_e32 v29, 0x7f800001
	s_and_saveexec_b64 s[34:35], vcc
	s_cbranch_execz .LBB6_18075
; %bb.18074:                            ;   in Loop: Header=BB6_16537 Depth=3
	v_and_b32_e32 v29, 7, v21
	v_lshrrev_b32_e32 v35, 3, v25
	v_cmp_gt_u32_e32 vcc, 8, v25
	v_ffbh_u32_e32 v25, v29
	v_min_u32_e32 v25, 32, v25
	v_subrev_u32_e32 v29, 28, v25
	v_mov_b32_e32 v32, v21
	v_mov_b32_e32 v33, v51
	v_cndmask_b32_e32 v29, 0, v29, vcc
	v_lshlrev_b64 v[48:49], v29, v[32:33]
	v_sub_u32_e32 v25, 29, v25
	v_cndmask_b32_e32 v25, v35, v25, vcc
	v_lshlrev_b32_e32 v29, 20, v48
	v_lshlrev_b32_e32 v32, 24, v32
	v_bfrev_b32_e32 v33, 60
	v_and_b32_e32 v29, 0x700000, v29
	v_and_b32_e32 v32, 0x80000000, v32
	v_lshl_add_u32 v25, v25, 23, v33
	v_or3_b32 v29, v32, v25, v29
.LBB6_18075:                            ;   in Loop: Header=BB6_16537 Depth=3
	s_or_b64 exec, exec, s[34:35]
.LBB6_18076:                            ;   in Loop: Header=BB6_16537 Depth=3
	s_or_b64 exec, exec, s[30:31]
.LBB6_18077:                            ;   in Loop: Header=BB6_16537 Depth=3
	s_or_b64 exec, exec, s[28:29]
	v_add_f32_e32 v28, v28, v29
	v_and_b32_e32 v32, 0x7f800000, v28
	v_mov_b32_e32 v33, v51
	v_cmp_ne_u64_e32 vcc, s[76:77], v[32:33]
                                        ; implicit-def: $vgpr25
                                        ; kill: killed $vgpr25
	s_and_saveexec_b64 s[28:29], vcc
	s_xor_b64 s[30:31], exec, s[28:29]
	s_cbranch_execz .LBB6_18091
; %bb.18078:                            ;   in Loop: Header=BB6_16537 Depth=3
	v_and_b32_e32 v32, 0x7fffffff, v28
	v_mov_b32_e32 v33, v51
	v_cmp_gt_u64_e32 vcc, s[78:79], v[32:33]
	v_and_b32_sdwa v25, v28, s96 dst_sel:DWORD dst_unused:UNUSED_PAD src0_sel:BYTE_3 src1_sel:DWORD
                                        ; implicit-def: $vgpr29
                                        ; kill: killed $vgpr29
	s_and_saveexec_b64 s[28:29], vcc
	s_xor_b64 s[34:35], exec, s[28:29]
	s_cbranch_execz .LBB6_18088
; %bb.18079:                            ;   in Loop: Header=BB6_16537 Depth=3
	v_mov_b32_e32 v29, 0
	v_cmp_ne_u32_e32 vcc, 0, v28
	buffer_store_dword v29, off, s[0:3], s33 offset:148 ; 4-byte Folded Spill
	s_and_saveexec_b64 s[36:37], vcc
	s_cbranch_execz .LBB6_18087
; %bb.18080:                            ;   in Loop: Header=BB6_16537 Depth=3
	v_bfe_u32 v35, v28, 23, 8
	v_and_b32_e32 v29, 0x7fffff, v28
	v_cmp_gt_u32_e64 s[28:29], s97, v35
	v_sub_u32_e32 v28, 0x79, v35
	v_cmp_eq_u32_e32 vcc, 0, v35
	v_cndmask_b32_e64 v28, 0, v28, s[28:29]
	v_mov_b32_e32 v32, 0x78
	v_or_b32_e32 v33, 0x800000, v29
	v_cndmask_b32_e32 v32, v28, v32, vcc
	v_cndmask_b32_e32 v28, v33, v29, vcc
	v_add_u32_e32 v33, 20, v32
	v_lshlrev_b64 v[48:49], v33, -1
	v_mov_b32_e32 v29, v51
	v_add_u32_e32 v33, 19, v32
	v_bfi_b32 v48, v48, 0, v28
	v_lshlrev_b64 v[52:53], v33, 1
	v_lshrrev_b64 v[28:29], v32, v[28:29]
	v_bfi_b32 v49, v49, 0, 0
	v_cmp_eq_u64_e64 s[28:29], v[48:49], v[52:53]
	v_mov_b32_e32 v53, v29
	v_mov_b32_e32 v52, v28
	s_and_saveexec_b64 s[38:39], s[28:29]
; %bb.18081:                            ;   in Loop: Header=BB6_16537 Depth=3
	v_bfe_u32 v29, v28, 20, 1
	v_add_co_u32_e64 v29, s[28:29], v28, v29
	v_add_co_u32_e64 v52, s[28:29], -1, v29
; %bb.18082:                            ;   in Loop: Header=BB6_16537 Depth=3
	s_or_b64 exec, exec, s[38:39]
	v_add_u32_e32 v29, 0xffffff81, v35
	v_mov_b32_e32 v33, 0xffffff82
	v_cndmask_b32_e32 v29, v29, v33, vcc
	v_lshrrev_b32_e32 v33, 23, v28
	v_add3_u32 v48, v32, v29, v33
	v_add_u32_e32 v32, 6, v48
	v_and_b32_e32 v29, 0xfffff, v52
	v_add_u32_e32 v28, v29, v28
	v_mov_b32_e32 v29, v51
	v_cmp_ne_u32_e32 vcc, 0, v32
                                        ; implicit-def: $vgpr35
	s_and_saveexec_b64 s[28:29], vcc
	s_xor_b64 s[28:29], exec, s[28:29]
; %bb.18083:                            ;   in Loop: Header=BB6_16537 Depth=3
	v_cmp_lt_u64_e32 vcc, s[88:89], v[28:29]
	v_add_u32_e32 v33, 7, v48
	v_cndmask_b32_e32 v35, v32, v33, vcc
	v_cndmask_b32_e64 v32, 0, 1, vcc
	v_lshrrev_b64 v[28:29], v32, v[28:29]
; %bb.18084:                            ;   in Loop: Header=BB6_16537 Depth=3
	s_andn2_saveexec_b64 s[28:29], s[28:29]
; %bb.18085:                            ;   in Loop: Header=BB6_16537 Depth=3
	v_bfe_u32 v35, v28, 23, 1
; %bb.18086:                            ;   in Loop: Header=BB6_16537 Depth=3
	s_or_b64 exec, exec, s[28:29]
	v_lshrrev_b64 v[28:29], 20, v[28:29]
	v_cmp_gt_i32_e32 vcc, 16, v35
	v_cndmask_b32_e32 v29, 0, v29, vcc
	v_cndmask_b32_e32 v28, 7, v28, vcc
	v_cmp_eq_u64_e64 s[28:29], 0, v[28:29]
	v_min_i32_e32 v29, 15, v35
	v_lshlrev_b32_e32 v29, 3, v29
	v_cmp_eq_u32_e32 vcc, 0, v35
	v_and_b32_e32 v29, 0xf8, v29
	v_and_or_b32 v28, v28, 7, v29
	s_and_b64 s[28:29], vcc, s[28:29]
	v_cndmask_b32_e64 v28, v28, 0, s[28:29]
	v_or_b32_e32 v25, v28, v25
	buffer_store_dword v25, off, s[0:3], s33 offset:148 ; 4-byte Folded Spill
.LBB6_18087:                            ;   in Loop: Header=BB6_16537 Depth=3
	s_or_b64 exec, exec, s[36:37]
                                        ; implicit-def: $vgpr25
.LBB6_18088:                            ;   in Loop: Header=BB6_16537 Depth=3
	s_andn2_saveexec_b64 s[28:29], s[34:35]
	s_cbranch_execz .LBB6_18090
; %bb.18089:                            ;   in Loop: Header=BB6_16537 Depth=3
	v_or_b32_e32 v25, 0x7e, v25
	buffer_store_dword v25, off, s[0:3], s33 offset:148 ; 4-byte Folded Spill
.LBB6_18090:                            ;   in Loop: Header=BB6_16537 Depth=3
	s_or_b64 exec, exec, s[28:29]
                                        ; implicit-def: $vgpr28
.LBB6_18091:                            ;   in Loop: Header=BB6_16537 Depth=3
	s_andn2_saveexec_b64 s[28:29], s[30:31]
	s_cbranch_execz .LBB6_18093
; %bb.18092:                            ;   in Loop: Header=BB6_16537 Depth=3
	v_or_b32_sdwa v25, v28, s86 dst_sel:DWORD dst_unused:UNUSED_PAD src0_sel:BYTE_3 src1_sel:DWORD
	buffer_store_dword v25, off, s[0:3], s33 offset:148 ; 4-byte Folded Spill
.LBB6_18093:                            ;   in Loop: Header=BB6_16537 Depth=3
	s_or_b64 exec, exec, s[28:29]
	v_lshrrev_b16_e32 v25, 8, v5
	v_cmp_ne_u16_e32 vcc, 0, v25
	v_mov_b32_e32 v28, 0
	v_mov_b32_e32 v29, 0
	s_and_saveexec_b64 s[28:29], vcc
	s_cbranch_execz .LBB6_18099
; %bb.18094:                            ;   in Loop: Header=BB6_16537 Depth=3
	v_cmp_ne_u16_e32 vcc, s96, v25
	v_bfrev_b32_e32 v29, 1
	s_and_saveexec_b64 s[30:31], vcc
	s_cbranch_execz .LBB6_18098
; %bb.18095:                            ;   in Loop: Header=BB6_16537 Depth=3
	v_and_b32_e32 v32, 0x7f, v25
	v_cmp_ne_u32_e32 vcc, s86, v32
	v_mov_b32_e32 v29, 0x7f800001
	s_and_saveexec_b64 s[34:35], vcc
	s_cbranch_execz .LBB6_18097
; %bb.18096:                            ;   in Loop: Header=BB6_16537 Depth=3
	v_and_b32_e32 v29, 7, v25
	v_lshrrev_b32_e32 v35, 3, v32
	v_cmp_gt_u32_e32 vcc, 8, v32
	v_ffbh_u32_e32 v32, v29
	v_min_u32_e32 v48, 32, v32
	v_subrev_u32_e32 v32, 28, v48
	v_lshlrev_b64 v[32:33], v32, v[25:26]
	v_sub_u32_e32 v25, 29, v48
	v_and_b32_e32 v32, 7, v32
	v_cndmask_b32_e32 v25, v35, v25, vcc
	v_cndmask_b32_e32 v29, v29, v32, vcc
	v_lshlrev_b32_e32 v5, 16, v5
	v_bfrev_b32_e32 v32, 60
	v_lshlrev_b32_e32 v29, 20, v29
	v_and_b32_e32 v5, 0x80000000, v5
	v_lshl_add_u32 v25, v25, 23, v32
	v_or3_b32 v29, v5, v25, v29
.LBB6_18097:                            ;   in Loop: Header=BB6_16537 Depth=3
	s_or_b64 exec, exec, s[34:35]
.LBB6_18098:                            ;   in Loop: Header=BB6_16537 Depth=3
	s_or_b64 exec, exec, s[30:31]
.LBB6_18099:                            ;   in Loop: Header=BB6_16537 Depth=3
	s_or_b64 exec, exec, s[28:29]
	v_lshrrev_b16_e32 v25, 8, v21
	v_cmp_ne_u16_e32 vcc, 0, v25
	s_and_saveexec_b64 s[28:29], vcc
	s_cbranch_execz .LBB6_18105
; %bb.18100:                            ;   in Loop: Header=BB6_16537 Depth=3
	v_cmp_ne_u16_e32 vcc, s96, v25
	v_bfrev_b32_e32 v28, 1
	s_and_saveexec_b64 s[30:31], vcc
	s_cbranch_execz .LBB6_18104
; %bb.18101:                            ;   in Loop: Header=BB6_16537 Depth=3
	v_and_b32_e32 v5, 0x7f, v25
	v_cmp_ne_u32_e32 vcc, s86, v5
	v_mov_b32_e32 v28, 0x7f800001
	s_and_saveexec_b64 s[34:35], vcc
	s_cbranch_execz .LBB6_18103
; %bb.18102:                            ;   in Loop: Header=BB6_16537 Depth=3
	v_and_b32_e32 v28, 7, v25
	v_lshrrev_b32_e32 v35, 3, v5
	v_cmp_gt_u32_e32 vcc, 8, v5
	v_ffbh_u32_e32 v5, v28
	v_min_u32_e32 v5, 32, v5
	v_subrev_u32_e32 v32, 28, v5
	v_lshlrev_b64 v[32:33], v32, v[25:26]
	v_sub_u32_e32 v5, 29, v5
	v_and_b32_e32 v25, 7, v32
	v_cndmask_b32_e32 v5, v35, v5, vcc
	v_cndmask_b32_e32 v25, v28, v25, vcc
	v_lshlrev_b32_e32 v28, 16, v21
	v_bfrev_b32_e32 v32, 60
	v_lshlrev_b32_e32 v25, 20, v25
	v_and_b32_e32 v28, 0x80000000, v28
	v_lshl_add_u32 v5, v5, 23, v32
	v_or3_b32 v28, v28, v5, v25
.LBB6_18103:                            ;   in Loop: Header=BB6_16537 Depth=3
	s_or_b64 exec, exec, s[34:35]
.LBB6_18104:                            ;   in Loop: Header=BB6_16537 Depth=3
	s_or_b64 exec, exec, s[30:31]
.LBB6_18105:                            ;   in Loop: Header=BB6_16537 Depth=3
	s_or_b64 exec, exec, s[28:29]
	v_add_f32_e32 v25, v29, v28
	v_and_b32_e32 v28, 0x7f800000, v25
	v_mov_b32_e32 v29, v51
	v_cmp_ne_u64_e32 vcc, s[76:77], v[28:29]
                                        ; implicit-def: $vgpr5
                                        ; kill: killed $vgpr5
	s_and_saveexec_b64 s[28:29], vcc
	s_xor_b64 s[30:31], exec, s[28:29]
	s_cbranch_execz .LBB6_18119
; %bb.18106:                            ;   in Loop: Header=BB6_16537 Depth=3
	v_and_b32_e32 v28, 0x7fffffff, v25
	v_mov_b32_e32 v29, v51
	v_cmp_gt_u64_e32 vcc, s[78:79], v[28:29]
	v_and_b32_sdwa v5, v25, s96 dst_sel:DWORD dst_unused:UNUSED_PAD src0_sel:BYTE_3 src1_sel:DWORD
                                        ; implicit-def: $vgpr28
                                        ; kill: killed $vgpr28
	s_and_saveexec_b64 s[28:29], vcc
	s_xor_b64 s[34:35], exec, s[28:29]
	s_cbranch_execz .LBB6_18116
; %bb.18107:                            ;   in Loop: Header=BB6_16537 Depth=3
	v_mov_b32_e32 v28, 0
	v_cmp_ne_u32_e32 vcc, 0, v25
	buffer_store_dword v28, off, s[0:3], s33 offset:164 ; 4-byte Folded Spill
	s_and_saveexec_b64 s[36:37], vcc
	s_cbranch_execz .LBB6_18115
; %bb.18108:                            ;   in Loop: Header=BB6_16537 Depth=3
	v_and_b32_e32 v28, 0x7fffff, v25
	v_bfe_u32 v25, v25, 23, 8
	v_cmp_gt_u32_e64 s[28:29], s97, v25
	v_sub_u32_e32 v29, 0x79, v25
	v_cmp_eq_u32_e32 vcc, 0, v25
	v_cndmask_b32_e64 v29, 0, v29, s[28:29]
	v_mov_b32_e32 v32, 0x78
	v_or_b32_e32 v33, 0x800000, v28
	v_cndmask_b32_e32 v32, v29, v32, vcc
	v_cndmask_b32_e32 v28, v33, v28, vcc
	v_add_u32_e32 v33, 20, v32
	v_lshlrev_b64 v[48:49], v33, -1
	v_mov_b32_e32 v29, v51
	v_add_u32_e32 v33, 19, v32
	v_bfi_b32 v48, v48, 0, v28
	v_lshlrev_b64 v[52:53], v33, 1
	v_lshrrev_b64 v[28:29], v32, v[28:29]
	v_bfi_b32 v49, v49, 0, 0
	v_cmp_eq_u64_e64 s[28:29], v[48:49], v[52:53]
	v_mov_b32_e32 v53, v29
	v_mov_b32_e32 v52, v28
	s_and_saveexec_b64 s[38:39], s[28:29]
; %bb.18109:                            ;   in Loop: Header=BB6_16537 Depth=3
	v_bfe_u32 v29, v28, 20, 1
	v_add_co_u32_e64 v29, s[28:29], v28, v29
	v_add_co_u32_e64 v52, s[28:29], -1, v29
; %bb.18110:                            ;   in Loop: Header=BB6_16537 Depth=3
	s_or_b64 exec, exec, s[38:39]
	v_add_u32_e32 v25, 0xffffff81, v25
	v_mov_b32_e32 v29, 0xffffff82
	v_cndmask_b32_e32 v25, v25, v29, vcc
	v_lshrrev_b32_e32 v29, 23, v28
	v_add3_u32 v35, v32, v25, v29
	v_add_u32_e32 v32, 6, v35
	v_and_b32_e32 v25, 0xfffff, v52
	v_add_u32_e32 v28, v25, v28
	v_mov_b32_e32 v29, v51
	v_cmp_ne_u32_e32 vcc, 0, v32
                                        ; implicit-def: $vgpr25
	s_and_saveexec_b64 s[28:29], vcc
	s_xor_b64 s[28:29], exec, s[28:29]
; %bb.18111:                            ;   in Loop: Header=BB6_16537 Depth=3
	v_cmp_lt_u64_e32 vcc, s[88:89], v[28:29]
	v_add_u32_e32 v25, 7, v35
	v_cndmask_b32_e32 v25, v32, v25, vcc
	v_cndmask_b32_e64 v32, 0, 1, vcc
	v_lshrrev_b64 v[28:29], v32, v[28:29]
; %bb.18112:                            ;   in Loop: Header=BB6_16537 Depth=3
	s_andn2_saveexec_b64 s[28:29], s[28:29]
; %bb.18113:                            ;   in Loop: Header=BB6_16537 Depth=3
	v_bfe_u32 v25, v28, 23, 1
; %bb.18114:                            ;   in Loop: Header=BB6_16537 Depth=3
	s_or_b64 exec, exec, s[28:29]
	v_lshrrev_b64 v[28:29], 20, v[28:29]
	v_cmp_gt_i32_e32 vcc, 16, v25
	v_cndmask_b32_e32 v29, 0, v29, vcc
	v_cndmask_b32_e32 v28, 7, v28, vcc
	v_cmp_eq_u32_e32 vcc, 0, v25
	v_min_i32_e32 v25, 15, v25
	v_cmp_eq_u64_e64 s[28:29], 0, v[28:29]
	v_lshlrev_b32_e32 v25, 3, v25
	v_and_b32_e32 v25, 0xf8, v25
	v_and_or_b32 v25, v28, 7, v25
	s_and_b64 s[28:29], vcc, s[28:29]
	v_cndmask_b32_e64 v25, v25, 0, s[28:29]
	v_or_b32_e32 v5, v25, v5
	buffer_store_dword v5, off, s[0:3], s33 offset:164 ; 4-byte Folded Spill
.LBB6_18115:                            ;   in Loop: Header=BB6_16537 Depth=3
	s_or_b64 exec, exec, s[36:37]
                                        ; implicit-def: $vgpr5
.LBB6_18116:                            ;   in Loop: Header=BB6_16537 Depth=3
	s_andn2_saveexec_b64 s[28:29], s[34:35]
	s_cbranch_execz .LBB6_18118
; %bb.18117:                            ;   in Loop: Header=BB6_16537 Depth=3
	v_or_b32_e32 v5, 0x7e, v5
	buffer_store_dword v5, off, s[0:3], s33 offset:164 ; 4-byte Folded Spill
.LBB6_18118:                            ;   in Loop: Header=BB6_16537 Depth=3
	s_or_b64 exec, exec, s[28:29]
                                        ; implicit-def: $vgpr25
.LBB6_18119:                            ;   in Loop: Header=BB6_16537 Depth=3
	s_andn2_saveexec_b64 s[28:29], s[30:31]
	s_cbranch_execz .LBB6_18121
; %bb.18120:                            ;   in Loop: Header=BB6_16537 Depth=3
	v_or_b32_sdwa v5, v25, s86 dst_sel:DWORD dst_unused:UNUSED_PAD src0_sel:BYTE_3 src1_sel:DWORD
	buffer_store_dword v5, off, s[0:3], s33 offset:164 ; 4-byte Folded Spill
.LBB6_18121:                            ;   in Loop: Header=BB6_16537 Depth=3
	s_or_b64 exec, exec, s[28:29]
	v_lshrrev_b32_e32 v25, 16, v24
	v_cmp_ne_u16_sdwa vcc, v25, v51 src0_sel:BYTE_0 src1_sel:DWORD
	v_mov_b32_e32 v5, 0
	v_mov_b32_e32 v28, 0
	s_and_saveexec_b64 s[28:29], vcc
	s_cbranch_execz .LBB6_18127
; %bb.18122:                            ;   in Loop: Header=BB6_16537 Depth=3
	v_cmp_ne_u16_sdwa vcc, v25, s96 src0_sel:BYTE_0 src1_sel:DWORD
	v_bfrev_b32_e32 v28, 1
	s_and_saveexec_b64 s[30:31], vcc
	s_cbranch_execz .LBB6_18126
; %bb.18123:                            ;   in Loop: Header=BB6_16537 Depth=3
	v_bfe_u32 v29, v24, 16, 7
	v_cmp_ne_u32_e32 vcc, s86, v29
	v_mov_b32_e32 v28, 0x7f800001
	s_and_saveexec_b64 s[34:35], vcc
	s_cbranch_execz .LBB6_18125
; %bb.18124:                            ;   in Loop: Header=BB6_16537 Depth=3
	v_and_b32_e32 v32, 7, v25
	v_ffbh_u32_e32 v28, v32
	v_min_u32_e32 v35, 32, v28
	v_subrev_u32_e32 v28, 28, v35
	v_lshrrev_b32_e32 v33, 3, v29
	v_cmp_gt_u32_e32 vcc, 8, v29
	v_lshlrev_b64 v[28:29], v28, v[25:26]
	v_sub_u32_e32 v29, 29, v35
	v_and_b32_e32 v28, 7, v28
	v_cndmask_b32_e32 v29, v33, v29, vcc
	v_cndmask_b32_e32 v28, v32, v28, vcc
	v_lshlrev_b32_e32 v25, 24, v25
	v_bfrev_b32_e32 v32, 60
	v_lshlrev_b32_e32 v28, 20, v28
	v_and_b32_e32 v25, 0x80000000, v25
	v_lshl_add_u32 v29, v29, 23, v32
	v_or3_b32 v28, v25, v29, v28
.LBB6_18125:                            ;   in Loop: Header=BB6_16537 Depth=3
	s_or_b64 exec, exec, s[34:35]
.LBB6_18126:                            ;   in Loop: Header=BB6_16537 Depth=3
	s_or_b64 exec, exec, s[30:31]
.LBB6_18127:                            ;   in Loop: Header=BB6_16537 Depth=3
	s_or_b64 exec, exec, s[28:29]
	v_lshrrev_b32_e32 v25, 16, v21
	v_cmp_ne_u16_sdwa vcc, v25, v51 src0_sel:BYTE_0 src1_sel:DWORD
	s_and_saveexec_b64 s[28:29], vcc
	s_cbranch_execz .LBB6_18133
; %bb.18128:                            ;   in Loop: Header=BB6_16537 Depth=3
	v_cmp_ne_u16_sdwa vcc, v25, s96 src0_sel:BYTE_0 src1_sel:DWORD
	v_bfrev_b32_e32 v5, 1
	s_and_saveexec_b64 s[30:31], vcc
	s_cbranch_execz .LBB6_18132
; %bb.18129:                            ;   in Loop: Header=BB6_16537 Depth=3
	v_bfe_u32 v29, v21, 16, 7
	v_cmp_ne_u32_e32 vcc, s86, v29
	v_mov_b32_e32 v5, 0x7f800001
	s_and_saveexec_b64 s[34:35], vcc
	s_cbranch_execz .LBB6_18131
; %bb.18130:                            ;   in Loop: Header=BB6_16537 Depth=3
	v_and_b32_e32 v5, 7, v25
	v_lshrrev_b32_e32 v35, 3, v29
	v_cmp_gt_u32_e32 vcc, 8, v29
	v_ffbh_u32_e32 v29, v5
	v_min_u32_e32 v29, 32, v29
	v_subrev_u32_e32 v32, 28, v29
	v_lshlrev_b64 v[32:33], v32, v[25:26]
	v_sub_u32_e32 v25, 29, v29
	v_and_b32_e32 v29, 7, v32
	v_cndmask_b32_e32 v25, v35, v25, vcc
	v_cndmask_b32_e32 v5, v5, v29, vcc
	v_lshlrev_b32_e32 v29, 8, v21
	v_bfrev_b32_e32 v32, 60
	v_lshlrev_b32_e32 v5, 20, v5
	v_and_b32_e32 v29, 0x80000000, v29
	v_lshl_add_u32 v25, v25, 23, v32
	v_or3_b32 v5, v29, v25, v5
.LBB6_18131:                            ;   in Loop: Header=BB6_16537 Depth=3
	s_or_b64 exec, exec, s[34:35]
.LBB6_18132:                            ;   in Loop: Header=BB6_16537 Depth=3
	s_or_b64 exec, exec, s[30:31]
.LBB6_18133:                            ;   in Loop: Header=BB6_16537 Depth=3
	s_or_b64 exec, exec, s[28:29]
	v_add_f32_e32 v25, v28, v5
	v_and_b32_e32 v28, 0x7f800000, v25
	v_mov_b32_e32 v29, v51
	v_cmp_ne_u64_e32 vcc, s[76:77], v[28:29]
                                        ; implicit-def: $vgpr5
                                        ; kill: killed $vgpr5
	s_and_saveexec_b64 s[28:29], vcc
	s_xor_b64 s[30:31], exec, s[28:29]
	s_cbranch_execz .LBB6_18147
; %bb.18134:                            ;   in Loop: Header=BB6_16537 Depth=3
	v_and_b32_e32 v28, 0x7fffffff, v25
	v_mov_b32_e32 v29, v51
	v_cmp_gt_u64_e32 vcc, s[78:79], v[28:29]
	v_and_b32_sdwa v5, v25, s96 dst_sel:DWORD dst_unused:UNUSED_PAD src0_sel:BYTE_3 src1_sel:DWORD
                                        ; implicit-def: $vgpr28
                                        ; kill: killed $vgpr28
	s_and_saveexec_b64 s[28:29], vcc
	s_xor_b64 s[34:35], exec, s[28:29]
	s_cbranch_execz .LBB6_18144
; %bb.18135:                            ;   in Loop: Header=BB6_16537 Depth=3
	v_mov_b32_e32 v28, 0
	v_cmp_ne_u32_e32 vcc, 0, v25
	buffer_store_dword v28, off, s[0:3], s33 offset:184 ; 4-byte Folded Spill
	s_and_saveexec_b64 s[36:37], vcc
	s_cbranch_execz .LBB6_18143
; %bb.18136:                            ;   in Loop: Header=BB6_16537 Depth=3
	v_and_b32_e32 v28, 0x7fffff, v25
	v_bfe_u32 v25, v25, 23, 8
	v_cmp_gt_u32_e64 s[28:29], s97, v25
	v_sub_u32_e32 v29, 0x79, v25
	v_cmp_eq_u32_e32 vcc, 0, v25
	v_cndmask_b32_e64 v29, 0, v29, s[28:29]
	v_mov_b32_e32 v32, 0x78
	v_or_b32_e32 v33, 0x800000, v28
	v_cndmask_b32_e32 v32, v29, v32, vcc
	v_cndmask_b32_e32 v28, v33, v28, vcc
	v_add_u32_e32 v33, 20, v32
	v_lshlrev_b64 v[48:49], v33, -1
	v_mov_b32_e32 v29, v51
	v_add_u32_e32 v33, 19, v32
	v_bfi_b32 v48, v48, 0, v28
	v_lshlrev_b64 v[52:53], v33, 1
	v_lshrrev_b64 v[28:29], v32, v[28:29]
	v_bfi_b32 v49, v49, 0, 0
	v_cmp_eq_u64_e64 s[28:29], v[48:49], v[52:53]
	v_mov_b32_e32 v53, v29
	v_mov_b32_e32 v52, v28
	s_and_saveexec_b64 s[38:39], s[28:29]
; %bb.18137:                            ;   in Loop: Header=BB6_16537 Depth=3
	v_bfe_u32 v29, v28, 20, 1
	v_add_co_u32_e64 v29, s[28:29], v28, v29
	v_add_co_u32_e64 v52, s[28:29], -1, v29
; %bb.18138:                            ;   in Loop: Header=BB6_16537 Depth=3
	s_or_b64 exec, exec, s[38:39]
	v_add_u32_e32 v25, 0xffffff81, v25
	v_mov_b32_e32 v29, 0xffffff82
	v_cndmask_b32_e32 v25, v25, v29, vcc
	v_lshrrev_b32_e32 v29, 23, v28
	v_add3_u32 v35, v32, v25, v29
	v_add_u32_e32 v32, 6, v35
	v_and_b32_e32 v25, 0xfffff, v52
	v_add_u32_e32 v28, v25, v28
	v_mov_b32_e32 v29, v51
	v_cmp_ne_u32_e32 vcc, 0, v32
                                        ; implicit-def: $vgpr25
	s_and_saveexec_b64 s[28:29], vcc
	s_xor_b64 s[28:29], exec, s[28:29]
; %bb.18139:                            ;   in Loop: Header=BB6_16537 Depth=3
	v_cmp_lt_u64_e32 vcc, s[88:89], v[28:29]
	v_add_u32_e32 v25, 7, v35
	v_cndmask_b32_e32 v25, v32, v25, vcc
	v_cndmask_b32_e64 v32, 0, 1, vcc
	v_lshrrev_b64 v[28:29], v32, v[28:29]
; %bb.18140:                            ;   in Loop: Header=BB6_16537 Depth=3
	s_andn2_saveexec_b64 s[28:29], s[28:29]
; %bb.18141:                            ;   in Loop: Header=BB6_16537 Depth=3
	v_bfe_u32 v25, v28, 23, 1
; %bb.18142:                            ;   in Loop: Header=BB6_16537 Depth=3
	s_or_b64 exec, exec, s[28:29]
	v_lshrrev_b64 v[28:29], 20, v[28:29]
	v_cmp_gt_i32_e32 vcc, 16, v25
	v_cndmask_b32_e32 v29, 0, v29, vcc
	v_cndmask_b32_e32 v28, 7, v28, vcc
	v_cmp_eq_u32_e32 vcc, 0, v25
	v_min_i32_e32 v25, 15, v25
	v_cmp_eq_u64_e64 s[28:29], 0, v[28:29]
	v_lshlrev_b32_e32 v25, 3, v25
	v_and_b32_e32 v25, 0xf8, v25
	v_and_or_b32 v25, v28, 7, v25
	s_and_b64 s[28:29], vcc, s[28:29]
	v_cndmask_b32_e64 v25, v25, 0, s[28:29]
	v_or_b32_e32 v5, v25, v5
	buffer_store_dword v5, off, s[0:3], s33 offset:184 ; 4-byte Folded Spill
.LBB6_18143:                            ;   in Loop: Header=BB6_16537 Depth=3
	s_or_b64 exec, exec, s[36:37]
                                        ; implicit-def: $vgpr5
.LBB6_18144:                            ;   in Loop: Header=BB6_16537 Depth=3
	s_andn2_saveexec_b64 s[28:29], s[34:35]
	s_cbranch_execz .LBB6_18146
; %bb.18145:                            ;   in Loop: Header=BB6_16537 Depth=3
	v_or_b32_e32 v5, 0x7e, v5
	buffer_store_dword v5, off, s[0:3], s33 offset:184 ; 4-byte Folded Spill
.LBB6_18146:                            ;   in Loop: Header=BB6_16537 Depth=3
	s_or_b64 exec, exec, s[28:29]
                                        ; implicit-def: $vgpr25
.LBB6_18147:                            ;   in Loop: Header=BB6_16537 Depth=3
	s_andn2_saveexec_b64 s[28:29], s[30:31]
	s_cbranch_execz .LBB6_18149
; %bb.18148:                            ;   in Loop: Header=BB6_16537 Depth=3
	v_or_b32_sdwa v5, v25, s86 dst_sel:DWORD dst_unused:UNUSED_PAD src0_sel:BYTE_3 src1_sel:DWORD
	buffer_store_dword v5, off, s[0:3], s33 offset:184 ; 4-byte Folded Spill
.LBB6_18149:                            ;   in Loop: Header=BB6_16537 Depth=3
	s_or_b64 exec, exec, s[28:29]
	v_cmp_lt_u32_e32 vcc, s57, v24
	v_mov_b32_e32 v5, 0
	v_mov_b32_e32 v28, 0
	s_and_saveexec_b64 s[28:29], vcc
	s_cbranch_execz .LBB6_18155
; %bb.18150:                            ;   in Loop: Header=BB6_16537 Depth=3
	v_lshrrev_b32_e32 v25, 24, v24
	v_cmp_ne_u32_sdwa vcc, v24, s96 src0_sel:BYTE_3 src1_sel:DWORD
	v_bfrev_b32_e32 v28, 1
	s_and_saveexec_b64 s[30:31], vcc
	s_cbranch_execz .LBB6_18154
; %bb.18151:                            ;   in Loop: Header=BB6_16537 Depth=3
	v_bfe_u32 v29, v24, 24, 7
	v_cmp_ne_u32_e32 vcc, s86, v29
	v_mov_b32_e32 v28, 0x7f800001
	s_and_saveexec_b64 s[34:35], vcc
	s_cbranch_execz .LBB6_18153
; %bb.18152:                            ;   in Loop: Header=BB6_16537 Depth=3
	v_and_b32_e32 v32, 7, v25
	v_ffbh_u32_e32 v28, v32
	v_min_u32_e32 v35, 32, v28
	v_subrev_u32_e32 v28, 28, v35
	v_lshrrev_b32_e32 v33, 3, v29
	v_cmp_gt_u32_e32 vcc, 8, v29
	v_lshlrev_b64 v[28:29], v28, v[25:26]
	v_sub_u32_e32 v25, 29, v35
	v_and_b32_e32 v28, 7, v28
	v_mov_b32_e32 v29, 24
	v_cndmask_b32_e32 v25, v33, v25, vcc
	v_cndmask_b32_e32 v28, v32, v28, vcc
	v_lshlrev_b32_sdwa v24, v29, v24 dst_sel:DWORD dst_unused:UNUSED_PAD src0_sel:DWORD src1_sel:BYTE_3
	v_bfrev_b32_e32 v29, 60
	v_lshlrev_b32_e32 v28, 20, v28
	v_and_b32_e32 v24, 0x80000000, v24
	v_lshl_add_u32 v25, v25, 23, v29
	v_or3_b32 v28, v24, v25, v28
.LBB6_18153:                            ;   in Loop: Header=BB6_16537 Depth=3
	s_or_b64 exec, exec, s[34:35]
.LBB6_18154:                            ;   in Loop: Header=BB6_16537 Depth=3
	s_or_b64 exec, exec, s[30:31]
.LBB6_18155:                            ;   in Loop: Header=BB6_16537 Depth=3
	s_or_b64 exec, exec, s[28:29]
	v_cmp_lt_u64_e32 vcc, s[56:57], v[20:21]
	s_and_saveexec_b64 s[28:29], vcc
	s_cbranch_execz .LBB6_18161
; %bb.18156:                            ;   in Loop: Header=BB6_16537 Depth=3
	v_lshrrev_b32_e32 v20, 24, v21
	v_cmp_ne_u32_e32 vcc, s96, v20
	v_bfrev_b32_e32 v5, 1
	s_and_saveexec_b64 s[30:31], vcc
	s_cbranch_execz .LBB6_18160
; %bb.18157:                            ;   in Loop: Header=BB6_16537 Depth=3
	v_bfe_u32 v21, v21, 24, 7
	v_cmp_ne_u32_e32 vcc, s86, v21
	v_mov_b32_e32 v5, 0x7f800001
	s_and_saveexec_b64 s[34:35], vcc
	s_cbranch_execz .LBB6_18159
; %bb.18158:                            ;   in Loop: Header=BB6_16537 Depth=3
	v_and_b32_e32 v5, 7, v20
	v_lshrrev_b32_e32 v29, 3, v21
	v_cmp_gt_u32_e32 vcc, 8, v21
	v_ffbh_u32_e32 v21, v5
	v_min_u32_e32 v21, 32, v21
	v_subrev_u32_e32 v24, 28, v21
	v_lshlrev_b64 v[24:25], v24, v[20:21]
	v_sub_u32_e32 v21, 29, v21
	v_and_b32_e32 v24, 7, v24
	v_cndmask_b32_e32 v21, v29, v21, vcc
	v_cndmask_b32_e32 v5, v5, v24, vcc
	v_lshlrev_b32_e32 v20, 24, v20
	v_bfrev_b32_e32 v24, 60
	v_lshlrev_b32_e32 v5, 20, v5
	v_and_b32_e32 v20, 0x80000000, v20
	v_lshl_add_u32 v21, v21, 23, v24
	v_or3_b32 v5, v20, v21, v5
.LBB6_18159:                            ;   in Loop: Header=BB6_16537 Depth=3
	s_or_b64 exec, exec, s[34:35]
.LBB6_18160:                            ;   in Loop: Header=BB6_16537 Depth=3
	s_or_b64 exec, exec, s[30:31]
.LBB6_18161:                            ;   in Loop: Header=BB6_16537 Depth=3
	s_or_b64 exec, exec, s[28:29]
	v_add_f32_e32 v20, v28, v5
	v_and_b32_e32 v24, 0x7f800000, v20
	v_mov_b32_e32 v25, v51
	v_cmp_ne_u64_e32 vcc, s[76:77], v[24:25]
                                        ; implicit-def: $vgpr31
	s_and_saveexec_b64 s[28:29], vcc
	s_xor_b64 s[30:31], exec, s[28:29]
	s_cbranch_execz .LBB6_18175
; %bb.18162:                            ;   in Loop: Header=BB6_16537 Depth=3
	v_and_b32_e32 v24, 0x7fffffff, v20
	v_mov_b32_e32 v25, v51
	v_cmp_gt_u64_e32 vcc, s[78:79], v[24:25]
	v_and_b32_sdwa v5, v20, s96 dst_sel:DWORD dst_unused:UNUSED_PAD src0_sel:BYTE_3 src1_sel:DWORD
                                        ; implicit-def: $vgpr31
	s_and_saveexec_b64 s[28:29], vcc
	s_xor_b64 s[34:35], exec, s[28:29]
	s_cbranch_execz .LBB6_18172
; %bb.18163:                            ;   in Loop: Header=BB6_16537 Depth=3
	v_mov_b32_e32 v31, 0
	v_cmp_ne_u32_e32 vcc, 0, v20
	s_and_saveexec_b64 s[36:37], vcc
	s_cbranch_execz .LBB6_18171
; %bb.18164:                            ;   in Loop: Header=BB6_16537 Depth=3
	v_bfe_u32 v28, v20, 23, 8
	v_and_b32_e32 v21, 0x7fffff, v20
	v_cmp_gt_u32_e64 s[28:29], s97, v28
	v_sub_u32_e32 v20, 0x79, v28
	v_cmp_eq_u32_e32 vcc, 0, v28
	v_cndmask_b32_e64 v20, 0, v20, s[28:29]
	v_mov_b32_e32 v25, 0x78
	v_or_b32_e32 v24, 0x800000, v21
	v_cndmask_b32_e32 v29, v20, v25, vcc
	v_cndmask_b32_e32 v20, v24, v21, vcc
	v_add_u32_e32 v24, 20, v29
	v_lshlrev_b64 v[24:25], v24, -1
	v_mov_b32_e32 v21, v51
	v_add_u32_e32 v32, 19, v29
	v_bfi_b32 v24, v24, 0, v20
	v_lshlrev_b64 v[32:33], v32, 1
	v_lshrrev_b64 v[20:21], v29, v[20:21]
	v_bfi_b32 v25, v25, 0, 0
	v_cmp_eq_u64_e64 s[28:29], v[24:25], v[32:33]
	v_mov_b32_e32 v25, v21
	v_mov_b32_e32 v24, v20
	s_and_saveexec_b64 s[38:39], s[28:29]
; %bb.18165:                            ;   in Loop: Header=BB6_16537 Depth=3
	v_bfe_u32 v21, v20, 20, 1
	v_add_co_u32_e64 v21, s[28:29], v20, v21
	v_add_co_u32_e64 v24, s[28:29], -1, v21
; %bb.18166:                            ;   in Loop: Header=BB6_16537 Depth=3
	s_or_b64 exec, exec, s[38:39]
	v_add_u32_e32 v21, 0xffffff81, v28
	v_mov_b32_e32 v25, 0xffffff82
	v_cndmask_b32_e32 v21, v21, v25, vcc
	v_lshrrev_b32_e32 v25, 23, v20
	v_add3_u32 v28, v29, v21, v25
	v_add_u32_e32 v25, 6, v28
	v_and_b32_e32 v21, 0xfffff, v24
	v_add_u32_e32 v20, v21, v20
	v_mov_b32_e32 v21, v51
	v_cmp_ne_u32_e32 vcc, 0, v25
                                        ; implicit-def: $vgpr24
	s_and_saveexec_b64 s[28:29], vcc
	s_xor_b64 s[28:29], exec, s[28:29]
; %bb.18167:                            ;   in Loop: Header=BB6_16537 Depth=3
	v_cmp_lt_u64_e32 vcc, s[88:89], v[20:21]
	v_add_u32_e32 v24, 7, v28
	v_cndmask_b32_e32 v24, v25, v24, vcc
	v_cndmask_b32_e64 v25, 0, 1, vcc
	v_lshrrev_b64 v[20:21], v25, v[20:21]
; %bb.18168:                            ;   in Loop: Header=BB6_16537 Depth=3
	s_andn2_saveexec_b64 s[28:29], s[28:29]
; %bb.18169:                            ;   in Loop: Header=BB6_16537 Depth=3
	v_bfe_u32 v24, v20, 23, 1
; %bb.18170:                            ;   in Loop: Header=BB6_16537 Depth=3
	s_or_b64 exec, exec, s[28:29]
	v_lshrrev_b64 v[20:21], 20, v[20:21]
	v_cmp_gt_i32_e32 vcc, 16, v24
	v_cndmask_b32_e32 v21, 0, v21, vcc
	v_cndmask_b32_e32 v20, 7, v20, vcc
	v_cmp_eq_u64_e64 s[28:29], 0, v[20:21]
	v_min_i32_e32 v21, 15, v24
	v_lshlrev_b32_e32 v21, 3, v21
	v_cmp_eq_u32_e32 vcc, 0, v24
	v_and_b32_e32 v21, 0xf8, v21
	v_and_or_b32 v20, v20, 7, v21
	s_and_b64 s[28:29], vcc, s[28:29]
	v_cndmask_b32_e64 v20, v20, 0, s[28:29]
	v_or_b32_e32 v31, v20, v5
.LBB6_18171:                            ;   in Loop: Header=BB6_16537 Depth=3
	s_or_b64 exec, exec, s[36:37]
                                        ; implicit-def: $vgpr5
.LBB6_18172:                            ;   in Loop: Header=BB6_16537 Depth=3
	s_andn2_saveexec_b64 s[28:29], s[34:35]
; %bb.18173:                            ;   in Loop: Header=BB6_16537 Depth=3
	v_or_b32_e32 v31, 0x7e, v5
; %bb.18174:                            ;   in Loop: Header=BB6_16537 Depth=3
	s_or_b64 exec, exec, s[28:29]
                                        ; implicit-def: $vgpr20
.LBB6_18175:                            ;   in Loop: Header=BB6_16537 Depth=3
	s_andn2_saveexec_b64 s[28:29], s[30:31]
; %bb.18176:                            ;   in Loop: Header=BB6_16537 Depth=3
	v_or_b32_sdwa v31, v20, s86 dst_sel:DWORD dst_unused:UNUSED_PAD src0_sel:BYTE_3 src1_sel:DWORD
; %bb.18177:                            ;   in Loop: Header=BB6_16537 Depth=3
	s_or_b64 exec, exec, s[28:29]
	v_lshl_or_b32 v5, v41, 8, v38
	v_lshlrev_b32_e32 v3, 16, v3
	v_lshlrev_b32_e32 v20, 24, v37
	v_or3_b32 v20, v3, v20, v5
	v_mov_b32_e32 v21, v51
	v_cmp_ne_u32_e32 vcc, 0, v38
	v_mov_b32_e32 v3, 0
	v_mov_b32_e32 v24, 0
	s_and_saveexec_b64 s[28:29], vcc
	s_cbranch_execz .LBB6_18183
; %bb.18178:                            ;   in Loop: Header=BB6_16537 Depth=3
	v_cmp_ne_u32_e32 vcc, s96, v38
	v_bfrev_b32_e32 v24, 1
	s_and_saveexec_b64 s[30:31], vcc
	s_cbranch_execz .LBB6_18182
; %bb.18179:                            ;   in Loop: Header=BB6_16537 Depth=3
	v_and_b32_e32 v25, 0x7f, v38
	v_cmp_ne_u32_e32 vcc, s86, v25
	v_mov_b32_e32 v24, 0x7f800001
	s_and_saveexec_b64 s[34:35], vcc
	s_cbranch_execz .LBB6_18181
; %bb.18180:                            ;   in Loop: Header=BB6_16537 Depth=3
	v_and_b32_e32 v24, 7, v38
	v_ffbh_u32_e32 v24, v24
	v_min_u32_e32 v24, 32, v24
	v_lshrrev_b32_e32 v28, 3, v25
	v_cmp_gt_u32_e32 vcc, 8, v25
	v_subrev_u32_e32 v25, 28, v24
	v_sub_u32_e32 v24, 29, v24
	v_cndmask_b32_e32 v28, v28, v24, vcc
	v_cndmask_b32_e32 v24, 0, v25, vcc
	v_lshlrev_b64 v[24:25], v24, v[20:21]
	v_bfrev_b32_e32 v25, 60
	v_lshlrev_b32_e32 v21, 20, v24
	v_lshlrev_b32_e32 v24, 24, v20
	v_and_b32_e32 v21, 0x700000, v21
	v_and_b32_e32 v24, 0x80000000, v24
	v_lshl_add_u32 v25, v28, 23, v25
	v_or3_b32 v24, v24, v25, v21
.LBB6_18181:                            ;   in Loop: Header=BB6_16537 Depth=3
	s_or_b64 exec, exec, s[34:35]
.LBB6_18182:                            ;   in Loop: Header=BB6_16537 Depth=3
	s_or_b64 exec, exec, s[30:31]
.LBB6_18183:                            ;   in Loop: Header=BB6_16537 Depth=3
	s_or_b64 exec, exec, s[28:29]
	v_cmp_ne_u16_sdwa vcc, v22, v51 src0_sel:BYTE_0 src1_sel:DWORD
	s_and_saveexec_b64 s[28:29], vcc
	s_cbranch_execz .LBB6_18189
; %bb.18184:                            ;   in Loop: Header=BB6_16537 Depth=3
	v_cmp_ne_u16_sdwa vcc, v22, s96 src0_sel:BYTE_0 src1_sel:DWORD
	v_bfrev_b32_e32 v3, 1
	s_and_saveexec_b64 s[30:31], vcc
	s_cbranch_execz .LBB6_18188
; %bb.18185:                            ;   in Loop: Header=BB6_16537 Depth=3
	v_and_b32_e32 v21, 0x7f, v22
	v_cmp_ne_u32_e32 vcc, s86, v21
	v_mov_b32_e32 v3, 0x7f800001
	s_and_saveexec_b64 s[34:35], vcc
	s_cbranch_execz .LBB6_18187
; %bb.18186:                            ;   in Loop: Header=BB6_16537 Depth=3
	v_and_b32_e32 v3, 7, v22
	v_ffbh_u32_e32 v3, v3
	v_min_u32_e32 v3, 32, v3
	v_lshrrev_b32_e32 v25, 3, v21
	v_cmp_gt_u32_e32 vcc, 8, v21
	v_subrev_u32_e32 v21, 28, v3
	v_cndmask_b32_e32 v21, 0, v21, vcc
	v_lshlrev_b64 v[28:29], v21, v[22:23]
	v_sub_u32_e32 v3, 29, v3
	v_cndmask_b32_e32 v3, v25, v3, vcc
	v_lshlrev_b32_e32 v21, 20, v28
	v_lshlrev_b32_e32 v25, 24, v22
	v_bfrev_b32_e32 v28, 60
	v_and_b32_e32 v21, 0x700000, v21
	v_and_b32_e32 v25, 0x80000000, v25
	v_lshl_add_u32 v3, v3, 23, v28
	v_or3_b32 v3, v25, v3, v21
.LBB6_18187:                            ;   in Loop: Header=BB6_16537 Depth=3
	s_or_b64 exec, exec, s[34:35]
.LBB6_18188:                            ;   in Loop: Header=BB6_16537 Depth=3
	s_or_b64 exec, exec, s[30:31]
.LBB6_18189:                            ;   in Loop: Header=BB6_16537 Depth=3
	s_or_b64 exec, exec, s[28:29]
	v_add_f32_e32 v21, v24, v3
	v_and_b32_e32 v24, 0x7f800000, v21
	v_mov_b32_e32 v25, v51
	v_cmp_ne_u64_e32 vcc, s[76:77], v[24:25]
                                        ; implicit-def: $vgpr3
                                        ; kill: killed $vgpr3
	s_and_saveexec_b64 s[28:29], vcc
	s_xor_b64 s[30:31], exec, s[28:29]
	s_cbranch_execz .LBB6_18203
; %bb.18190:                            ;   in Loop: Header=BB6_16537 Depth=3
	v_and_b32_e32 v24, 0x7fffffff, v21
	v_mov_b32_e32 v25, v51
	v_cmp_gt_u64_e32 vcc, s[78:79], v[24:25]
	v_and_b32_sdwa v3, v21, s96 dst_sel:DWORD dst_unused:UNUSED_PAD src0_sel:BYTE_3 src1_sel:DWORD
                                        ; implicit-def: $vgpr24
                                        ; kill: killed $vgpr24
	s_and_saveexec_b64 s[28:29], vcc
	s_xor_b64 s[34:35], exec, s[28:29]
	s_cbranch_execz .LBB6_18200
; %bb.18191:                            ;   in Loop: Header=BB6_16537 Depth=3
	v_mov_b32_e32 v24, 0
	v_cmp_ne_u32_e32 vcc, 0, v21
	buffer_store_dword v24, off, s[0:3], s33 offset:216 ; 4-byte Folded Spill
	s_and_saveexec_b64 s[36:37], vcc
	s_cbranch_execz .LBB6_18199
; %bb.18192:                            ;   in Loop: Header=BB6_16537 Depth=3
	v_and_b32_e32 v24, 0x7fffff, v21
	v_bfe_u32 v21, v21, 23, 8
	v_cmp_gt_u32_e64 s[28:29], s97, v21
	v_sub_u32_e32 v25, 0x79, v21
	v_cmp_eq_u32_e32 vcc, 0, v21
	v_cndmask_b32_e64 v25, 0, v25, s[28:29]
	v_mov_b32_e32 v29, 0x78
	v_or_b32_e32 v28, 0x800000, v24
	v_cndmask_b32_e32 v32, v25, v29, vcc
	v_cndmask_b32_e32 v24, v28, v24, vcc
	v_add_u32_e32 v28, 20, v32
	v_lshlrev_b64 v[28:29], v28, -1
	v_mov_b32_e32 v25, v51
	v_add_u32_e32 v33, 19, v32
	v_bfi_b32 v28, v28, 0, v24
	v_lshlrev_b64 v[37:38], v33, 1
	v_lshrrev_b64 v[24:25], v32, v[24:25]
	v_bfi_b32 v29, v29, 0, 0
	v_cmp_eq_u64_e64 s[28:29], v[28:29], v[37:38]
	v_mov_b32_e32 v29, v25
	v_mov_b32_e32 v28, v24
	s_and_saveexec_b64 s[38:39], s[28:29]
; %bb.18193:                            ;   in Loop: Header=BB6_16537 Depth=3
	v_bfe_u32 v25, v24, 20, 1
	v_add_co_u32_e64 v25, s[28:29], v24, v25
	v_add_co_u32_e64 v28, s[28:29], -1, v25
; %bb.18194:                            ;   in Loop: Header=BB6_16537 Depth=3
	s_or_b64 exec, exec, s[38:39]
	v_add_u32_e32 v21, 0xffffff81, v21
	v_mov_b32_e32 v25, 0xffffff82
	v_cndmask_b32_e32 v21, v21, v25, vcc
	v_lshrrev_b32_e32 v25, 23, v24
	v_add3_u32 v32, v32, v21, v25
	v_add_u32_e32 v29, 6, v32
	v_and_b32_e32 v21, 0xfffff, v28
	v_add_u32_e32 v24, v21, v24
	v_mov_b32_e32 v25, v51
	v_cmp_ne_u32_e32 vcc, 0, v29
                                        ; implicit-def: $vgpr21
	s_and_saveexec_b64 s[28:29], vcc
	s_xor_b64 s[28:29], exec, s[28:29]
; %bb.18195:                            ;   in Loop: Header=BB6_16537 Depth=3
	v_cmp_lt_u64_e32 vcc, s[88:89], v[24:25]
	v_add_u32_e32 v21, 7, v32
	v_cndmask_b32_e64 v28, 0, 1, vcc
	v_cndmask_b32_e32 v21, v29, v21, vcc
	v_lshrrev_b64 v[24:25], v28, v[24:25]
; %bb.18196:                            ;   in Loop: Header=BB6_16537 Depth=3
	s_andn2_saveexec_b64 s[28:29], s[28:29]
; %bb.18197:                            ;   in Loop: Header=BB6_16537 Depth=3
	v_bfe_u32 v21, v24, 23, 1
; %bb.18198:                            ;   in Loop: Header=BB6_16537 Depth=3
	s_or_b64 exec, exec, s[28:29]
	v_lshrrev_b64 v[24:25], 20, v[24:25]
	v_cmp_gt_i32_e32 vcc, 16, v21
	v_cndmask_b32_e32 v25, 0, v25, vcc
	v_cndmask_b32_e32 v24, 7, v24, vcc
	v_cmp_eq_u32_e32 vcc, 0, v21
	v_min_i32_e32 v21, 15, v21
	v_cmp_eq_u64_e64 s[28:29], 0, v[24:25]
	v_lshlrev_b32_e32 v21, 3, v21
	v_and_b32_e32 v21, 0xf8, v21
	v_and_or_b32 v21, v24, 7, v21
	s_and_b64 s[28:29], vcc, s[28:29]
	v_cndmask_b32_e64 v21, v21, 0, s[28:29]
	v_or_b32_e32 v3, v21, v3
	buffer_store_dword v3, off, s[0:3], s33 offset:216 ; 4-byte Folded Spill
.LBB6_18199:                            ;   in Loop: Header=BB6_16537 Depth=3
	s_or_b64 exec, exec, s[36:37]
                                        ; implicit-def: $vgpr3
.LBB6_18200:                            ;   in Loop: Header=BB6_16537 Depth=3
	s_andn2_saveexec_b64 s[28:29], s[34:35]
	s_cbranch_execz .LBB6_18202
; %bb.18201:                            ;   in Loop: Header=BB6_16537 Depth=3
	v_or_b32_e32 v3, 0x7e, v3
	buffer_store_dword v3, off, s[0:3], s33 offset:216 ; 4-byte Folded Spill
.LBB6_18202:                            ;   in Loop: Header=BB6_16537 Depth=3
	s_or_b64 exec, exec, s[28:29]
                                        ; implicit-def: $vgpr21
.LBB6_18203:                            ;   in Loop: Header=BB6_16537 Depth=3
	s_andn2_saveexec_b64 s[28:29], s[30:31]
	s_cbranch_execz .LBB6_18205
; %bb.18204:                            ;   in Loop: Header=BB6_16537 Depth=3
	v_or_b32_sdwa v3, v21, s86 dst_sel:DWORD dst_unused:UNUSED_PAD src0_sel:BYTE_3 src1_sel:DWORD
	buffer_store_dword v3, off, s[0:3], s33 offset:216 ; 4-byte Folded Spill
.LBB6_18205:                            ;   in Loop: Header=BB6_16537 Depth=3
	s_or_b64 exec, exec, s[28:29]
	v_lshrrev_b16_e32 v21, 8, v5
	v_cmp_ne_u16_e32 vcc, 0, v21
	v_mov_b32_e32 v3, 0
	v_mov_b32_e32 v24, 0
	s_and_saveexec_b64 s[28:29], vcc
	s_cbranch_execz .LBB6_18211
; %bb.18206:                            ;   in Loop: Header=BB6_16537 Depth=3
	v_cmp_ne_u16_e32 vcc, s96, v21
	v_bfrev_b32_e32 v24, 1
	s_and_saveexec_b64 s[30:31], vcc
	s_cbranch_execz .LBB6_18210
; %bb.18207:                            ;   in Loop: Header=BB6_16537 Depth=3
	v_and_b32_e32 v25, 0x7f, v21
	v_cmp_ne_u32_e32 vcc, s86, v25
	v_mov_b32_e32 v24, 0x7f800001
	s_and_saveexec_b64 s[34:35], vcc
	s_cbranch_execz .LBB6_18209
; %bb.18208:                            ;   in Loop: Header=BB6_16537 Depth=3
	v_and_b32_e32 v28, 7, v21
	v_ffbh_u32_e32 v24, v28
	v_min_u32_e32 v32, 32, v24
	v_subrev_u32_e32 v24, 28, v32
	v_lshrrev_b32_e32 v29, 3, v25
	v_cmp_gt_u32_e32 vcc, 8, v25
	v_lshlrev_b64 v[24:25], v24, v[21:22]
	v_sub_u32_e32 v21, 29, v32
	v_and_b32_e32 v24, 7, v24
	v_cndmask_b32_e32 v21, v29, v21, vcc
	v_cndmask_b32_e32 v24, v28, v24, vcc
	v_lshlrev_b32_e32 v5, 16, v5
	v_bfrev_b32_e32 v25, 60
	v_lshlrev_b32_e32 v24, 20, v24
	v_and_b32_e32 v5, 0x80000000, v5
	v_lshl_add_u32 v21, v21, 23, v25
	v_or3_b32 v24, v5, v21, v24
.LBB6_18209:                            ;   in Loop: Header=BB6_16537 Depth=3
	s_or_b64 exec, exec, s[34:35]
.LBB6_18210:                            ;   in Loop: Header=BB6_16537 Depth=3
	s_or_b64 exec, exec, s[30:31]
.LBB6_18211:                            ;   in Loop: Header=BB6_16537 Depth=3
	s_or_b64 exec, exec, s[28:29]
	v_lshrrev_b16_e32 v21, 8, v22
	v_cmp_ne_u16_e32 vcc, 0, v21
	s_and_saveexec_b64 s[28:29], vcc
	s_cbranch_execz .LBB6_18217
; %bb.18212:                            ;   in Loop: Header=BB6_16537 Depth=3
	v_cmp_ne_u16_e32 vcc, s96, v21
	v_bfrev_b32_e32 v3, 1
	s_and_saveexec_b64 s[30:31], vcc
	s_cbranch_execz .LBB6_18216
; %bb.18213:                            ;   in Loop: Header=BB6_16537 Depth=3
	v_and_b32_e32 v5, 0x7f, v21
	v_cmp_ne_u32_e32 vcc, s86, v5
	v_mov_b32_e32 v3, 0x7f800001
	s_and_saveexec_b64 s[34:35], vcc
	s_cbranch_execz .LBB6_18215
; %bb.18214:                            ;   in Loop: Header=BB6_16537 Depth=3
	v_and_b32_e32 v3, 7, v21
	v_lshrrev_b32_e32 v25, 3, v5
	v_cmp_gt_u32_e32 vcc, 8, v5
	v_ffbh_u32_e32 v5, v3
	v_min_u32_e32 v5, 32, v5
	v_subrev_u32_e32 v28, 28, v5
	v_lshlrev_b64 v[28:29], v28, v[21:22]
	v_sub_u32_e32 v5, 29, v5
	v_and_b32_e32 v21, 7, v28
	v_cndmask_b32_e32 v5, v25, v5, vcc
	v_cndmask_b32_e32 v3, v3, v21, vcc
	v_lshlrev_b32_e32 v21, 16, v22
	v_bfrev_b32_e32 v25, 60
	v_lshlrev_b32_e32 v3, 20, v3
	v_and_b32_e32 v21, 0x80000000, v21
	v_lshl_add_u32 v5, v5, 23, v25
	v_or3_b32 v3, v21, v5, v3
.LBB6_18215:                            ;   in Loop: Header=BB6_16537 Depth=3
	s_or_b64 exec, exec, s[34:35]
.LBB6_18216:                            ;   in Loop: Header=BB6_16537 Depth=3
	s_or_b64 exec, exec, s[30:31]
.LBB6_18217:                            ;   in Loop: Header=BB6_16537 Depth=3
	s_or_b64 exec, exec, s[28:29]
	v_add_f32_e32 v5, v24, v3
	v_and_b32_e32 v24, 0x7f800000, v5
	v_mov_b32_e32 v25, v51
	v_cmp_ne_u64_e32 vcc, s[76:77], v[24:25]
                                        ; implicit-def: $vgpr3
                                        ; kill: killed $vgpr3
	s_and_saveexec_b64 s[28:29], vcc
	s_xor_b64 s[30:31], exec, s[28:29]
	s_cbranch_execz .LBB6_18231
; %bb.18218:                            ;   in Loop: Header=BB6_16537 Depth=3
	v_and_b32_e32 v24, 0x7fffffff, v5
	v_mov_b32_e32 v25, v51
	v_cmp_gt_u64_e32 vcc, s[78:79], v[24:25]
	v_and_b32_sdwa v3, v5, s96 dst_sel:DWORD dst_unused:UNUSED_PAD src0_sel:BYTE_3 src1_sel:DWORD
                                        ; implicit-def: $vgpr21
                                        ; kill: killed $vgpr21
	s_and_saveexec_b64 s[28:29], vcc
	s_xor_b64 s[34:35], exec, s[28:29]
	s_cbranch_execz .LBB6_18228
; %bb.18219:                            ;   in Loop: Header=BB6_16537 Depth=3
	v_mov_b32_e32 v21, 0
	v_cmp_ne_u32_e32 vcc, 0, v5
	buffer_store_dword v21, off, s[0:3], s33 offset:236 ; 4-byte Folded Spill
	s_and_saveexec_b64 s[36:37], vcc
	s_cbranch_execz .LBB6_18227
; %bb.18220:                            ;   in Loop: Header=BB6_16537 Depth=3
	v_and_b32_e32 v24, 0x7fffff, v5
	v_bfe_u32 v5, v5, 23, 8
	v_cmp_gt_u32_e64 s[28:29], s97, v5
	v_sub_u32_e32 v21, 0x79, v5
	v_cmp_eq_u32_e32 vcc, 0, v5
	v_cndmask_b32_e64 v21, 0, v21, s[28:29]
	v_mov_b32_e32 v28, 0x78
	v_cndmask_b32_e32 v21, v21, v28, vcc
	v_add_u32_e32 v28, 20, v21
	v_or_b32_e32 v25, 0x800000, v24
	v_lshlrev_b64 v[28:29], v28, -1
	v_cndmask_b32_e32 v24, v25, v24, vcc
	v_mov_b32_e32 v25, v51
	v_add_u32_e32 v32, 19, v21
	v_bfi_b32 v28, v28, 0, v24
	v_lshlrev_b64 v[32:33], v32, 1
	v_lshrrev_b64 v[24:25], v21, v[24:25]
	v_bfi_b32 v29, v29, 0, 0
	v_cmp_eq_u64_e64 s[28:29], v[28:29], v[32:33]
	v_mov_b32_e32 v29, v25
	v_mov_b32_e32 v28, v24
	s_and_saveexec_b64 s[38:39], s[28:29]
; %bb.18221:                            ;   in Loop: Header=BB6_16537 Depth=3
	v_bfe_u32 v25, v24, 20, 1
	v_add_co_u32_e64 v25, s[28:29], v24, v25
	v_add_co_u32_e64 v28, s[28:29], -1, v25
; %bb.18222:                            ;   in Loop: Header=BB6_16537 Depth=3
	s_or_b64 exec, exec, s[38:39]
	v_add_u32_e32 v5, 0xffffff81, v5
	v_mov_b32_e32 v25, 0xffffff82
	v_cndmask_b32_e32 v5, v5, v25, vcc
	v_lshrrev_b32_e32 v25, 23, v24
	v_add3_u32 v29, v21, v5, v25
	v_add_u32_e32 v21, 6, v29
	v_and_b32_e32 v5, 0xfffff, v28
	v_add_u32_e32 v24, v5, v24
	v_mov_b32_e32 v25, v51
	v_cmp_ne_u32_e32 vcc, 0, v21
                                        ; implicit-def: $vgpr5
	s_and_saveexec_b64 s[28:29], vcc
	s_xor_b64 s[28:29], exec, s[28:29]
; %bb.18223:                            ;   in Loop: Header=BB6_16537 Depth=3
	v_cmp_lt_u64_e32 vcc, s[88:89], v[24:25]
	v_add_u32_e32 v5, 7, v29
	v_cndmask_b32_e32 v5, v21, v5, vcc
	v_cndmask_b32_e64 v21, 0, 1, vcc
	v_lshrrev_b64 v[24:25], v21, v[24:25]
; %bb.18224:                            ;   in Loop: Header=BB6_16537 Depth=3
	s_andn2_saveexec_b64 s[28:29], s[28:29]
; %bb.18225:                            ;   in Loop: Header=BB6_16537 Depth=3
	v_bfe_u32 v5, v24, 23, 1
; %bb.18226:                            ;   in Loop: Header=BB6_16537 Depth=3
	s_or_b64 exec, exec, s[28:29]
	v_lshrrev_b64 v[24:25], 20, v[24:25]
	v_cmp_gt_i32_e32 vcc, 16, v5
	v_cndmask_b32_e32 v25, 0, v25, vcc
	v_cndmask_b32_e32 v24, 7, v24, vcc
	v_cmp_eq_u32_e32 vcc, 0, v5
	v_min_i32_e32 v5, 15, v5
	v_cmp_eq_u64_e64 s[28:29], 0, v[24:25]
	v_lshlrev_b32_e32 v5, 3, v5
	v_and_b32_e32 v5, 0xf8, v5
	v_and_or_b32 v5, v24, 7, v5
	s_and_b64 s[28:29], vcc, s[28:29]
	v_cndmask_b32_e64 v5, v5, 0, s[28:29]
	v_or_b32_e32 v3, v5, v3
	buffer_store_dword v3, off, s[0:3], s33 offset:236 ; 4-byte Folded Spill
.LBB6_18227:                            ;   in Loop: Header=BB6_16537 Depth=3
	s_or_b64 exec, exec, s[36:37]
                                        ; implicit-def: $vgpr3
.LBB6_18228:                            ;   in Loop: Header=BB6_16537 Depth=3
	s_andn2_saveexec_b64 s[28:29], s[34:35]
	s_cbranch_execz .LBB6_18230
; %bb.18229:                            ;   in Loop: Header=BB6_16537 Depth=3
	v_or_b32_e32 v3, 0x7e, v3
	buffer_store_dword v3, off, s[0:3], s33 offset:236 ; 4-byte Folded Spill
.LBB6_18230:                            ;   in Loop: Header=BB6_16537 Depth=3
	s_or_b64 exec, exec, s[28:29]
                                        ; implicit-def: $vgpr5
.LBB6_18231:                            ;   in Loop: Header=BB6_16537 Depth=3
	s_andn2_saveexec_b64 s[28:29], s[30:31]
	s_cbranch_execz .LBB6_18233
; %bb.18232:                            ;   in Loop: Header=BB6_16537 Depth=3
	v_or_b32_sdwa v3, v5, s86 dst_sel:DWORD dst_unused:UNUSED_PAD src0_sel:BYTE_3 src1_sel:DWORD
	buffer_store_dword v3, off, s[0:3], s33 offset:236 ; 4-byte Folded Spill
.LBB6_18233:                            ;   in Loop: Header=BB6_16537 Depth=3
	s_or_b64 exec, exec, s[28:29]
	v_lshrrev_b32_e32 v21, 16, v20
	v_cmp_ne_u16_sdwa vcc, v21, v51 src0_sel:BYTE_0 src1_sel:DWORD
	v_mov_b32_e32 v3, 0
	v_mov_b32_e32 v5, 0
	s_and_saveexec_b64 s[28:29], vcc
	s_cbranch_execz .LBB6_18239
; %bb.18234:                            ;   in Loop: Header=BB6_16537 Depth=3
	v_cmp_ne_u16_sdwa vcc, v21, s96 src0_sel:BYTE_0 src1_sel:DWORD
	v_bfrev_b32_e32 v5, 1
	s_and_saveexec_b64 s[30:31], vcc
	s_cbranch_execz .LBB6_18238
; %bb.18235:                            ;   in Loop: Header=BB6_16537 Depth=3
	v_bfe_u32 v24, v20, 16, 7
	v_cmp_ne_u32_e32 vcc, s86, v24
	v_mov_b32_e32 v5, 0x7f800001
	s_and_saveexec_b64 s[34:35], vcc
	s_cbranch_execz .LBB6_18237
; %bb.18236:                            ;   in Loop: Header=BB6_16537 Depth=3
	v_and_b32_e32 v5, 7, v21
	v_lshrrev_b32_e32 v28, 3, v24
	v_cmp_gt_u32_e32 vcc, 8, v24
	v_ffbh_u32_e32 v24, v5
	v_min_u32_e32 v29, 32, v24
	v_subrev_u32_e32 v24, 28, v29
	v_lshlrev_b64 v[24:25], v24, v[21:22]
	v_sub_u32_e32 v25, 29, v29
	v_and_b32_e32 v24, 7, v24
	v_cndmask_b32_e32 v25, v28, v25, vcc
	v_cndmask_b32_e32 v5, v5, v24, vcc
	v_lshlrev_b32_e32 v21, 24, v21
	v_bfrev_b32_e32 v24, 60
	v_lshlrev_b32_e32 v5, 20, v5
	v_and_b32_e32 v21, 0x80000000, v21
	v_lshl_add_u32 v24, v25, 23, v24
	v_or3_b32 v5, v21, v24, v5
.LBB6_18237:                            ;   in Loop: Header=BB6_16537 Depth=3
	s_or_b64 exec, exec, s[34:35]
.LBB6_18238:                            ;   in Loop: Header=BB6_16537 Depth=3
	s_or_b64 exec, exec, s[30:31]
.LBB6_18239:                            ;   in Loop: Header=BB6_16537 Depth=3
	s_or_b64 exec, exec, s[28:29]
	v_lshrrev_b32_e32 v21, 16, v22
	v_cmp_ne_u16_sdwa vcc, v21, v51 src0_sel:BYTE_0 src1_sel:DWORD
	s_and_saveexec_b64 s[28:29], vcc
	s_cbranch_execz .LBB6_18245
; %bb.18240:                            ;   in Loop: Header=BB6_16537 Depth=3
	v_cmp_ne_u16_sdwa vcc, v21, s96 src0_sel:BYTE_0 src1_sel:DWORD
	v_bfrev_b32_e32 v3, 1
	s_and_saveexec_b64 s[30:31], vcc
	s_cbranch_execz .LBB6_18244
; %bb.18241:                            ;   in Loop: Header=BB6_16537 Depth=3
	v_bfe_u32 v24, v22, 16, 7
	v_cmp_ne_u32_e32 vcc, s86, v24
	v_mov_b32_e32 v3, 0x7f800001
	s_and_saveexec_b64 s[34:35], vcc
	s_cbranch_execz .LBB6_18243
; %bb.18242:                            ;   in Loop: Header=BB6_16537 Depth=3
	v_and_b32_e32 v3, 7, v21
	v_lshrrev_b32_e32 v28, 3, v24
	v_cmp_gt_u32_e32 vcc, 8, v24
	v_ffbh_u32_e32 v24, v3
	v_min_u32_e32 v29, 32, v24
	v_subrev_u32_e32 v24, 28, v29
	v_lshlrev_b64 v[24:25], v24, v[21:22]
	v_sub_u32_e32 v21, 29, v29
	v_and_b32_e32 v24, 7, v24
	v_cndmask_b32_e32 v21, v28, v21, vcc
	v_cndmask_b32_e32 v3, v3, v24, vcc
	v_lshlrev_b32_e32 v24, 8, v22
	v_bfrev_b32_e32 v25, 60
	v_lshlrev_b32_e32 v3, 20, v3
	v_and_b32_e32 v24, 0x80000000, v24
	v_lshl_add_u32 v21, v21, 23, v25
	v_or3_b32 v3, v24, v21, v3
.LBB6_18243:                            ;   in Loop: Header=BB6_16537 Depth=3
	s_or_b64 exec, exec, s[34:35]
.LBB6_18244:                            ;   in Loop: Header=BB6_16537 Depth=3
	s_or_b64 exec, exec, s[30:31]
.LBB6_18245:                            ;   in Loop: Header=BB6_16537 Depth=3
	s_or_b64 exec, exec, s[28:29]
	v_add_f32_e32 v5, v5, v3
	v_and_b32_e32 v24, 0x7f800000, v5
	v_mov_b32_e32 v25, v51
	v_cmp_ne_u64_e32 vcc, s[76:77], v[24:25]
                                        ; implicit-def: $vgpr3
                                        ; kill: killed $vgpr3
	s_and_saveexec_b64 s[28:29], vcc
	s_xor_b64 s[30:31], exec, s[28:29]
	s_cbranch_execz .LBB6_18259
; %bb.18246:                            ;   in Loop: Header=BB6_16537 Depth=3
	v_and_b32_e32 v24, 0x7fffffff, v5
	v_mov_b32_e32 v25, v51
	v_cmp_gt_u64_e32 vcc, s[78:79], v[24:25]
	v_and_b32_sdwa v3, v5, s96 dst_sel:DWORD dst_unused:UNUSED_PAD src0_sel:BYTE_3 src1_sel:DWORD
                                        ; implicit-def: $vgpr21
                                        ; kill: killed $vgpr21
	s_and_saveexec_b64 s[28:29], vcc
	s_xor_b64 s[34:35], exec, s[28:29]
	s_cbranch_execz .LBB6_18256
; %bb.18247:                            ;   in Loop: Header=BB6_16537 Depth=3
	v_mov_b32_e32 v21, 0
	v_cmp_ne_u32_e32 vcc, 0, v5
	buffer_store_dword v21, off, s[0:3], s33 offset:260 ; 4-byte Folded Spill
	s_and_saveexec_b64 s[36:37], vcc
	s_cbranch_execz .LBB6_18255
; %bb.18248:                            ;   in Loop: Header=BB6_16537 Depth=3
	v_and_b32_e32 v24, 0x7fffff, v5
	v_bfe_u32 v5, v5, 23, 8
	v_cmp_gt_u32_e64 s[28:29], s97, v5
	v_sub_u32_e32 v21, 0x79, v5
	v_cmp_eq_u32_e32 vcc, 0, v5
	v_cndmask_b32_e64 v21, 0, v21, s[28:29]
	v_mov_b32_e32 v28, 0x78
	v_cndmask_b32_e32 v21, v21, v28, vcc
	v_add_u32_e32 v28, 20, v21
	v_or_b32_e32 v25, 0x800000, v24
	v_lshlrev_b64 v[28:29], v28, -1
	v_cndmask_b32_e32 v24, v25, v24, vcc
	v_mov_b32_e32 v25, v51
	v_add_u32_e32 v32, 19, v21
	v_bfi_b32 v28, v28, 0, v24
	v_lshlrev_b64 v[32:33], v32, 1
	v_lshrrev_b64 v[24:25], v21, v[24:25]
	v_bfi_b32 v29, v29, 0, 0
	v_cmp_eq_u64_e64 s[28:29], v[28:29], v[32:33]
	v_mov_b32_e32 v29, v25
	v_mov_b32_e32 v28, v24
	s_and_saveexec_b64 s[38:39], s[28:29]
; %bb.18249:                            ;   in Loop: Header=BB6_16537 Depth=3
	v_bfe_u32 v25, v24, 20, 1
	v_add_co_u32_e64 v25, s[28:29], v24, v25
	v_add_co_u32_e64 v28, s[28:29], -1, v25
; %bb.18250:                            ;   in Loop: Header=BB6_16537 Depth=3
	s_or_b64 exec, exec, s[38:39]
	v_add_u32_e32 v5, 0xffffff81, v5
	v_mov_b32_e32 v25, 0xffffff82
	v_cndmask_b32_e32 v5, v5, v25, vcc
	v_lshrrev_b32_e32 v25, 23, v24
	v_add3_u32 v29, v21, v5, v25
	v_add_u32_e32 v21, 6, v29
	v_and_b32_e32 v5, 0xfffff, v28
	v_add_u32_e32 v24, v5, v24
	v_mov_b32_e32 v25, v51
	v_cmp_ne_u32_e32 vcc, 0, v21
                                        ; implicit-def: $vgpr5
	s_and_saveexec_b64 s[28:29], vcc
	s_xor_b64 s[28:29], exec, s[28:29]
; %bb.18251:                            ;   in Loop: Header=BB6_16537 Depth=3
	v_cmp_lt_u64_e32 vcc, s[88:89], v[24:25]
	v_add_u32_e32 v5, 7, v29
	v_cndmask_b32_e32 v5, v21, v5, vcc
	v_cndmask_b32_e64 v21, 0, 1, vcc
	v_lshrrev_b64 v[24:25], v21, v[24:25]
; %bb.18252:                            ;   in Loop: Header=BB6_16537 Depth=3
	s_andn2_saveexec_b64 s[28:29], s[28:29]
; %bb.18253:                            ;   in Loop: Header=BB6_16537 Depth=3
	v_bfe_u32 v5, v24, 23, 1
; %bb.18254:                            ;   in Loop: Header=BB6_16537 Depth=3
	s_or_b64 exec, exec, s[28:29]
	v_lshrrev_b64 v[24:25], 20, v[24:25]
	v_cmp_gt_i32_e32 vcc, 16, v5
	v_cndmask_b32_e32 v25, 0, v25, vcc
	v_cndmask_b32_e32 v24, 7, v24, vcc
	v_cmp_eq_u32_e32 vcc, 0, v5
	v_min_i32_e32 v5, 15, v5
	v_cmp_eq_u64_e64 s[28:29], 0, v[24:25]
	v_lshlrev_b32_e32 v5, 3, v5
	v_and_b32_e32 v5, 0xf8, v5
	v_and_or_b32 v5, v24, 7, v5
	s_and_b64 s[28:29], vcc, s[28:29]
	v_cndmask_b32_e64 v5, v5, 0, s[28:29]
	v_or_b32_e32 v3, v5, v3
	buffer_store_dword v3, off, s[0:3], s33 offset:260 ; 4-byte Folded Spill
.LBB6_18255:                            ;   in Loop: Header=BB6_16537 Depth=3
	s_or_b64 exec, exec, s[36:37]
                                        ; implicit-def: $vgpr3
.LBB6_18256:                            ;   in Loop: Header=BB6_16537 Depth=3
	s_andn2_saveexec_b64 s[28:29], s[34:35]
	s_cbranch_execz .LBB6_18258
; %bb.18257:                            ;   in Loop: Header=BB6_16537 Depth=3
	v_or_b32_e32 v3, 0x7e, v3
	buffer_store_dword v3, off, s[0:3], s33 offset:260 ; 4-byte Folded Spill
.LBB6_18258:                            ;   in Loop: Header=BB6_16537 Depth=3
	s_or_b64 exec, exec, s[28:29]
                                        ; implicit-def: $vgpr5
.LBB6_18259:                            ;   in Loop: Header=BB6_16537 Depth=3
	s_andn2_saveexec_b64 s[28:29], s[30:31]
	s_cbranch_execz .LBB6_18261
; %bb.18260:                            ;   in Loop: Header=BB6_16537 Depth=3
	v_or_b32_sdwa v3, v5, s86 dst_sel:DWORD dst_unused:UNUSED_PAD src0_sel:BYTE_3 src1_sel:DWORD
	buffer_store_dword v3, off, s[0:3], s33 offset:260 ; 4-byte Folded Spill
.LBB6_18261:                            ;   in Loop: Header=BB6_16537 Depth=3
	s_or_b64 exec, exec, s[28:29]
	v_cmp_lt_u32_e32 vcc, s57, v20
	v_mov_b32_e32 v3, 0
	v_mov_b32_e32 v5, 0
	s_and_saveexec_b64 s[28:29], vcc
	s_cbranch_execz .LBB6_18267
; %bb.18262:                            ;   in Loop: Header=BB6_16537 Depth=3
	v_lshrrev_b32_e32 v21, 24, v20
	v_cmp_ne_u32_sdwa vcc, v20, s96 src0_sel:BYTE_3 src1_sel:DWORD
	v_bfrev_b32_e32 v5, 1
	s_and_saveexec_b64 s[30:31], vcc
	s_cbranch_execz .LBB6_18266
; %bb.18263:                            ;   in Loop: Header=BB6_16537 Depth=3
	v_bfe_u32 v24, v20, 24, 7
	v_cmp_ne_u32_e32 vcc, s86, v24
	v_mov_b32_e32 v5, 0x7f800001
	s_and_saveexec_b64 s[34:35], vcc
	s_cbranch_execz .LBB6_18265
; %bb.18264:                            ;   in Loop: Header=BB6_16537 Depth=3
	v_and_b32_e32 v5, 7, v21
	v_lshrrev_b32_e32 v28, 3, v24
	v_cmp_gt_u32_e32 vcc, 8, v24
	v_ffbh_u32_e32 v24, v5
	v_min_u32_e32 v29, 32, v24
	v_subrev_u32_e32 v24, 28, v29
	v_lshlrev_b64 v[24:25], v24, v[21:22]
	v_sub_u32_e32 v21, 29, v29
	v_and_b32_e32 v24, 7, v24
	v_cndmask_b32_e32 v5, v5, v24, vcc
	v_mov_b32_e32 v24, 24
	v_cndmask_b32_e32 v21, v28, v21, vcc
	v_lshlrev_b32_sdwa v20, v24, v20 dst_sel:DWORD dst_unused:UNUSED_PAD src0_sel:DWORD src1_sel:BYTE_3
	v_bfrev_b32_e32 v24, 60
	v_lshlrev_b32_e32 v5, 20, v5
	v_and_b32_e32 v20, 0x80000000, v20
	v_lshl_add_u32 v21, v21, 23, v24
	v_or3_b32 v5, v20, v21, v5
.LBB6_18265:                            ;   in Loop: Header=BB6_16537 Depth=3
	s_or_b64 exec, exec, s[34:35]
.LBB6_18266:                            ;   in Loop: Header=BB6_16537 Depth=3
	s_or_b64 exec, exec, s[30:31]
.LBB6_18267:                            ;   in Loop: Header=BB6_16537 Depth=3
	s_or_b64 exec, exec, s[28:29]
	v_cmp_lt_u32_e32 vcc, s57, v22
	s_and_saveexec_b64 s[28:29], vcc
	s_cbranch_execz .LBB6_18273
; %bb.18268:                            ;   in Loop: Header=BB6_16537 Depth=3
	v_lshrrev_b32_e32 v20, 24, v22
	v_cmp_ne_u32_e32 vcc, s96, v20
	v_bfrev_b32_e32 v3, 1
	s_and_saveexec_b64 s[30:31], vcc
	s_cbranch_execz .LBB6_18272
; %bb.18269:                            ;   in Loop: Header=BB6_16537 Depth=3
	v_bfe_u32 v21, v22, 24, 7
	v_cmp_ne_u32_e32 vcc, s86, v21
	v_mov_b32_e32 v3, 0x7f800001
	s_and_saveexec_b64 s[34:35], vcc
	s_cbranch_execz .LBB6_18271
; %bb.18270:                            ;   in Loop: Header=BB6_16537 Depth=3
	v_and_b32_e32 v3, 7, v20
	v_lshrrev_b32_e32 v28, 3, v21
	v_cmp_gt_u32_e32 vcc, 8, v21
	v_ffbh_u32_e32 v21, v3
	v_min_u32_e32 v21, 32, v21
	v_subrev_u32_e32 v24, 28, v21
	v_lshlrev_b64 v[24:25], v24, v[20:21]
	v_sub_u32_e32 v21, 29, v21
	v_and_b32_e32 v24, 7, v24
	v_cndmask_b32_e32 v21, v28, v21, vcc
	v_cndmask_b32_e32 v3, v3, v24, vcc
	v_lshlrev_b32_e32 v20, 24, v20
	v_bfrev_b32_e32 v24, 60
	v_lshlrev_b32_e32 v3, 20, v3
	v_and_b32_e32 v20, 0x80000000, v20
	v_lshl_add_u32 v21, v21, 23, v24
	v_or3_b32 v3, v20, v21, v3
.LBB6_18271:                            ;   in Loop: Header=BB6_16537 Depth=3
	s_or_b64 exec, exec, s[34:35]
.LBB6_18272:                            ;   in Loop: Header=BB6_16537 Depth=3
	s_or_b64 exec, exec, s[30:31]
.LBB6_18273:                            ;   in Loop: Header=BB6_16537 Depth=3
	s_or_b64 exec, exec, s[28:29]
	v_add_f32_e32 v5, v5, v3
	v_and_b32_e32 v20, 0x7f800000, v5
	v_mov_b32_e32 v21, v51
	v_cmp_ne_u64_e32 vcc, s[76:77], v[20:21]
                                        ; implicit-def: $vgpr3
                                        ; kill: killed $vgpr3
	s_and_saveexec_b64 s[28:29], vcc
	s_xor_b64 s[30:31], exec, s[28:29]
	s_cbranch_execz .LBB6_18287
; %bb.18274:                            ;   in Loop: Header=BB6_16537 Depth=3
	v_and_b32_e32 v20, 0x7fffffff, v5
	v_mov_b32_e32 v21, v51
	v_cmp_gt_u64_e32 vcc, s[78:79], v[20:21]
	v_and_b32_sdwa v3, v5, s96 dst_sel:DWORD dst_unused:UNUSED_PAD src0_sel:BYTE_3 src1_sel:DWORD
                                        ; implicit-def: $vgpr20
                                        ; kill: killed $vgpr20
	s_and_saveexec_b64 s[28:29], vcc
	s_xor_b64 s[34:35], exec, s[28:29]
	s_cbranch_execz .LBB6_18284
; %bb.18275:                            ;   in Loop: Header=BB6_16537 Depth=3
	v_mov_b32_e32 v20, 0
	v_cmp_ne_u32_e32 vcc, 0, v5
	buffer_store_dword v20, off, s[0:3], s33 offset:272 ; 4-byte Folded Spill
	s_and_saveexec_b64 s[36:37], vcc
	s_cbranch_execz .LBB6_18283
; %bb.18276:                            ;   in Loop: Header=BB6_16537 Depth=3
	v_and_b32_e32 v20, 0x7fffff, v5
	v_bfe_u32 v5, v5, 23, 8
	v_cmp_gt_u32_e64 s[28:29], s97, v5
	v_sub_u32_e32 v21, 0x79, v5
	v_cmp_eq_u32_e32 vcc, 0, v5
	v_cndmask_b32_e64 v21, 0, v21, s[28:29]
	v_mov_b32_e32 v25, 0x78
	v_or_b32_e32 v24, 0x800000, v20
	v_cndmask_b32_e32 v28, v21, v25, vcc
	v_cndmask_b32_e32 v20, v24, v20, vcc
	v_add_u32_e32 v24, 20, v28
	v_lshlrev_b64 v[24:25], v24, -1
	v_mov_b32_e32 v21, v51
	v_add_u32_e32 v29, 19, v28
	v_bfi_b32 v24, v24, 0, v20
	v_lshlrev_b64 v[32:33], v29, 1
	v_lshrrev_b64 v[20:21], v28, v[20:21]
	v_bfi_b32 v25, v25, 0, 0
	v_cmp_eq_u64_e64 s[28:29], v[24:25], v[32:33]
	v_mov_b32_e32 v25, v21
	v_mov_b32_e32 v24, v20
	s_and_saveexec_b64 s[38:39], s[28:29]
; %bb.18277:                            ;   in Loop: Header=BB6_16537 Depth=3
	v_bfe_u32 v21, v20, 20, 1
	v_add_co_u32_e64 v21, s[28:29], v20, v21
	v_add_co_u32_e64 v24, s[28:29], -1, v21
; %bb.18278:                            ;   in Loop: Header=BB6_16537 Depth=3
	s_or_b64 exec, exec, s[38:39]
	v_add_u32_e32 v5, 0xffffff81, v5
	v_mov_b32_e32 v21, 0xffffff82
	v_cndmask_b32_e32 v5, v5, v21, vcc
	v_lshrrev_b32_e32 v21, 23, v20
	v_add3_u32 v28, v28, v5, v21
	v_add_u32_e32 v25, 6, v28
	v_and_b32_e32 v5, 0xfffff, v24
	v_add_u32_e32 v20, v5, v20
	v_mov_b32_e32 v21, v51
	v_cmp_ne_u32_e32 vcc, 0, v25
                                        ; implicit-def: $vgpr5
	s_and_saveexec_b64 s[28:29], vcc
	s_xor_b64 s[28:29], exec, s[28:29]
; %bb.18279:                            ;   in Loop: Header=BB6_16537 Depth=3
	v_cmp_lt_u64_e32 vcc, s[88:89], v[20:21]
	v_add_u32_e32 v5, 7, v28
	v_cndmask_b32_e64 v24, 0, 1, vcc
	v_cndmask_b32_e32 v5, v25, v5, vcc
	v_lshrrev_b64 v[20:21], v24, v[20:21]
; %bb.18280:                            ;   in Loop: Header=BB6_16537 Depth=3
	s_andn2_saveexec_b64 s[28:29], s[28:29]
; %bb.18281:                            ;   in Loop: Header=BB6_16537 Depth=3
	v_bfe_u32 v5, v20, 23, 1
; %bb.18282:                            ;   in Loop: Header=BB6_16537 Depth=3
	s_or_b64 exec, exec, s[28:29]
	v_lshrrev_b64 v[20:21], 20, v[20:21]
	v_cmp_gt_i32_e32 vcc, 16, v5
	v_cndmask_b32_e32 v21, 0, v21, vcc
	v_cndmask_b32_e32 v20, 7, v20, vcc
	v_cmp_eq_u32_e32 vcc, 0, v5
	v_min_i32_e32 v5, 15, v5
	v_cmp_eq_u64_e64 s[28:29], 0, v[20:21]
	v_lshlrev_b32_e32 v5, 3, v5
	v_and_b32_e32 v5, 0xf8, v5
	v_and_or_b32 v5, v20, 7, v5
	s_and_b64 s[28:29], vcc, s[28:29]
	v_cndmask_b32_e64 v5, v5, 0, s[28:29]
	v_or_b32_e32 v3, v5, v3
	buffer_store_dword v3, off, s[0:3], s33 offset:272 ; 4-byte Folded Spill
.LBB6_18283:                            ;   in Loop: Header=BB6_16537 Depth=3
	s_or_b64 exec, exec, s[36:37]
                                        ; implicit-def: $vgpr3
.LBB6_18284:                            ;   in Loop: Header=BB6_16537 Depth=3
	s_andn2_saveexec_b64 s[28:29], s[34:35]
	s_cbranch_execz .LBB6_18286
; %bb.18285:                            ;   in Loop: Header=BB6_16537 Depth=3
	v_or_b32_e32 v3, 0x7e, v3
	buffer_store_dword v3, off, s[0:3], s33 offset:272 ; 4-byte Folded Spill
.LBB6_18286:                            ;   in Loop: Header=BB6_16537 Depth=3
	s_or_b64 exec, exec, s[28:29]
                                        ; implicit-def: $vgpr5
.LBB6_18287:                            ;   in Loop: Header=BB6_16537 Depth=3
	s_andn2_saveexec_b64 s[28:29], s[30:31]
	s_cbranch_execz .LBB6_18289
; %bb.18288:                            ;   in Loop: Header=BB6_16537 Depth=3
	v_or_b32_sdwa v3, v5, s86 dst_sel:DWORD dst_unused:UNUSED_PAD src0_sel:BYTE_3 src1_sel:DWORD
	buffer_store_dword v3, off, s[0:3], s33 offset:272 ; 4-byte Folded Spill
.LBB6_18289:                            ;   in Loop: Header=BB6_16537 Depth=3
	s_or_b64 exec, exec, s[28:29]
	buffer_load_dword v3, off, s[0:3], s33 offset:264 ; 4-byte Folded Reload
	v_lshlrev_b32_e32 v5, 24, v50
	v_lshlrev_b32_e32 v20, 16, v45
	v_mov_b32_e32 v21, v51
	v_cmp_ne_u32_e32 vcc, 0, v0
	v_mov_b32_e32 v24, 0
	s_waitcnt vmcnt(0)
	v_lshl_or_b32 v3, v3, 8, v0
	v_or3_b32 v20, v20, v5, v3
	v_mov_b32_e32 v5, 0
	s_and_saveexec_b64 s[28:29], vcc
	s_cbranch_execz .LBB6_18295
; %bb.18290:                            ;   in Loop: Header=BB6_16537 Depth=3
	v_cmp_ne_u32_e32 vcc, s96, v0
	v_bfrev_b32_e32 v5, 1
	s_and_saveexec_b64 s[30:31], vcc
	s_cbranch_execz .LBB6_18294
; %bb.18291:                            ;   in Loop: Header=BB6_16537 Depth=3
	v_and_b32_e32 v25, 0x7f, v0
	v_cmp_ne_u32_e32 vcc, s86, v25
	v_mov_b32_e32 v5, 0x7f800001
	s_and_saveexec_b64 s[34:35], vcc
	s_cbranch_execz .LBB6_18293
; %bb.18292:                            ;   in Loop: Header=BB6_16537 Depth=3
	v_and_b32_e32 v0, 7, v0
	v_ffbh_u32_e32 v0, v0
	v_min_u32_e32 v0, 32, v0
	v_lshrrev_b32_e32 v5, 3, v25
	v_cmp_gt_u32_e32 vcc, 8, v25
	v_subrev_u32_e32 v25, 28, v0
	v_sub_u32_e32 v0, 29, v0
	v_cndmask_b32_e32 v0, v5, v0, vcc
	v_cndmask_b32_e32 v5, 0, v25, vcc
	v_lshlrev_b64 v[28:29], v5, v[20:21]
	v_lshlrev_b32_e32 v21, 24, v20
	v_lshlrev_b32_e32 v5, 20, v28
	v_bfrev_b32_e32 v25, 60
	v_and_b32_e32 v5, 0x700000, v5
	v_and_b32_e32 v21, 0x80000000, v21
	v_lshl_add_u32 v0, v0, 23, v25
	v_or3_b32 v5, v21, v0, v5
.LBB6_18293:                            ;   in Loop: Header=BB6_16537 Depth=3
	s_or_b64 exec, exec, s[34:35]
.LBB6_18294:                            ;   in Loop: Header=BB6_16537 Depth=3
	s_or_b64 exec, exec, s[30:31]
.LBB6_18295:                            ;   in Loop: Header=BB6_16537 Depth=3
	s_or_b64 exec, exec, s[28:29]
	v_cmp_ne_u16_sdwa vcc, v23, v51 src0_sel:BYTE_0 src1_sel:DWORD
	s_and_saveexec_b64 s[28:29], vcc
	s_cbranch_execz .LBB6_18301
; %bb.18296:                            ;   in Loop: Header=BB6_16537 Depth=3
	v_cmp_ne_u16_sdwa vcc, v23, s96 src0_sel:BYTE_0 src1_sel:DWORD
	v_bfrev_b32_e32 v24, 1
	s_and_saveexec_b64 s[30:31], vcc
	s_cbranch_execz .LBB6_18300
; %bb.18297:                            ;   in Loop: Header=BB6_16537 Depth=3
	v_and_b32_e32 v0, 0x7f, v23
	v_cmp_ne_u32_e32 vcc, s86, v0
	v_mov_b32_e32 v24, 0x7f800001
	s_and_saveexec_b64 s[34:35], vcc
	s_cbranch_execz .LBB6_18299
; %bb.18298:                            ;   in Loop: Header=BB6_16537 Depth=3
	v_and_b32_e32 v21, 7, v23
	v_lshrrev_b32_e32 v28, 3, v0
	v_cmp_gt_u32_e32 vcc, 8, v0
	v_ffbh_u32_e32 v0, v21
	v_min_u32_e32 v0, 32, v0
	v_subrev_u32_e32 v21, 28, v0
	v_mov_b32_e32 v24, v23
	v_mov_b32_e32 v25, v51
	v_sub_u32_e32 v0, 29, v0
	v_cndmask_b32_e32 v21, 0, v21, vcc
	v_cndmask_b32_e32 v0, v28, v0, vcc
	v_lshlrev_b64 v[28:29], v21, v[24:25]
	v_lshlrev_b32_e32 v24, 24, v24
	v_lshlrev_b32_e32 v21, 20, v28
	v_bfrev_b32_e32 v25, 60
	v_and_b32_e32 v21, 0x700000, v21
	v_and_b32_e32 v24, 0x80000000, v24
	v_lshl_add_u32 v0, v0, 23, v25
	v_or3_b32 v24, v24, v0, v21
.LBB6_18299:                            ;   in Loop: Header=BB6_16537 Depth=3
	s_or_b64 exec, exec, s[34:35]
.LBB6_18300:                            ;   in Loop: Header=BB6_16537 Depth=3
	s_or_b64 exec, exec, s[30:31]
.LBB6_18301:                            ;   in Loop: Header=BB6_16537 Depth=3
	s_or_b64 exec, exec, s[28:29]
	v_add_f32_e32 v5, v5, v24
	v_and_b32_e32 v24, 0x7f800000, v5
	v_mov_b32_e32 v25, v51
	v_cmp_ne_u64_e32 vcc, s[76:77], v[24:25]
                                        ; implicit-def: $vgpr0
                                        ; kill: killed $vgpr0
	s_and_saveexec_b64 s[28:29], vcc
	s_xor_b64 s[30:31], exec, s[28:29]
	s_cbranch_execz .LBB6_18315
; %bb.18302:                            ;   in Loop: Header=BB6_16537 Depth=3
	v_and_b32_e32 v24, 0x7fffffff, v5
	v_mov_b32_e32 v25, v51
	v_cmp_gt_u64_e32 vcc, s[78:79], v[24:25]
	v_and_b32_sdwa v0, v5, s96 dst_sel:DWORD dst_unused:UNUSED_PAD src0_sel:BYTE_3 src1_sel:DWORD
                                        ; implicit-def: $vgpr21
                                        ; kill: killed $vgpr21
	s_and_saveexec_b64 s[28:29], vcc
	s_xor_b64 s[34:35], exec, s[28:29]
	s_cbranch_execz .LBB6_18312
; %bb.18303:                            ;   in Loop: Header=BB6_16537 Depth=3
	v_mov_b32_e32 v21, 0
	v_cmp_ne_u32_e32 vcc, 0, v5
	buffer_store_dword v21, off, s[0:3], s33 offset:264 ; 4-byte Folded Spill
	s_and_saveexec_b64 s[36:37], vcc
	s_cbranch_execz .LBB6_18311
; %bb.18304:                            ;   in Loop: Header=BB6_16537 Depth=3
	v_and_b32_e32 v24, 0x7fffff, v5
	v_bfe_u32 v5, v5, 23, 8
	v_cmp_gt_u32_e64 s[28:29], s97, v5
	v_sub_u32_e32 v21, 0x79, v5
	v_cmp_eq_u32_e32 vcc, 0, v5
	v_cndmask_b32_e64 v21, 0, v21, s[28:29]
	v_mov_b32_e32 v28, 0x78
	v_cndmask_b32_e32 v21, v21, v28, vcc
	v_add_u32_e32 v28, 20, v21
	v_or_b32_e32 v25, 0x800000, v24
	v_lshlrev_b64 v[28:29], v28, -1
	v_cndmask_b32_e32 v24, v25, v24, vcc
	v_mov_b32_e32 v25, v51
	v_add_u32_e32 v32, 19, v21
	v_bfi_b32 v28, v28, 0, v24
	v_lshlrev_b64 v[32:33], v32, 1
	v_lshrrev_b64 v[24:25], v21, v[24:25]
	v_bfi_b32 v29, v29, 0, 0
	v_cmp_eq_u64_e64 s[28:29], v[28:29], v[32:33]
	v_mov_b32_e32 v29, v25
	v_mov_b32_e32 v28, v24
	s_and_saveexec_b64 s[38:39], s[28:29]
; %bb.18305:                            ;   in Loop: Header=BB6_16537 Depth=3
	v_bfe_u32 v25, v24, 20, 1
	v_add_co_u32_e64 v25, s[28:29], v24, v25
	v_add_co_u32_e64 v28, s[28:29], -1, v25
; %bb.18306:                            ;   in Loop: Header=BB6_16537 Depth=3
	s_or_b64 exec, exec, s[38:39]
	v_add_u32_e32 v5, 0xffffff81, v5
	v_mov_b32_e32 v25, 0xffffff82
	v_cndmask_b32_e32 v5, v5, v25, vcc
	v_lshrrev_b32_e32 v25, 23, v24
	v_add3_u32 v29, v21, v5, v25
	v_add_u32_e32 v21, 6, v29
	v_and_b32_e32 v5, 0xfffff, v28
	v_add_u32_e32 v24, v5, v24
	v_mov_b32_e32 v25, v51
	v_cmp_ne_u32_e32 vcc, 0, v21
                                        ; implicit-def: $vgpr5
	s_and_saveexec_b64 s[28:29], vcc
	s_xor_b64 s[28:29], exec, s[28:29]
; %bb.18307:                            ;   in Loop: Header=BB6_16537 Depth=3
	v_cmp_lt_u64_e32 vcc, s[88:89], v[24:25]
	v_add_u32_e32 v5, 7, v29
	v_cndmask_b32_e32 v5, v21, v5, vcc
	v_cndmask_b32_e64 v21, 0, 1, vcc
	v_lshrrev_b64 v[24:25], v21, v[24:25]
; %bb.18308:                            ;   in Loop: Header=BB6_16537 Depth=3
	s_andn2_saveexec_b64 s[28:29], s[28:29]
; %bb.18309:                            ;   in Loop: Header=BB6_16537 Depth=3
	v_bfe_u32 v5, v24, 23, 1
; %bb.18310:                            ;   in Loop: Header=BB6_16537 Depth=3
	s_or_b64 exec, exec, s[28:29]
	v_lshrrev_b64 v[24:25], 20, v[24:25]
	v_cmp_gt_i32_e32 vcc, 16, v5
	v_cndmask_b32_e32 v25, 0, v25, vcc
	v_cndmask_b32_e32 v24, 7, v24, vcc
	v_cmp_eq_u32_e32 vcc, 0, v5
	v_min_i32_e32 v5, 15, v5
	v_cmp_eq_u64_e64 s[28:29], 0, v[24:25]
	v_lshlrev_b32_e32 v5, 3, v5
	v_and_b32_e32 v5, 0xf8, v5
	v_and_or_b32 v5, v24, 7, v5
	s_and_b64 s[28:29], vcc, s[28:29]
	v_cndmask_b32_e64 v5, v5, 0, s[28:29]
	v_or_b32_e32 v0, v5, v0
	buffer_store_dword v0, off, s[0:3], s33 offset:264 ; 4-byte Folded Spill
.LBB6_18311:                            ;   in Loop: Header=BB6_16537 Depth=3
	s_or_b64 exec, exec, s[36:37]
                                        ; implicit-def: $vgpr0
.LBB6_18312:                            ;   in Loop: Header=BB6_16537 Depth=3
	s_andn2_saveexec_b64 s[28:29], s[34:35]
	s_cbranch_execz .LBB6_18314
; %bb.18313:                            ;   in Loop: Header=BB6_16537 Depth=3
	v_or_b32_e32 v0, 0x7e, v0
	buffer_store_dword v0, off, s[0:3], s33 offset:264 ; 4-byte Folded Spill
.LBB6_18314:                            ;   in Loop: Header=BB6_16537 Depth=3
	s_or_b64 exec, exec, s[28:29]
                                        ; implicit-def: $vgpr5
.LBB6_18315:                            ;   in Loop: Header=BB6_16537 Depth=3
	s_andn2_saveexec_b64 s[28:29], s[30:31]
	s_cbranch_execz .LBB6_18317
; %bb.18316:                            ;   in Loop: Header=BB6_16537 Depth=3
	v_or_b32_sdwa v0, v5, s86 dst_sel:DWORD dst_unused:UNUSED_PAD src0_sel:BYTE_3 src1_sel:DWORD
	buffer_store_dword v0, off, s[0:3], s33 offset:264 ; 4-byte Folded Spill
.LBB6_18317:                            ;   in Loop: Header=BB6_16537 Depth=3
	s_or_b64 exec, exec, s[28:29]
	v_lshrrev_b16_e32 v21, 8, v3
	v_cmp_ne_u16_e32 vcc, 0, v21
	v_mov_b32_e32 v0, 0
	v_mov_b32_e32 v5, 0
	s_and_saveexec_b64 s[28:29], vcc
	s_cbranch_execz .LBB6_18323
; %bb.18318:                            ;   in Loop: Header=BB6_16537 Depth=3
	v_cmp_ne_u16_e32 vcc, s96, v21
	v_bfrev_b32_e32 v5, 1
	s_and_saveexec_b64 s[30:31], vcc
	s_cbranch_execz .LBB6_18322
; %bb.18319:                            ;   in Loop: Header=BB6_16537 Depth=3
	v_and_b32_e32 v24, 0x7f, v21
	v_cmp_ne_u32_e32 vcc, s86, v24
	v_mov_b32_e32 v5, 0x7f800001
	s_and_saveexec_b64 s[34:35], vcc
	s_cbranch_execz .LBB6_18321
; %bb.18320:                            ;   in Loop: Header=BB6_16537 Depth=3
	v_and_b32_e32 v5, 7, v21
	v_lshrrev_b32_e32 v28, 3, v24
	v_cmp_gt_u32_e32 vcc, 8, v24
	v_ffbh_u32_e32 v24, v5
	v_min_u32_e32 v29, 32, v24
	v_subrev_u32_e32 v24, 28, v29
	v_lshlrev_b64 v[24:25], v24, v[21:22]
	v_sub_u32_e32 v21, 29, v29
	v_and_b32_e32 v24, 7, v24
	v_cndmask_b32_e32 v21, v28, v21, vcc
	v_cndmask_b32_e32 v5, v5, v24, vcc
	v_lshlrev_b32_e32 v3, 16, v3
	v_bfrev_b32_e32 v24, 60
	v_lshlrev_b32_e32 v5, 20, v5
	v_and_b32_e32 v3, 0x80000000, v3
	v_lshl_add_u32 v21, v21, 23, v24
	v_or3_b32 v5, v3, v21, v5
.LBB6_18321:                            ;   in Loop: Header=BB6_16537 Depth=3
	s_or_b64 exec, exec, s[34:35]
.LBB6_18322:                            ;   in Loop: Header=BB6_16537 Depth=3
	s_or_b64 exec, exec, s[30:31]
.LBB6_18323:                            ;   in Loop: Header=BB6_16537 Depth=3
	s_or_b64 exec, exec, s[28:29]
	v_lshrrev_b16_e32 v21, 8, v23
	v_cmp_ne_u16_e32 vcc, 0, v21
	s_and_saveexec_b64 s[28:29], vcc
	s_cbranch_execz .LBB6_18329
; %bb.18324:                            ;   in Loop: Header=BB6_16537 Depth=3
	v_cmp_ne_u16_e32 vcc, s96, v21
	v_bfrev_b32_e32 v0, 1
	s_and_saveexec_b64 s[30:31], vcc
	s_cbranch_execz .LBB6_18328
; %bb.18325:                            ;   in Loop: Header=BB6_16537 Depth=3
	v_and_b32_e32 v3, 0x7f, v21
	v_cmp_ne_u32_e32 vcc, s86, v3
	v_mov_b32_e32 v0, 0x7f800001
	s_and_saveexec_b64 s[34:35], vcc
	s_cbranch_execz .LBB6_18327
; %bb.18326:                            ;   in Loop: Header=BB6_16537 Depth=3
	v_and_b32_e32 v0, 7, v21
	v_lshrrev_b32_e32 v28, 3, v3
	v_cmp_gt_u32_e32 vcc, 8, v3
	v_ffbh_u32_e32 v3, v0
	v_min_u32_e32 v3, 32, v3
	v_subrev_u32_e32 v24, 28, v3
	v_lshlrev_b64 v[24:25], v24, v[21:22]
	v_sub_u32_e32 v3, 29, v3
	v_and_b32_e32 v21, 7, v24
	v_cndmask_b32_e32 v3, v28, v3, vcc
	v_cndmask_b32_e32 v0, v0, v21, vcc
	v_lshlrev_b32_e32 v21, 16, v23
	v_bfrev_b32_e32 v24, 60
	v_lshlrev_b32_e32 v0, 20, v0
	v_and_b32_e32 v21, 0x80000000, v21
	v_lshl_add_u32 v3, v3, 23, v24
	v_or3_b32 v0, v21, v3, v0
.LBB6_18327:                            ;   in Loop: Header=BB6_16537 Depth=3
	s_or_b64 exec, exec, s[34:35]
.LBB6_18328:                            ;   in Loop: Header=BB6_16537 Depth=3
	s_or_b64 exec, exec, s[30:31]
.LBB6_18329:                            ;   in Loop: Header=BB6_16537 Depth=3
	s_or_b64 exec, exec, s[28:29]
	v_add_f32_e32 v3, v5, v0
	v_and_b32_e32 v24, 0x7f800000, v3
	v_mov_b32_e32 v25, v51
	v_cmp_ne_u64_e32 vcc, s[76:77], v[24:25]
                                        ; implicit-def: $vgpr32
	s_and_saveexec_b64 s[28:29], vcc
	s_xor_b64 s[30:31], exec, s[28:29]
	s_cbranch_execz .LBB6_18343
; %bb.18330:                            ;   in Loop: Header=BB6_16537 Depth=3
	v_and_b32_e32 v24, 0x7fffffff, v3
	v_mov_b32_e32 v25, v51
	v_cmp_gt_u64_e32 vcc, s[78:79], v[24:25]
	v_and_b32_sdwa v0, v3, s96 dst_sel:DWORD dst_unused:UNUSED_PAD src0_sel:BYTE_3 src1_sel:DWORD
                                        ; implicit-def: $vgpr32
	s_and_saveexec_b64 s[28:29], vcc
	s_xor_b64 s[34:35], exec, s[28:29]
	s_cbranch_execz .LBB6_18340
; %bb.18331:                            ;   in Loop: Header=BB6_16537 Depth=3
	v_mov_b32_e32 v32, 0
	v_cmp_ne_u32_e32 vcc, 0, v3
	s_and_saveexec_b64 s[36:37], vcc
	s_cbranch_execz .LBB6_18339
; %bb.18332:                            ;   in Loop: Header=BB6_16537 Depth=3
	v_and_b32_e32 v21, 0x7fffff, v3
	v_bfe_u32 v3, v3, 23, 8
	v_cmp_gt_u32_e64 s[28:29], s97, v3
	v_sub_u32_e32 v5, 0x79, v3
	v_cmp_eq_u32_e32 vcc, 0, v3
	v_cndmask_b32_e64 v5, 0, v5, s[28:29]
	v_mov_b32_e32 v25, 0x78
	v_or_b32_e32 v24, 0x800000, v21
	v_cndmask_b32_e32 v5, v5, v25, vcc
	v_cndmask_b32_e32 v24, v24, v21, vcc
	v_add_u32_e32 v21, 20, v5
	v_lshlrev_b64 v[28:29], v21, -1
	v_mov_b32_e32 v25, v51
	v_add_u32_e32 v21, 19, v5
	v_bfi_b32 v28, v28, 0, v24
	v_lshlrev_b64 v[32:33], v21, 1
	v_lshrrev_b64 v[24:25], v5, v[24:25]
	v_bfi_b32 v29, v29, 0, 0
	v_cmp_eq_u64_e64 s[28:29], v[28:29], v[32:33]
	v_mov_b32_e32 v29, v25
	v_mov_b32_e32 v28, v24
	s_and_saveexec_b64 s[38:39], s[28:29]
; %bb.18333:                            ;   in Loop: Header=BB6_16537 Depth=3
	v_bfe_u32 v21, v24, 20, 1
	v_add_co_u32_e64 v21, s[28:29], v24, v21
	v_add_co_u32_e64 v28, s[28:29], -1, v21
; %bb.18334:                            ;   in Loop: Header=BB6_16537 Depth=3
	s_or_b64 exec, exec, s[38:39]
	v_add_u32_e32 v3, 0xffffff81, v3
	v_mov_b32_e32 v21, 0xffffff82
	v_cndmask_b32_e32 v3, v3, v21, vcc
	v_lshrrev_b32_e32 v21, 23, v24
	v_add3_u32 v21, v5, v3, v21
	v_add_u32_e32 v5, 6, v21
	v_and_b32_e32 v3, 0xfffff, v28
	v_add_u32_e32 v24, v3, v24
	v_mov_b32_e32 v25, v51
	v_cmp_ne_u32_e32 vcc, 0, v5
                                        ; implicit-def: $vgpr3
	s_and_saveexec_b64 s[28:29], vcc
	s_xor_b64 s[28:29], exec, s[28:29]
; %bb.18335:                            ;   in Loop: Header=BB6_16537 Depth=3
	v_cmp_lt_u64_e32 vcc, s[88:89], v[24:25]
	v_add_u32_e32 v3, 7, v21
	v_cndmask_b32_e32 v3, v5, v3, vcc
	v_cndmask_b32_e64 v5, 0, 1, vcc
	v_lshrrev_b64 v[24:25], v5, v[24:25]
; %bb.18336:                            ;   in Loop: Header=BB6_16537 Depth=3
	s_andn2_saveexec_b64 s[28:29], s[28:29]
; %bb.18337:                            ;   in Loop: Header=BB6_16537 Depth=3
	v_bfe_u32 v3, v24, 23, 1
; %bb.18338:                            ;   in Loop: Header=BB6_16537 Depth=3
	s_or_b64 exec, exec, s[28:29]
	v_lshrrev_b64 v[24:25], 20, v[24:25]
	v_cmp_gt_i32_e32 vcc, 16, v3
	v_cndmask_b32_e32 v25, 0, v25, vcc
	v_cndmask_b32_e32 v24, 7, v24, vcc
	v_cmp_eq_u32_e32 vcc, 0, v3
	v_min_i32_e32 v3, 15, v3
	v_cmp_eq_u64_e64 s[28:29], 0, v[24:25]
	v_lshlrev_b32_e32 v3, 3, v3
	v_and_b32_e32 v3, 0xf8, v3
	v_and_or_b32 v3, v24, 7, v3
	s_and_b64 s[28:29], vcc, s[28:29]
	v_cndmask_b32_e64 v3, v3, 0, s[28:29]
	v_or_b32_e32 v32, v3, v0
.LBB6_18339:                            ;   in Loop: Header=BB6_16537 Depth=3
	s_or_b64 exec, exec, s[36:37]
                                        ; implicit-def: $vgpr0
.LBB6_18340:                            ;   in Loop: Header=BB6_16537 Depth=3
	s_andn2_saveexec_b64 s[28:29], s[34:35]
; %bb.18341:                            ;   in Loop: Header=BB6_16537 Depth=3
	v_or_b32_e32 v32, 0x7e, v0
; %bb.18342:                            ;   in Loop: Header=BB6_16537 Depth=3
	s_or_b64 exec, exec, s[28:29]
                                        ; implicit-def: $vgpr3
.LBB6_18343:                            ;   in Loop: Header=BB6_16537 Depth=3
	s_andn2_saveexec_b64 s[28:29], s[30:31]
; %bb.18344:                            ;   in Loop: Header=BB6_16537 Depth=3
	v_or_b32_sdwa v32, v3, s86 dst_sel:DWORD dst_unused:UNUSED_PAD src0_sel:BYTE_3 src1_sel:DWORD
; %bb.18345:                            ;   in Loop: Header=BB6_16537 Depth=3
	s_or_b64 exec, exec, s[28:29]
	v_lshrrev_b32_e32 v21, 16, v20
	v_cmp_ne_u16_sdwa vcc, v21, v51 src0_sel:BYTE_0 src1_sel:DWORD
	v_mov_b32_e32 v0, 0
	v_mov_b32_e32 v3, 0
	s_and_saveexec_b64 s[28:29], vcc
	s_cbranch_execz .LBB6_18351
; %bb.18346:                            ;   in Loop: Header=BB6_16537 Depth=3
	v_cmp_ne_u16_sdwa vcc, v21, s96 src0_sel:BYTE_0 src1_sel:DWORD
	v_bfrev_b32_e32 v3, 1
	s_and_saveexec_b64 s[30:31], vcc
	s_cbranch_execz .LBB6_18350
; %bb.18347:                            ;   in Loop: Header=BB6_16537 Depth=3
	v_bfe_u32 v5, v20, 16, 7
	v_cmp_ne_u32_e32 vcc, s86, v5
	v_mov_b32_e32 v3, 0x7f800001
	s_and_saveexec_b64 s[34:35], vcc
	s_cbranch_execz .LBB6_18349
; %bb.18348:                            ;   in Loop: Header=BB6_16537 Depth=3
	v_and_b32_e32 v3, 7, v21
	v_lshrrev_b32_e32 v28, 3, v5
	v_cmp_gt_u32_e32 vcc, 8, v5
	v_ffbh_u32_e32 v5, v3
	v_min_u32_e32 v5, 32, v5
	v_subrev_u32_e32 v24, 28, v5
	v_lshlrev_b64 v[24:25], v24, v[21:22]
	v_sub_u32_e32 v5, 29, v5
	v_and_b32_e32 v24, 7, v24
	v_cndmask_b32_e32 v5, v28, v5, vcc
	v_cndmask_b32_e32 v3, v3, v24, vcc
	v_lshlrev_b32_e32 v21, 24, v21
	v_bfrev_b32_e32 v24, 60
	v_lshlrev_b32_e32 v3, 20, v3
	v_and_b32_e32 v21, 0x80000000, v21
	v_lshl_add_u32 v5, v5, 23, v24
	v_or3_b32 v3, v21, v5, v3
.LBB6_18349:                            ;   in Loop: Header=BB6_16537 Depth=3
	s_or_b64 exec, exec, s[34:35]
.LBB6_18350:                            ;   in Loop: Header=BB6_16537 Depth=3
	s_or_b64 exec, exec, s[30:31]
.LBB6_18351:                            ;   in Loop: Header=BB6_16537 Depth=3
	s_or_b64 exec, exec, s[28:29]
	v_lshrrev_b32_e32 v21, 16, v23
	v_cmp_ne_u16_sdwa vcc, v21, v51 src0_sel:BYTE_0 src1_sel:DWORD
	s_and_saveexec_b64 s[28:29], vcc
	s_cbranch_execz .LBB6_18357
; %bb.18352:                            ;   in Loop: Header=BB6_16537 Depth=3
	v_cmp_ne_u16_sdwa vcc, v21, s96 src0_sel:BYTE_0 src1_sel:DWORD
	v_bfrev_b32_e32 v0, 1
	s_and_saveexec_b64 s[30:31], vcc
	s_cbranch_execz .LBB6_18356
; %bb.18353:                            ;   in Loop: Header=BB6_16537 Depth=3
	v_bfe_u32 v5, v23, 16, 7
	v_cmp_ne_u32_e32 vcc, s86, v5
	v_mov_b32_e32 v0, 0x7f800001
	s_and_saveexec_b64 s[34:35], vcc
	s_cbranch_execz .LBB6_18355
; %bb.18354:                            ;   in Loop: Header=BB6_16537 Depth=3
	v_and_b32_e32 v0, 7, v21
	v_lshrrev_b32_e32 v28, 3, v5
	v_cmp_gt_u32_e32 vcc, 8, v5
	v_ffbh_u32_e32 v5, v0
	v_min_u32_e32 v5, 32, v5
	v_subrev_u32_e32 v24, 28, v5
	v_lshlrev_b64 v[24:25], v24, v[21:22]
	v_sub_u32_e32 v5, 29, v5
	v_and_b32_e32 v21, 7, v24
	v_cndmask_b32_e32 v5, v28, v5, vcc
	v_cndmask_b32_e32 v0, v0, v21, vcc
	v_lshlrev_b32_e32 v21, 8, v23
	v_bfrev_b32_e32 v24, 60
	v_lshlrev_b32_e32 v0, 20, v0
	v_and_b32_e32 v21, 0x80000000, v21
	v_lshl_add_u32 v5, v5, 23, v24
	v_or3_b32 v0, v21, v5, v0
.LBB6_18355:                            ;   in Loop: Header=BB6_16537 Depth=3
	s_or_b64 exec, exec, s[34:35]
.LBB6_18356:                            ;   in Loop: Header=BB6_16537 Depth=3
	s_or_b64 exec, exec, s[30:31]
.LBB6_18357:                            ;   in Loop: Header=BB6_16537 Depth=3
	s_or_b64 exec, exec, s[28:29]
	v_add_f32_e32 v3, v3, v0
	v_and_b32_e32 v24, 0x7f800000, v3
	v_mov_b32_e32 v25, v51
	v_cmp_ne_u64_e32 vcc, s[76:77], v[24:25]
                                        ; implicit-def: $vgpr0
                                        ; kill: killed $vgpr0
	s_and_saveexec_b64 s[28:29], vcc
	s_xor_b64 s[30:31], exec, s[28:29]
	s_cbranch_execz .LBB6_18371
; %bb.18358:                            ;   in Loop: Header=BB6_16537 Depth=3
	v_and_b32_e32 v24, 0x7fffffff, v3
	v_mov_b32_e32 v25, v51
	v_cmp_gt_u64_e32 vcc, s[78:79], v[24:25]
	v_and_b32_sdwa v0, v3, s96 dst_sel:DWORD dst_unused:UNUSED_PAD src0_sel:BYTE_3 src1_sel:DWORD
                                        ; implicit-def: $vgpr5
                                        ; kill: killed $vgpr5
	s_and_saveexec_b64 s[28:29], vcc
	s_xor_b64 s[34:35], exec, s[28:29]
	s_cbranch_execz .LBB6_18368
; %bb.18359:                            ;   in Loop: Header=BB6_16537 Depth=3
	v_mov_b32_e32 v5, 0
	v_cmp_ne_u32_e32 vcc, 0, v3
	buffer_store_dword v5, off, s[0:3], s33 offset:276 ; 4-byte Folded Spill
	s_and_saveexec_b64 s[36:37], vcc
	s_cbranch_execz .LBB6_18367
; %bb.18360:                            ;   in Loop: Header=BB6_16537 Depth=3
	v_and_b32_e32 v21, 0x7fffff, v3
	v_bfe_u32 v3, v3, 23, 8
	v_cmp_gt_u32_e64 s[28:29], s97, v3
	v_sub_u32_e32 v5, 0x79, v3
	v_cmp_eq_u32_e32 vcc, 0, v3
	v_cndmask_b32_e64 v5, 0, v5, s[28:29]
	v_mov_b32_e32 v25, 0x78
	v_or_b32_e32 v24, 0x800000, v21
	v_cndmask_b32_e32 v5, v5, v25, vcc
	v_cndmask_b32_e32 v24, v24, v21, vcc
	v_add_u32_e32 v21, 20, v5
	v_lshlrev_b64 v[28:29], v21, -1
	v_mov_b32_e32 v25, v51
	v_add_u32_e32 v21, 19, v5
	v_mov_b32_e32 v35, v32
	v_bfi_b32 v28, v28, 0, v24
	v_lshlrev_b64 v[32:33], v21, 1
	v_lshrrev_b64 v[24:25], v5, v[24:25]
	v_bfi_b32 v29, v29, 0, 0
	v_cmp_eq_u64_e64 s[28:29], v[28:29], v[32:33]
	v_mov_b32_e32 v29, v25
	v_mov_b32_e32 v28, v24
	s_and_saveexec_b64 s[38:39], s[28:29]
; %bb.18361:                            ;   in Loop: Header=BB6_16537 Depth=3
	v_bfe_u32 v21, v24, 20, 1
	v_add_co_u32_e64 v21, s[28:29], v24, v21
	v_add_co_u32_e64 v28, s[28:29], -1, v21
; %bb.18362:                            ;   in Loop: Header=BB6_16537 Depth=3
	s_or_b64 exec, exec, s[38:39]
	v_add_u32_e32 v3, 0xffffff81, v3
	v_mov_b32_e32 v21, 0xffffff82
	v_cndmask_b32_e32 v3, v3, v21, vcc
	v_lshrrev_b32_e32 v21, 23, v24
	v_add3_u32 v21, v5, v3, v21
	v_add_u32_e32 v5, 6, v21
	v_and_b32_e32 v3, 0xfffff, v28
	v_add_u32_e32 v24, v3, v24
	v_mov_b32_e32 v25, v51
	v_cmp_ne_u32_e32 vcc, 0, v5
                                        ; implicit-def: $vgpr3
	s_and_saveexec_b64 s[28:29], vcc
	s_xor_b64 s[28:29], exec, s[28:29]
; %bb.18363:                            ;   in Loop: Header=BB6_16537 Depth=3
	v_cmp_lt_u64_e32 vcc, s[88:89], v[24:25]
	v_add_u32_e32 v3, 7, v21
	v_cndmask_b32_e32 v3, v5, v3, vcc
	v_cndmask_b32_e64 v5, 0, 1, vcc
	v_lshrrev_b64 v[24:25], v5, v[24:25]
; %bb.18364:                            ;   in Loop: Header=BB6_16537 Depth=3
	s_or_saveexec_b64 s[28:29], s[28:29]
	v_mov_b32_e32 v32, v35
	s_xor_b64 exec, exec, s[28:29]
; %bb.18365:                            ;   in Loop: Header=BB6_16537 Depth=3
	v_bfe_u32 v3, v24, 23, 1
; %bb.18366:                            ;   in Loop: Header=BB6_16537 Depth=3
	s_or_b64 exec, exec, s[28:29]
	v_lshrrev_b64 v[24:25], 20, v[24:25]
	v_cmp_gt_i32_e32 vcc, 16, v3
	v_cndmask_b32_e32 v25, 0, v25, vcc
	v_cndmask_b32_e32 v24, 7, v24, vcc
	v_cmp_eq_u32_e32 vcc, 0, v3
	v_min_i32_e32 v3, 15, v3
	v_cmp_eq_u64_e64 s[28:29], 0, v[24:25]
	v_lshlrev_b32_e32 v3, 3, v3
	v_and_b32_e32 v3, 0xf8, v3
	v_and_or_b32 v3, v24, 7, v3
	s_and_b64 s[28:29], vcc, s[28:29]
	v_cndmask_b32_e64 v3, v3, 0, s[28:29]
	v_or_b32_e32 v0, v3, v0
	buffer_store_dword v0, off, s[0:3], s33 offset:276 ; 4-byte Folded Spill
.LBB6_18367:                            ;   in Loop: Header=BB6_16537 Depth=3
	s_or_b64 exec, exec, s[36:37]
                                        ; implicit-def: $vgpr0
.LBB6_18368:                            ;   in Loop: Header=BB6_16537 Depth=3
	s_andn2_saveexec_b64 s[28:29], s[34:35]
	s_cbranch_execz .LBB6_18370
; %bb.18369:                            ;   in Loop: Header=BB6_16537 Depth=3
	v_or_b32_e32 v0, 0x7e, v0
	buffer_store_dword v0, off, s[0:3], s33 offset:276 ; 4-byte Folded Spill
.LBB6_18370:                            ;   in Loop: Header=BB6_16537 Depth=3
	s_or_b64 exec, exec, s[28:29]
                                        ; implicit-def: $vgpr3
.LBB6_18371:                            ;   in Loop: Header=BB6_16537 Depth=3
	s_andn2_saveexec_b64 s[28:29], s[30:31]
	s_cbranch_execz .LBB6_18373
; %bb.18372:                            ;   in Loop: Header=BB6_16537 Depth=3
	v_or_b32_sdwa v0, v3, s86 dst_sel:DWORD dst_unused:UNUSED_PAD src0_sel:BYTE_3 src1_sel:DWORD
	buffer_store_dword v0, off, s[0:3], s33 offset:276 ; 4-byte Folded Spill
.LBB6_18373:                            ;   in Loop: Header=BB6_16537 Depth=3
	s_or_b64 exec, exec, s[28:29]
	v_cmp_lt_u32_e32 vcc, s57, v20
	v_mov_b32_e32 v0, 0
	v_mov_b32_e32 v3, 0
	s_and_saveexec_b64 s[28:29], vcc
	s_cbranch_execz .LBB6_18379
; %bb.18374:                            ;   in Loop: Header=BB6_16537 Depth=3
	v_lshrrev_b32_e32 v21, 24, v20
	v_cmp_ne_u32_sdwa vcc, v20, s96 src0_sel:BYTE_3 src1_sel:DWORD
	v_bfrev_b32_e32 v3, 1
	s_and_saveexec_b64 s[30:31], vcc
	s_cbranch_execz .LBB6_18378
; %bb.18375:                            ;   in Loop: Header=BB6_16537 Depth=3
	v_bfe_u32 v5, v20, 24, 7
	v_cmp_ne_u32_e32 vcc, s86, v5
	v_mov_b32_e32 v3, 0x7f800001
	s_and_saveexec_b64 s[34:35], vcc
	s_cbranch_execz .LBB6_18377
; %bb.18376:                            ;   in Loop: Header=BB6_16537 Depth=3
	v_and_b32_e32 v3, 7, v21
	v_lshrrev_b32_e32 v28, 3, v5
	v_cmp_gt_u32_e32 vcc, 8, v5
	v_ffbh_u32_e32 v5, v3
	v_min_u32_e32 v5, 32, v5
	v_subrev_u32_e32 v24, 28, v5
	v_lshlrev_b64 v[24:25], v24, v[21:22]
	v_sub_u32_e32 v5, 29, v5
	v_and_b32_e32 v21, 7, v24
	v_cndmask_b32_e32 v3, v3, v21, vcc
	v_mov_b32_e32 v21, 24
	v_cndmask_b32_e32 v5, v28, v5, vcc
	v_lshlrev_b32_sdwa v20, v21, v20 dst_sel:DWORD dst_unused:UNUSED_PAD src0_sel:DWORD src1_sel:BYTE_3
	v_bfrev_b32_e32 v21, 60
	v_lshlrev_b32_e32 v3, 20, v3
	v_and_b32_e32 v20, 0x80000000, v20
	v_lshl_add_u32 v5, v5, 23, v21
	v_or3_b32 v3, v20, v5, v3
.LBB6_18377:                            ;   in Loop: Header=BB6_16537 Depth=3
	s_or_b64 exec, exec, s[34:35]
.LBB6_18378:                            ;   in Loop: Header=BB6_16537 Depth=3
	s_or_b64 exec, exec, s[30:31]
.LBB6_18379:                            ;   in Loop: Header=BB6_16537 Depth=3
	s_or_b64 exec, exec, s[28:29]
	v_cmp_lt_u64_e32 vcc, s[56:57], v[22:23]
	s_and_saveexec_b64 s[28:29], vcc
	s_cbranch_execz .LBB6_18385
; %bb.18380:                            ;   in Loop: Header=BB6_16537 Depth=3
	v_lshrrev_b32_e32 v20, 24, v23
	v_cmp_ne_u32_e32 vcc, s96, v20
	v_bfrev_b32_e32 v0, 1
	s_and_saveexec_b64 s[30:31], vcc
	s_cbranch_execz .LBB6_18384
; %bb.18381:                            ;   in Loop: Header=BB6_16537 Depth=3
	v_bfe_u32 v5, v23, 24, 7
	v_cmp_ne_u32_e32 vcc, s86, v5
	v_mov_b32_e32 v0, 0x7f800001
	s_and_saveexec_b64 s[34:35], vcc
	s_cbranch_execz .LBB6_18383
; %bb.18382:                            ;   in Loop: Header=BB6_16537 Depth=3
	v_and_b32_e32 v0, 7, v20
	v_lshrrev_b32_e32 v23, 3, v5
	v_cmp_gt_u32_e32 vcc, 8, v5
	v_ffbh_u32_e32 v5, v0
	v_min_u32_e32 v5, 32, v5
	v_subrev_u32_e32 v21, 28, v5
	v_lshlrev_b64 v[21:22], v21, v[20:21]
	v_sub_u32_e32 v5, 29, v5
	v_and_b32_e32 v21, 7, v21
	v_cndmask_b32_e32 v5, v23, v5, vcc
	v_cndmask_b32_e32 v0, v0, v21, vcc
	v_lshlrev_b32_e32 v20, 24, v20
	v_bfrev_b32_e32 v21, 60
	v_lshlrev_b32_e32 v0, 20, v0
	v_and_b32_e32 v20, 0x80000000, v20
	v_lshl_add_u32 v5, v5, 23, v21
	v_or3_b32 v0, v20, v5, v0
.LBB6_18383:                            ;   in Loop: Header=BB6_16537 Depth=3
	s_or_b64 exec, exec, s[34:35]
.LBB6_18384:                            ;   in Loop: Header=BB6_16537 Depth=3
	s_or_b64 exec, exec, s[30:31]
.LBB6_18385:                            ;   in Loop: Header=BB6_16537 Depth=3
	s_or_b64 exec, exec, s[28:29]
	v_add_f32_e32 v3, v3, v0
	v_and_b32_e32 v20, 0x7f800000, v3
	v_mov_b32_e32 v21, v51
	v_cmp_ne_u64_e32 vcc, s[76:77], v[20:21]
                                        ; implicit-def: $vgpr0
                                        ; kill: killed $vgpr0
	s_and_saveexec_b64 s[28:29], vcc
	s_xor_b64 s[30:31], exec, s[28:29]
	s_cbranch_execz .LBB6_18399
; %bb.18386:                            ;   in Loop: Header=BB6_16537 Depth=3
	v_and_b32_e32 v20, 0x7fffffff, v3
	v_mov_b32_e32 v21, v51
	v_cmp_gt_u64_e32 vcc, s[78:79], v[20:21]
	v_and_b32_sdwa v0, v3, s96 dst_sel:DWORD dst_unused:UNUSED_PAD src0_sel:BYTE_3 src1_sel:DWORD
                                        ; implicit-def: $vgpr5
                                        ; kill: killed $vgpr5
	s_and_saveexec_b64 s[28:29], vcc
	s_xor_b64 s[34:35], exec, s[28:29]
	s_cbranch_execz .LBB6_18396
; %bb.18387:                            ;   in Loop: Header=BB6_16537 Depth=3
	v_mov_b32_e32 v5, 0
	v_cmp_ne_u32_e32 vcc, 0, v3
	buffer_store_dword v5, off, s[0:3], s33 offset:280 ; 4-byte Folded Spill
	s_and_saveexec_b64 s[36:37], vcc
	s_cbranch_execz .LBB6_18395
; %bb.18388:                            ;   in Loop: Header=BB6_16537 Depth=3
	v_and_b32_e32 v20, 0x7fffff, v3
	v_bfe_u32 v3, v3, 23, 8
	v_cmp_gt_u32_e64 s[28:29], s97, v3
	v_sub_u32_e32 v5, 0x79, v3
	v_cmp_eq_u32_e32 vcc, 0, v3
	v_cndmask_b32_e64 v5, 0, v5, s[28:29]
	v_mov_b32_e32 v22, 0x78
	v_cndmask_b32_e32 v5, v5, v22, vcc
	v_add_u32_e32 v22, 20, v5
	v_or_b32_e32 v21, 0x800000, v20
	v_lshlrev_b64 v[22:23], v22, -1
	v_cndmask_b32_e32 v20, v21, v20, vcc
	v_mov_b32_e32 v21, v51
	v_add_u32_e32 v24, 19, v5
	v_bfi_b32 v22, v22, 0, v20
	v_lshlrev_b64 v[24:25], v24, 1
	v_lshrrev_b64 v[20:21], v5, v[20:21]
	v_bfi_b32 v23, v23, 0, 0
	v_cmp_eq_u64_e64 s[28:29], v[22:23], v[24:25]
	v_mov_b32_e32 v22, v21
	v_mov_b32_e32 v21, v20
	s_and_saveexec_b64 s[38:39], s[28:29]
; %bb.18389:                            ;   in Loop: Header=BB6_16537 Depth=3
	v_bfe_u32 v21, v20, 20, 1
	v_add_co_u32_e64 v21, s[28:29], v20, v21
	v_add_co_u32_e64 v21, s[28:29], -1, v21
; %bb.18390:                            ;   in Loop: Header=BB6_16537 Depth=3
	s_or_b64 exec, exec, s[38:39]
	v_add_u32_e32 v3, 0xffffff81, v3
	v_mov_b32_e32 v22, 0xffffff82
	v_cndmask_b32_e32 v3, v3, v22, vcc
	v_lshrrev_b32_e32 v22, 23, v20
	v_add3_u32 v22, v5, v3, v22
	v_add_u32_e32 v5, 6, v22
	v_and_b32_e32 v3, 0xfffff, v21
	v_add_u32_e32 v20, v3, v20
	v_mov_b32_e32 v21, v51
	v_cmp_ne_u32_e32 vcc, 0, v5
                                        ; implicit-def: $vgpr3
	s_and_saveexec_b64 s[28:29], vcc
	s_xor_b64 s[28:29], exec, s[28:29]
; %bb.18391:                            ;   in Loop: Header=BB6_16537 Depth=3
	v_cmp_lt_u64_e32 vcc, s[88:89], v[20:21]
	v_add_u32_e32 v3, 7, v22
	v_cndmask_b32_e32 v3, v5, v3, vcc
	v_cndmask_b32_e64 v5, 0, 1, vcc
	v_lshrrev_b64 v[20:21], v5, v[20:21]
; %bb.18392:                            ;   in Loop: Header=BB6_16537 Depth=3
	s_andn2_saveexec_b64 s[28:29], s[28:29]
; %bb.18393:                            ;   in Loop: Header=BB6_16537 Depth=3
	v_bfe_u32 v3, v20, 23, 1
; %bb.18394:                            ;   in Loop: Header=BB6_16537 Depth=3
	s_or_b64 exec, exec, s[28:29]
	v_lshrrev_b64 v[20:21], 20, v[20:21]
	v_cmp_gt_i32_e32 vcc, 16, v3
	v_cndmask_b32_e32 v21, 0, v21, vcc
	v_cndmask_b32_e32 v20, 7, v20, vcc
	v_cmp_eq_u32_e32 vcc, 0, v3
	v_min_i32_e32 v3, 15, v3
	v_cmp_eq_u64_e64 s[28:29], 0, v[20:21]
	v_lshlrev_b32_e32 v3, 3, v3
	v_and_b32_e32 v3, 0xf8, v3
	v_and_or_b32 v3, v20, 7, v3
	s_and_b64 s[28:29], vcc, s[28:29]
	v_cndmask_b32_e64 v3, v3, 0, s[28:29]
	v_or_b32_e32 v0, v3, v0
	buffer_store_dword v0, off, s[0:3], s33 offset:280 ; 4-byte Folded Spill
.LBB6_18395:                            ;   in Loop: Header=BB6_16537 Depth=3
	s_or_b64 exec, exec, s[36:37]
                                        ; implicit-def: $vgpr0
.LBB6_18396:                            ;   in Loop: Header=BB6_16537 Depth=3
	s_andn2_saveexec_b64 s[28:29], s[34:35]
	s_cbranch_execz .LBB6_18398
; %bb.18397:                            ;   in Loop: Header=BB6_16537 Depth=3
	v_or_b32_e32 v0, 0x7e, v0
	buffer_store_dword v0, off, s[0:3], s33 offset:280 ; 4-byte Folded Spill
.LBB6_18398:                            ;   in Loop: Header=BB6_16537 Depth=3
	s_or_b64 exec, exec, s[28:29]
                                        ; implicit-def: $vgpr3
.LBB6_18399:                            ;   in Loop: Header=BB6_16537 Depth=3
	s_andn2_saveexec_b64 s[28:29], s[30:31]
	s_cbranch_execz .LBB6_18401
; %bb.18400:                            ;   in Loop: Header=BB6_16537 Depth=3
	v_or_b32_sdwa v0, v3, s86 dst_sel:DWORD dst_unused:UNUSED_PAD src0_sel:BYTE_3 src1_sel:DWORD
	buffer_store_dword v0, off, s[0:3], s33 offset:280 ; 4-byte Folded Spill
.LBB6_18401:                            ;   in Loop: Header=BB6_16537 Depth=3
	s_or_b64 exec, exec, s[28:29]
	buffer_load_dword v0, off, s[0:3], s33 offset:248 ; 4-byte Folded Reload
	buffer_load_dword v3, off, s[0:3], s33 offset:268 ; 4-byte Folded Reload
	v_lshlrev_b32_e32 v5, 24, v55
	v_mov_b32_e32 v21, v51
	v_cmp_ne_u32_e32 vcc, 0, v47
	s_waitcnt vmcnt(1)
	v_lshl_or_b32 v0, v0, 8, v47
	s_waitcnt vmcnt(0)
	v_lshlrev_b32_e32 v3, 16, v3
	v_or3_b32 v20, v3, v5, v0
	v_mov_b32_e32 v3, 0
	v_mov_b32_e32 v5, 0
	s_and_saveexec_b64 s[28:29], vcc
	s_cbranch_execz .LBB6_18407
; %bb.18402:                            ;   in Loop: Header=BB6_16537 Depth=3
	v_cmp_ne_u32_e32 vcc, s96, v47
	v_bfrev_b32_e32 v5, 1
	s_and_saveexec_b64 s[30:31], vcc
	s_cbranch_execz .LBB6_18406
; %bb.18403:                            ;   in Loop: Header=BB6_16537 Depth=3
	v_and_b32_e32 v22, 0x7f, v47
	v_cmp_ne_u32_e32 vcc, s86, v22
	v_mov_b32_e32 v5, 0x7f800001
	s_and_saveexec_b64 s[34:35], vcc
	s_cbranch_execz .LBB6_18405
; %bb.18404:                            ;   in Loop: Header=BB6_16537 Depth=3
	v_and_b32_e32 v5, 7, v47
	v_ffbh_u32_e32 v5, v5
	v_min_u32_e32 v5, 32, v5
	v_lshrrev_b32_e32 v23, 3, v22
	v_cmp_gt_u32_e32 vcc, 8, v22
	v_subrev_u32_e32 v22, 28, v5
	v_cndmask_b32_e32 v22, 0, v22, vcc
	v_lshlrev_b64 v[21:22], v22, v[20:21]
	v_sub_u32_e32 v5, 29, v5
	v_cndmask_b32_e32 v5, v23, v5, vcc
	v_lshlrev_b32_e32 v21, 20, v21
	v_lshlrev_b32_e32 v22, 24, v20
	v_bfrev_b32_e32 v23, 60
	v_and_b32_e32 v21, 0x700000, v21
	v_and_b32_e32 v22, 0x80000000, v22
	v_lshl_add_u32 v5, v5, 23, v23
	v_or3_b32 v5, v22, v5, v21
.LBB6_18405:                            ;   in Loop: Header=BB6_16537 Depth=3
	s_or_b64 exec, exec, s[34:35]
.LBB6_18406:                            ;   in Loop: Header=BB6_16537 Depth=3
	s_or_b64 exec, exec, s[30:31]
.LBB6_18407:                            ;   in Loop: Header=BB6_16537 Depth=3
	s_or_b64 exec, exec, s[28:29]
	v_cmp_ne_u16_sdwa vcc, v16, v51 src0_sel:BYTE_0 src1_sel:DWORD
	s_and_saveexec_b64 s[28:29], vcc
	s_cbranch_execz .LBB6_18413
; %bb.18408:                            ;   in Loop: Header=BB6_16537 Depth=3
	v_cmp_ne_u16_sdwa vcc, v16, s96 src0_sel:BYTE_0 src1_sel:DWORD
	v_bfrev_b32_e32 v3, 1
	s_and_saveexec_b64 s[30:31], vcc
	s_cbranch_execz .LBB6_18412
; %bb.18409:                            ;   in Loop: Header=BB6_16537 Depth=3
	v_and_b32_e32 v21, 0x7f, v16
	v_cmp_ne_u32_e32 vcc, s86, v21
	v_mov_b32_e32 v3, 0x7f800001
	s_and_saveexec_b64 s[34:35], vcc
	s_cbranch_execz .LBB6_18411
; %bb.18410:                            ;   in Loop: Header=BB6_16537 Depth=3
	v_and_b32_e32 v3, 7, v16
	v_ffbh_u32_e32 v3, v3
	v_min_u32_e32 v3, 32, v3
	v_lshrrev_b32_e32 v22, 3, v21
	v_cmp_gt_u32_e32 vcc, 8, v21
	v_subrev_u32_e32 v21, 28, v3
	v_sub_u32_e32 v3, 29, v3
	v_cndmask_b32_e32 v21, 0, v21, vcc
	v_cndmask_b32_e32 v3, v22, v3, vcc
	v_lshlrev_b64 v[21:22], v21, v[16:17]
	v_lshlrev_b32_e32 v22, 24, v16
	v_lshlrev_b32_e32 v21, 20, v21
	v_bfrev_b32_e32 v23, 60
	v_and_b32_e32 v21, 0x700000, v21
	v_and_b32_e32 v22, 0x80000000, v22
	v_lshl_add_u32 v3, v3, 23, v23
	v_or3_b32 v3, v22, v3, v21
.LBB6_18411:                            ;   in Loop: Header=BB6_16537 Depth=3
	s_or_b64 exec, exec, s[34:35]
.LBB6_18412:                            ;   in Loop: Header=BB6_16537 Depth=3
	s_or_b64 exec, exec, s[30:31]
.LBB6_18413:                            ;   in Loop: Header=BB6_16537 Depth=3
	s_or_b64 exec, exec, s[28:29]
	v_add_f32_e32 v5, v5, v3
	v_and_b32_e32 v21, 0x7f800000, v5
	v_mov_b32_e32 v22, v51
	v_cmp_ne_u64_e32 vcc, s[76:77], v[21:22]
                                        ; implicit-def: $vgpr3
                                        ; kill: killed $vgpr3
	s_and_saveexec_b64 s[28:29], vcc
	s_xor_b64 s[30:31], exec, s[28:29]
	s_cbranch_execz .LBB6_18427
; %bb.18414:                            ;   in Loop: Header=BB6_16537 Depth=3
	v_and_b32_e32 v21, 0x7fffffff, v5
	v_mov_b32_e32 v22, v51
	v_cmp_gt_u64_e32 vcc, s[78:79], v[21:22]
	v_and_b32_sdwa v3, v5, s96 dst_sel:DWORD dst_unused:UNUSED_PAD src0_sel:BYTE_3 src1_sel:DWORD
                                        ; implicit-def: $vgpr21
                                        ; kill: killed $vgpr21
	s_and_saveexec_b64 s[28:29], vcc
	s_xor_b64 s[34:35], exec, s[28:29]
	s_cbranch_execz .LBB6_18424
; %bb.18415:                            ;   in Loop: Header=BB6_16537 Depth=3
	v_mov_b32_e32 v21, 0
	v_cmp_ne_u32_e32 vcc, 0, v5
	buffer_store_dword v21, off, s[0:3], s33 offset:248 ; 4-byte Folded Spill
	s_and_saveexec_b64 s[36:37], vcc
	s_cbranch_execz .LBB6_18423
; %bb.18416:                            ;   in Loop: Header=BB6_16537 Depth=3
	v_and_b32_e32 v21, 0x7fffff, v5
	v_bfe_u32 v5, v5, 23, 8
	v_cmp_gt_u32_e64 s[28:29], s97, v5
	v_sub_u32_e32 v22, 0x79, v5
	v_cmp_eq_u32_e32 vcc, 0, v5
	v_cndmask_b32_e64 v22, 0, v22, s[28:29]
	v_mov_b32_e32 v24, 0x78
	v_or_b32_e32 v23, 0x800000, v21
	v_cndmask_b32_e32 v24, v22, v24, vcc
	v_cndmask_b32_e32 v21, v23, v21, vcc
	v_add_u32_e32 v23, 20, v24
	v_lshlrev_b64 v[28:29], v23, -1
	v_mov_b32_e32 v22, v51
	v_add_u32_e32 v23, 19, v24
	v_mov_b32_e32 v33, v32
	v_mov_b32_e32 v25, v31
	v_bfi_b32 v28, v28, 0, v21
	v_lshlrev_b64 v[31:32], v23, 1
	v_lshrrev_b64 v[21:22], v24, v[21:22]
	v_bfi_b32 v29, v29, 0, 0
	v_cmp_eq_u64_e64 s[28:29], v[28:29], v[31:32]
	v_mov_b32_e32 v23, v22
	v_mov_b32_e32 v22, v21
	s_and_saveexec_b64 s[38:39], s[28:29]
; %bb.18417:                            ;   in Loop: Header=BB6_16537 Depth=3
	v_bfe_u32 v22, v21, 20, 1
	v_add_co_u32_e64 v22, s[28:29], v21, v22
	v_add_co_u32_e64 v22, s[28:29], -1, v22
; %bb.18418:                            ;   in Loop: Header=BB6_16537 Depth=3
	s_or_b64 exec, exec, s[38:39]
	v_add_u32_e32 v5, 0xffffff81, v5
	v_mov_b32_e32 v23, 0xffffff82
	v_cndmask_b32_e32 v5, v5, v23, vcc
	v_lshrrev_b32_e32 v23, 23, v21
	v_add3_u32 v24, v24, v5, v23
	v_add_u32_e32 v23, 6, v24
	v_and_b32_e32 v5, 0xfffff, v22
	v_add_u32_e32 v21, v5, v21
	v_mov_b32_e32 v22, v51
	v_cmp_ne_u32_e32 vcc, 0, v23
                                        ; implicit-def: $vgpr5
	s_and_saveexec_b64 s[28:29], vcc
	s_xor_b64 s[28:29], exec, s[28:29]
; %bb.18419:                            ;   in Loop: Header=BB6_16537 Depth=3
	v_cmp_lt_u64_e32 vcc, s[88:89], v[21:22]
	v_add_u32_e32 v5, 7, v24
	v_cndmask_b32_e32 v5, v23, v5, vcc
	v_cndmask_b32_e64 v23, 0, 1, vcc
	v_lshrrev_b64 v[21:22], v23, v[21:22]
; %bb.18420:                            ;   in Loop: Header=BB6_16537 Depth=3
	s_or_saveexec_b64 s[28:29], s[28:29]
	v_mov_b32_e32 v31, v25
	v_mov_b32_e32 v32, v33
	s_xor_b64 exec, exec, s[28:29]
; %bb.18421:                            ;   in Loop: Header=BB6_16537 Depth=3
	v_bfe_u32 v5, v21, 23, 1
; %bb.18422:                            ;   in Loop: Header=BB6_16537 Depth=3
	s_or_b64 exec, exec, s[28:29]
	v_lshrrev_b64 v[21:22], 20, v[21:22]
	v_cmp_gt_i32_e32 vcc, 16, v5
	v_cndmask_b32_e32 v22, 0, v22, vcc
	v_cndmask_b32_e32 v21, 7, v21, vcc
	v_cmp_eq_u32_e32 vcc, 0, v5
	v_min_i32_e32 v5, 15, v5
	v_cmp_eq_u64_e64 s[28:29], 0, v[21:22]
	v_lshlrev_b32_e32 v5, 3, v5
	v_and_b32_e32 v5, 0xf8, v5
	v_and_or_b32 v5, v21, 7, v5
	s_and_b64 s[28:29], vcc, s[28:29]
	v_cndmask_b32_e64 v5, v5, 0, s[28:29]
	v_or_b32_e32 v3, v5, v3
	buffer_store_dword v3, off, s[0:3], s33 offset:248 ; 4-byte Folded Spill
.LBB6_18423:                            ;   in Loop: Header=BB6_16537 Depth=3
	s_or_b64 exec, exec, s[36:37]
                                        ; implicit-def: $vgpr3
.LBB6_18424:                            ;   in Loop: Header=BB6_16537 Depth=3
	s_andn2_saveexec_b64 s[28:29], s[34:35]
	s_cbranch_execz .LBB6_18426
; %bb.18425:                            ;   in Loop: Header=BB6_16537 Depth=3
	v_or_b32_e32 v3, 0x7e, v3
	buffer_store_dword v3, off, s[0:3], s33 offset:248 ; 4-byte Folded Spill
.LBB6_18426:                            ;   in Loop: Header=BB6_16537 Depth=3
	s_or_b64 exec, exec, s[28:29]
                                        ; implicit-def: $vgpr5
.LBB6_18427:                            ;   in Loop: Header=BB6_16537 Depth=3
	s_andn2_saveexec_b64 s[28:29], s[30:31]
	s_cbranch_execz .LBB6_18429
; %bb.18428:                            ;   in Loop: Header=BB6_16537 Depth=3
	v_or_b32_sdwa v3, v5, s86 dst_sel:DWORD dst_unused:UNUSED_PAD src0_sel:BYTE_3 src1_sel:DWORD
	buffer_store_dword v3, off, s[0:3], s33 offset:248 ; 4-byte Folded Spill
.LBB6_18429:                            ;   in Loop: Header=BB6_16537 Depth=3
	s_or_b64 exec, exec, s[28:29]
	v_lshrrev_b16_e32 v21, 8, v0
	v_cmp_ne_u16_e32 vcc, 0, v21
	v_mov_b32_e32 v3, 0
	v_mov_b32_e32 v5, 0
	s_and_saveexec_b64 s[28:29], vcc
	s_cbranch_execz .LBB6_18435
; %bb.18430:                            ;   in Loop: Header=BB6_16537 Depth=3
	v_cmp_ne_u16_e32 vcc, s96, v21
	v_bfrev_b32_e32 v5, 1
	s_and_saveexec_b64 s[30:31], vcc
	s_cbranch_execz .LBB6_18434
; %bb.18431:                            ;   in Loop: Header=BB6_16537 Depth=3
	v_and_b32_e32 v22, 0x7f, v21
	v_cmp_ne_u32_e32 vcc, s86, v22
	v_mov_b32_e32 v5, 0x7f800001
	s_and_saveexec_b64 s[34:35], vcc
	s_cbranch_execz .LBB6_18433
; %bb.18432:                            ;   in Loop: Header=BB6_16537 Depth=3
	v_and_b32_e32 v5, 7, v21
	v_lshrrev_b32_e32 v23, 3, v22
	v_cmp_gt_u32_e32 vcc, 8, v22
	v_ffbh_u32_e32 v22, v5
	v_min_u32_e32 v24, 32, v22
	v_subrev_u32_e32 v22, 28, v24
	v_lshlrev_b64 v[21:22], v22, v[21:22]
	v_sub_u32_e32 v22, 29, v24
	v_and_b32_e32 v21, 7, v21
	v_cndmask_b32_e32 v22, v23, v22, vcc
	v_cndmask_b32_e32 v5, v5, v21, vcc
	v_lshlrev_b32_e32 v0, 16, v0
	v_bfrev_b32_e32 v21, 60
	v_lshlrev_b32_e32 v5, 20, v5
	v_and_b32_e32 v0, 0x80000000, v0
	v_lshl_add_u32 v21, v22, 23, v21
	v_or3_b32 v5, v0, v21, v5
.LBB6_18433:                            ;   in Loop: Header=BB6_16537 Depth=3
	s_or_b64 exec, exec, s[34:35]
.LBB6_18434:                            ;   in Loop: Header=BB6_16537 Depth=3
	s_or_b64 exec, exec, s[30:31]
.LBB6_18435:                            ;   in Loop: Header=BB6_16537 Depth=3
	s_or_b64 exec, exec, s[28:29]
	v_lshrrev_b16_e32 v21, 8, v16
	v_cmp_ne_u16_e32 vcc, 0, v21
	s_and_saveexec_b64 s[28:29], vcc
	s_cbranch_execz .LBB6_18441
; %bb.18436:                            ;   in Loop: Header=BB6_16537 Depth=3
	v_cmp_ne_u16_e32 vcc, s96, v21
	v_bfrev_b32_e32 v3, 1
	s_and_saveexec_b64 s[30:31], vcc
	s_cbranch_execz .LBB6_18440
; %bb.18437:                            ;   in Loop: Header=BB6_16537 Depth=3
	v_and_b32_e32 v0, 0x7f, v21
	v_cmp_ne_u32_e32 vcc, s86, v0
	v_mov_b32_e32 v3, 0x7f800001
	s_and_saveexec_b64 s[34:35], vcc
	s_cbranch_execz .LBB6_18439
; %bb.18438:                            ;   in Loop: Header=BB6_16537 Depth=3
	v_and_b32_e32 v3, 7, v21
	v_lshrrev_b32_e32 v23, 3, v0
	v_cmp_gt_u32_e32 vcc, 8, v0
	v_ffbh_u32_e32 v0, v3
	v_min_u32_e32 v0, 32, v0
	v_subrev_u32_e32 v22, 28, v0
	v_lshlrev_b64 v[21:22], v22, v[21:22]
	v_sub_u32_e32 v0, 29, v0
	v_and_b32_e32 v21, 7, v21
	v_cndmask_b32_e32 v0, v23, v0, vcc
	v_cndmask_b32_e32 v3, v3, v21, vcc
	v_lshlrev_b32_e32 v21, 16, v16
	v_bfrev_b32_e32 v22, 60
	v_lshlrev_b32_e32 v3, 20, v3
	v_and_b32_e32 v21, 0x80000000, v21
	v_lshl_add_u32 v0, v0, 23, v22
	v_or3_b32 v3, v21, v0, v3
.LBB6_18439:                            ;   in Loop: Header=BB6_16537 Depth=3
	s_or_b64 exec, exec, s[34:35]
.LBB6_18440:                            ;   in Loop: Header=BB6_16537 Depth=3
	s_or_b64 exec, exec, s[30:31]
.LBB6_18441:                            ;   in Loop: Header=BB6_16537 Depth=3
	s_or_b64 exec, exec, s[28:29]
	v_add_f32_e32 v3, v5, v3
	v_and_b32_e32 v21, 0x7f800000, v3
	v_mov_b32_e32 v22, v51
	v_cmp_ne_u64_e32 vcc, s[76:77], v[21:22]
                                        ; implicit-def: $vgpr0
                                        ; kill: killed $vgpr0
	s_and_saveexec_b64 s[28:29], vcc
	s_xor_b64 s[30:31], exec, s[28:29]
	s_cbranch_execz .LBB6_18455
; %bb.18442:                            ;   in Loop: Header=BB6_16537 Depth=3
	v_and_b32_e32 v21, 0x7fffffff, v3
	v_mov_b32_e32 v22, v51
	v_cmp_gt_u64_e32 vcc, s[78:79], v[21:22]
	v_and_b32_sdwa v0, v3, s96 dst_sel:DWORD dst_unused:UNUSED_PAD src0_sel:BYTE_3 src1_sel:DWORD
                                        ; implicit-def: $vgpr5
                                        ; kill: killed $vgpr5
	s_and_saveexec_b64 s[28:29], vcc
	s_xor_b64 s[34:35], exec, s[28:29]
	s_cbranch_execz .LBB6_18452
; %bb.18443:                            ;   in Loop: Header=BB6_16537 Depth=3
	v_mov_b32_e32 v5, 0
	v_cmp_ne_u32_e32 vcc, 0, v3
	buffer_store_dword v5, off, s[0:3], s33 offset:268 ; 4-byte Folded Spill
	s_and_saveexec_b64 s[36:37], vcc
	s_cbranch_execz .LBB6_18451
; %bb.18444:                            ;   in Loop: Header=BB6_16537 Depth=3
	v_and_b32_e32 v21, 0x7fffff, v3
	v_bfe_u32 v3, v3, 23, 8
	v_cmp_gt_u32_e64 s[28:29], s97, v3
	v_sub_u32_e32 v5, 0x79, v3
	v_cmp_eq_u32_e32 vcc, 0, v3
	v_cndmask_b32_e64 v5, 0, v5, s[28:29]
	v_mov_b32_e32 v23, 0x78
	v_cndmask_b32_e32 v5, v5, v23, vcc
	v_add_u32_e32 v23, 20, v5
	v_or_b32_e32 v22, 0x800000, v21
	v_lshlrev_b64 v[23:24], v23, -1
	v_cndmask_b32_e32 v21, v22, v21, vcc
	v_mov_b32_e32 v22, v51
	v_add_u32_e32 v25, 19, v5
	v_bfi_b32 v23, v23, 0, v21
	v_lshlrev_b64 v[28:29], v25, 1
	v_lshrrev_b64 v[21:22], v5, v[21:22]
	v_bfi_b32 v24, v24, 0, 0
	v_cmp_eq_u64_e64 s[28:29], v[23:24], v[28:29]
	v_mov_b32_e32 v23, v22
	v_mov_b32_e32 v22, v21
	s_and_saveexec_b64 s[38:39], s[28:29]
; %bb.18445:                            ;   in Loop: Header=BB6_16537 Depth=3
	v_bfe_u32 v22, v21, 20, 1
	v_add_co_u32_e64 v22, s[28:29], v21, v22
	v_add_co_u32_e64 v22, s[28:29], -1, v22
; %bb.18446:                            ;   in Loop: Header=BB6_16537 Depth=3
	s_or_b64 exec, exec, s[38:39]
	v_add_u32_e32 v3, 0xffffff81, v3
	v_mov_b32_e32 v23, 0xffffff82
	v_cndmask_b32_e32 v3, v3, v23, vcc
	v_lshrrev_b32_e32 v23, 23, v21
	v_add3_u32 v23, v5, v3, v23
	v_add_u32_e32 v5, 6, v23
	v_and_b32_e32 v3, 0xfffff, v22
	v_add_u32_e32 v21, v3, v21
	v_mov_b32_e32 v22, v51
	v_cmp_ne_u32_e32 vcc, 0, v5
                                        ; implicit-def: $vgpr3
	s_and_saveexec_b64 s[28:29], vcc
	s_xor_b64 s[28:29], exec, s[28:29]
; %bb.18447:                            ;   in Loop: Header=BB6_16537 Depth=3
	v_cmp_lt_u64_e32 vcc, s[88:89], v[21:22]
	v_add_u32_e32 v3, 7, v23
	v_cndmask_b32_e32 v3, v5, v3, vcc
	v_cndmask_b32_e64 v5, 0, 1, vcc
	v_lshrrev_b64 v[21:22], v5, v[21:22]
; %bb.18448:                            ;   in Loop: Header=BB6_16537 Depth=3
	s_andn2_saveexec_b64 s[28:29], s[28:29]
; %bb.18449:                            ;   in Loop: Header=BB6_16537 Depth=3
	v_bfe_u32 v3, v21, 23, 1
; %bb.18450:                            ;   in Loop: Header=BB6_16537 Depth=3
	s_or_b64 exec, exec, s[28:29]
	v_lshrrev_b64 v[21:22], 20, v[21:22]
	v_cmp_gt_i32_e32 vcc, 16, v3
	v_cndmask_b32_e32 v22, 0, v22, vcc
	v_cndmask_b32_e32 v21, 7, v21, vcc
	v_cmp_eq_u32_e32 vcc, 0, v3
	v_min_i32_e32 v3, 15, v3
	v_cmp_eq_u64_e64 s[28:29], 0, v[21:22]
	v_lshlrev_b32_e32 v3, 3, v3
	v_and_b32_e32 v3, 0xf8, v3
	v_and_or_b32 v3, v21, 7, v3
	s_and_b64 s[28:29], vcc, s[28:29]
	v_cndmask_b32_e64 v3, v3, 0, s[28:29]
	v_or_b32_e32 v0, v3, v0
	buffer_store_dword v0, off, s[0:3], s33 offset:268 ; 4-byte Folded Spill
.LBB6_18451:                            ;   in Loop: Header=BB6_16537 Depth=3
	s_or_b64 exec, exec, s[36:37]
                                        ; implicit-def: $vgpr0
.LBB6_18452:                            ;   in Loop: Header=BB6_16537 Depth=3
	s_andn2_saveexec_b64 s[28:29], s[34:35]
	s_cbranch_execz .LBB6_18454
; %bb.18453:                            ;   in Loop: Header=BB6_16537 Depth=3
	v_or_b32_e32 v0, 0x7e, v0
	buffer_store_dword v0, off, s[0:3], s33 offset:268 ; 4-byte Folded Spill
.LBB6_18454:                            ;   in Loop: Header=BB6_16537 Depth=3
	s_or_b64 exec, exec, s[28:29]
                                        ; implicit-def: $vgpr3
.LBB6_18455:                            ;   in Loop: Header=BB6_16537 Depth=3
	s_andn2_saveexec_b64 s[28:29], s[30:31]
	s_cbranch_execz .LBB6_18457
; %bb.18456:                            ;   in Loop: Header=BB6_16537 Depth=3
	v_or_b32_sdwa v0, v3, s86 dst_sel:DWORD dst_unused:UNUSED_PAD src0_sel:BYTE_3 src1_sel:DWORD
	buffer_store_dword v0, off, s[0:3], s33 offset:268 ; 4-byte Folded Spill
.LBB6_18457:                            ;   in Loop: Header=BB6_16537 Depth=3
	s_or_b64 exec, exec, s[28:29]
	v_lshrrev_b32_e32 v21, 16, v20
	v_cmp_ne_u16_sdwa vcc, v21, v51 src0_sel:BYTE_0 src1_sel:DWORD
	v_mov_b32_e32 v0, 0
	v_mov_b32_e32 v3, 0
	s_and_saveexec_b64 s[28:29], vcc
	s_cbranch_execz .LBB6_18463
; %bb.18458:                            ;   in Loop: Header=BB6_16537 Depth=3
	v_cmp_ne_u16_sdwa vcc, v21, s96 src0_sel:BYTE_0 src1_sel:DWORD
	v_bfrev_b32_e32 v3, 1
	s_and_saveexec_b64 s[30:31], vcc
	s_cbranch_execz .LBB6_18462
; %bb.18459:                            ;   in Loop: Header=BB6_16537 Depth=3
	v_bfe_u32 v5, v20, 16, 7
	v_cmp_ne_u32_e32 vcc, s86, v5
	v_mov_b32_e32 v3, 0x7f800001
	s_and_saveexec_b64 s[34:35], vcc
	s_cbranch_execz .LBB6_18461
; %bb.18460:                            ;   in Loop: Header=BB6_16537 Depth=3
	v_and_b32_e32 v3, 7, v21
	v_lshrrev_b32_e32 v24, 3, v5
	v_cmp_gt_u32_e32 vcc, 8, v5
	v_ffbh_u32_e32 v5, v3
	v_min_u32_e32 v5, 32, v5
	v_subrev_u32_e32 v22, 28, v5
	v_lshlrev_b64 v[22:23], v22, v[21:22]
	v_sub_u32_e32 v5, 29, v5
	v_and_b32_e32 v22, 7, v22
	v_cndmask_b32_e32 v5, v24, v5, vcc
	v_cndmask_b32_e32 v3, v3, v22, vcc
	v_lshlrev_b32_e32 v21, 24, v21
	v_bfrev_b32_e32 v22, 60
	v_lshlrev_b32_e32 v3, 20, v3
	v_and_b32_e32 v21, 0x80000000, v21
	v_lshl_add_u32 v5, v5, 23, v22
	v_or3_b32 v3, v21, v5, v3
.LBB6_18461:                            ;   in Loop: Header=BB6_16537 Depth=3
	s_or_b64 exec, exec, s[34:35]
.LBB6_18462:                            ;   in Loop: Header=BB6_16537 Depth=3
	s_or_b64 exec, exec, s[30:31]
.LBB6_18463:                            ;   in Loop: Header=BB6_16537 Depth=3
	s_or_b64 exec, exec, s[28:29]
	v_lshrrev_b32_e32 v21, 16, v16
	v_cmp_ne_u16_sdwa vcc, v21, v51 src0_sel:BYTE_0 src1_sel:DWORD
	s_and_saveexec_b64 s[28:29], vcc
	s_cbranch_execz .LBB6_18469
; %bb.18464:                            ;   in Loop: Header=BB6_16537 Depth=3
	v_cmp_ne_u16_sdwa vcc, v21, s96 src0_sel:BYTE_0 src1_sel:DWORD
	v_bfrev_b32_e32 v0, 1
	s_and_saveexec_b64 s[30:31], vcc
	s_cbranch_execz .LBB6_18468
; %bb.18465:                            ;   in Loop: Header=BB6_16537 Depth=3
	v_bfe_u32 v5, v16, 16, 7
	v_cmp_ne_u32_e32 vcc, s86, v5
	v_mov_b32_e32 v0, 0x7f800001
	s_and_saveexec_b64 s[34:35], vcc
	s_cbranch_execz .LBB6_18467
; %bb.18466:                            ;   in Loop: Header=BB6_16537 Depth=3
	v_and_b32_e32 v0, 7, v21
	v_lshrrev_b32_e32 v23, 3, v5
	v_cmp_gt_u32_e32 vcc, 8, v5
	v_ffbh_u32_e32 v5, v0
	v_min_u32_e32 v5, 32, v5
	v_subrev_u32_e32 v22, 28, v5
	v_lshlrev_b64 v[21:22], v22, v[21:22]
	v_sub_u32_e32 v5, 29, v5
	v_and_b32_e32 v21, 7, v21
	v_cndmask_b32_e32 v5, v23, v5, vcc
	v_cndmask_b32_e32 v0, v0, v21, vcc
	v_lshlrev_b32_e32 v21, 8, v16
	v_bfrev_b32_e32 v22, 60
	v_lshlrev_b32_e32 v0, 20, v0
	v_and_b32_e32 v21, 0x80000000, v21
	v_lshl_add_u32 v5, v5, 23, v22
	v_or3_b32 v0, v21, v5, v0
.LBB6_18467:                            ;   in Loop: Header=BB6_16537 Depth=3
	s_or_b64 exec, exec, s[34:35]
.LBB6_18468:                            ;   in Loop: Header=BB6_16537 Depth=3
	s_or_b64 exec, exec, s[30:31]
.LBB6_18469:                            ;   in Loop: Header=BB6_16537 Depth=3
	s_or_b64 exec, exec, s[28:29]
	v_add_f32_e32 v3, v3, v0
	v_and_b32_e32 v21, 0x7f800000, v3
	v_mov_b32_e32 v22, v51
	v_cmp_ne_u64_e32 vcc, s[76:77], v[21:22]
                                        ; implicit-def: $vgpr0
                                        ; kill: killed $vgpr0
	s_and_saveexec_b64 s[28:29], vcc
	s_xor_b64 s[30:31], exec, s[28:29]
	s_cbranch_execz .LBB6_18483
; %bb.18470:                            ;   in Loop: Header=BB6_16537 Depth=3
	v_and_b32_e32 v21, 0x7fffffff, v3
	v_mov_b32_e32 v22, v51
	v_cmp_gt_u64_e32 vcc, s[78:79], v[21:22]
	v_and_b32_sdwa v0, v3, s96 dst_sel:DWORD dst_unused:UNUSED_PAD src0_sel:BYTE_3 src1_sel:DWORD
                                        ; implicit-def: $vgpr5
                                        ; kill: killed $vgpr5
	s_and_saveexec_b64 s[28:29], vcc
	s_xor_b64 s[34:35], exec, s[28:29]
	s_cbranch_execz .LBB6_18480
; %bb.18471:                            ;   in Loop: Header=BB6_16537 Depth=3
	v_mov_b32_e32 v5, 0
	v_cmp_ne_u32_e32 vcc, 0, v3
	buffer_store_dword v5, off, s[0:3], s33 offset:284 ; 4-byte Folded Spill
	s_and_saveexec_b64 s[36:37], vcc
	s_cbranch_execz .LBB6_18479
; %bb.18472:                            ;   in Loop: Header=BB6_16537 Depth=3
	v_and_b32_e32 v21, 0x7fffff, v3
	v_bfe_u32 v3, v3, 23, 8
	v_cmp_gt_u32_e64 s[28:29], s97, v3
	v_sub_u32_e32 v5, 0x79, v3
	v_cmp_eq_u32_e32 vcc, 0, v3
	v_cndmask_b32_e64 v5, 0, v5, s[28:29]
	v_mov_b32_e32 v23, 0x78
	v_cndmask_b32_e32 v5, v5, v23, vcc
	v_add_u32_e32 v23, 20, v5
	v_or_b32_e32 v22, 0x800000, v21
	v_lshlrev_b64 v[23:24], v23, -1
	v_cndmask_b32_e32 v21, v22, v21, vcc
	v_mov_b32_e32 v22, v51
	v_add_u32_e32 v25, 19, v5
	v_mov_b32_e32 v29, v32
	v_mov_b32_e32 v28, v31
	v_bfi_b32 v23, v23, 0, v21
	v_lshlrev_b64 v[31:32], v25, 1
	v_lshrrev_b64 v[21:22], v5, v[21:22]
	v_bfi_b32 v24, v24, 0, 0
	v_cmp_eq_u64_e64 s[28:29], v[23:24], v[31:32]
	v_mov_b32_e32 v23, v22
	v_mov_b32_e32 v22, v21
	s_and_saveexec_b64 s[38:39], s[28:29]
; %bb.18473:                            ;   in Loop: Header=BB6_16537 Depth=3
	v_bfe_u32 v22, v21, 20, 1
	v_add_co_u32_e64 v22, s[28:29], v21, v22
	v_add_co_u32_e64 v22, s[28:29], -1, v22
; %bb.18474:                            ;   in Loop: Header=BB6_16537 Depth=3
	s_or_b64 exec, exec, s[38:39]
	v_add_u32_e32 v3, 0xffffff81, v3
	v_mov_b32_e32 v23, 0xffffff82
	v_cndmask_b32_e32 v3, v3, v23, vcc
	v_lshrrev_b32_e32 v23, 23, v21
	v_add3_u32 v23, v5, v3, v23
	v_add_u32_e32 v5, 6, v23
	v_and_b32_e32 v3, 0xfffff, v22
	v_add_u32_e32 v21, v3, v21
	v_mov_b32_e32 v22, v51
	v_cmp_ne_u32_e32 vcc, 0, v5
                                        ; implicit-def: $vgpr3
	s_and_saveexec_b64 s[28:29], vcc
	s_xor_b64 s[28:29], exec, s[28:29]
; %bb.18475:                            ;   in Loop: Header=BB6_16537 Depth=3
	v_cmp_lt_u64_e32 vcc, s[88:89], v[21:22]
	v_add_u32_e32 v3, 7, v23
	v_cndmask_b32_e32 v3, v5, v3, vcc
	v_cndmask_b32_e64 v5, 0, 1, vcc
	v_lshrrev_b64 v[21:22], v5, v[21:22]
; %bb.18476:                            ;   in Loop: Header=BB6_16537 Depth=3
	s_or_saveexec_b64 s[28:29], s[28:29]
	v_mov_b32_e32 v31, v28
	v_mov_b32_e32 v32, v29
	s_xor_b64 exec, exec, s[28:29]
; %bb.18477:                            ;   in Loop: Header=BB6_16537 Depth=3
	v_bfe_u32 v3, v21, 23, 1
; %bb.18478:                            ;   in Loop: Header=BB6_16537 Depth=3
	s_or_b64 exec, exec, s[28:29]
	v_lshrrev_b64 v[21:22], 20, v[21:22]
	v_cmp_gt_i32_e32 vcc, 16, v3
	v_cndmask_b32_e32 v22, 0, v22, vcc
	v_cndmask_b32_e32 v21, 7, v21, vcc
	v_cmp_eq_u32_e32 vcc, 0, v3
	v_min_i32_e32 v3, 15, v3
	v_cmp_eq_u64_e64 s[28:29], 0, v[21:22]
	v_lshlrev_b32_e32 v3, 3, v3
	v_and_b32_e32 v3, 0xf8, v3
	v_and_or_b32 v3, v21, 7, v3
	s_and_b64 s[28:29], vcc, s[28:29]
	v_cndmask_b32_e64 v3, v3, 0, s[28:29]
	v_or_b32_e32 v0, v3, v0
	buffer_store_dword v0, off, s[0:3], s33 offset:284 ; 4-byte Folded Spill
.LBB6_18479:                            ;   in Loop: Header=BB6_16537 Depth=3
	s_or_b64 exec, exec, s[36:37]
                                        ; implicit-def: $vgpr0
.LBB6_18480:                            ;   in Loop: Header=BB6_16537 Depth=3
	s_andn2_saveexec_b64 s[28:29], s[34:35]
	s_cbranch_execz .LBB6_18482
; %bb.18481:                            ;   in Loop: Header=BB6_16537 Depth=3
	v_or_b32_e32 v0, 0x7e, v0
	buffer_store_dword v0, off, s[0:3], s33 offset:284 ; 4-byte Folded Spill
.LBB6_18482:                            ;   in Loop: Header=BB6_16537 Depth=3
	s_or_b64 exec, exec, s[28:29]
                                        ; implicit-def: $vgpr3
.LBB6_18483:                            ;   in Loop: Header=BB6_16537 Depth=3
	s_andn2_saveexec_b64 s[28:29], s[30:31]
	s_cbranch_execz .LBB6_18485
; %bb.18484:                            ;   in Loop: Header=BB6_16537 Depth=3
	v_or_b32_sdwa v0, v3, s86 dst_sel:DWORD dst_unused:UNUSED_PAD src0_sel:BYTE_3 src1_sel:DWORD
	buffer_store_dword v0, off, s[0:3], s33 offset:284 ; 4-byte Folded Spill
.LBB6_18485:                            ;   in Loop: Header=BB6_16537 Depth=3
	s_or_b64 exec, exec, s[28:29]
	v_cmp_lt_u32_e32 vcc, s57, v20
	v_mov_b32_e32 v0, 0
	v_mov_b32_e32 v3, 0
	s_and_saveexec_b64 s[28:29], vcc
	s_cbranch_execz .LBB6_18491
; %bb.18486:                            ;   in Loop: Header=BB6_16537 Depth=3
	v_lshrrev_b32_e32 v21, 24, v20
	v_cmp_ne_u32_sdwa vcc, v20, s96 src0_sel:BYTE_3 src1_sel:DWORD
	v_bfrev_b32_e32 v3, 1
	s_and_saveexec_b64 s[30:31], vcc
	s_cbranch_execz .LBB6_18490
; %bb.18487:                            ;   in Loop: Header=BB6_16537 Depth=3
	v_bfe_u32 v5, v20, 24, 7
	v_cmp_ne_u32_e32 vcc, s86, v5
	v_mov_b32_e32 v3, 0x7f800001
	s_and_saveexec_b64 s[34:35], vcc
	s_cbranch_execz .LBB6_18489
; %bb.18488:                            ;   in Loop: Header=BB6_16537 Depth=3
	v_and_b32_e32 v3, 7, v21
	v_lshrrev_b32_e32 v23, 3, v5
	v_cmp_gt_u32_e32 vcc, 8, v5
	v_ffbh_u32_e32 v5, v3
	v_min_u32_e32 v5, 32, v5
	v_subrev_u32_e32 v22, 28, v5
	v_lshlrev_b64 v[21:22], v22, v[21:22]
	v_sub_u32_e32 v5, 29, v5
	v_and_b32_e32 v21, 7, v21
	v_cndmask_b32_e32 v3, v3, v21, vcc
	v_mov_b32_e32 v21, 24
	v_cndmask_b32_e32 v5, v23, v5, vcc
	v_lshlrev_b32_sdwa v20, v21, v20 dst_sel:DWORD dst_unused:UNUSED_PAD src0_sel:DWORD src1_sel:BYTE_3
	v_bfrev_b32_e32 v21, 60
	v_lshlrev_b32_e32 v3, 20, v3
	v_and_b32_e32 v20, 0x80000000, v20
	v_lshl_add_u32 v5, v5, 23, v21
	v_or3_b32 v3, v20, v5, v3
.LBB6_18489:                            ;   in Loop: Header=BB6_16537 Depth=3
	s_or_b64 exec, exec, s[34:35]
.LBB6_18490:                            ;   in Loop: Header=BB6_16537 Depth=3
	s_or_b64 exec, exec, s[30:31]
.LBB6_18491:                            ;   in Loop: Header=BB6_16537 Depth=3
	s_or_b64 exec, exec, s[28:29]
	v_cmp_lt_u32_e32 vcc, s57, v16
	s_and_saveexec_b64 s[28:29], vcc
	s_cbranch_execz .LBB6_18497
; %bb.18492:                            ;   in Loop: Header=BB6_16537 Depth=3
	v_lshrrev_b32_e32 v20, 24, v16
	v_cmp_ne_u32_e32 vcc, s96, v20
	v_bfrev_b32_e32 v0, 1
	s_and_saveexec_b64 s[30:31], vcc
	s_cbranch_execz .LBB6_18496
; %bb.18493:                            ;   in Loop: Header=BB6_16537 Depth=3
	v_bfe_u32 v5, v16, 24, 7
	v_cmp_ne_u32_e32 vcc, s86, v5
	v_mov_b32_e32 v0, 0x7f800001
	s_and_saveexec_b64 s[34:35], vcc
	s_cbranch_execz .LBB6_18495
; %bb.18494:                            ;   in Loop: Header=BB6_16537 Depth=3
	v_and_b32_e32 v0, 7, v20
	v_lshrrev_b32_e32 v23, 3, v5
	v_cmp_gt_u32_e32 vcc, 8, v5
	v_ffbh_u32_e32 v5, v0
	v_min_u32_e32 v5, 32, v5
	v_subrev_u32_e32 v21, 28, v5
	v_lshlrev_b64 v[21:22], v21, v[20:21]
	v_sub_u32_e32 v5, 29, v5
	v_and_b32_e32 v21, 7, v21
	v_cndmask_b32_e32 v5, v23, v5, vcc
	v_cndmask_b32_e32 v0, v0, v21, vcc
	v_lshlrev_b32_e32 v20, 24, v20
	v_bfrev_b32_e32 v21, 60
	v_lshlrev_b32_e32 v0, 20, v0
	v_and_b32_e32 v20, 0x80000000, v20
	v_lshl_add_u32 v5, v5, 23, v21
	v_or3_b32 v0, v20, v5, v0
.LBB6_18495:                            ;   in Loop: Header=BB6_16537 Depth=3
	s_or_b64 exec, exec, s[34:35]
.LBB6_18496:                            ;   in Loop: Header=BB6_16537 Depth=3
	s_or_b64 exec, exec, s[30:31]
.LBB6_18497:                            ;   in Loop: Header=BB6_16537 Depth=3
	s_or_b64 exec, exec, s[28:29]
	v_add_f32_e32 v3, v3, v0
	v_and_b32_e32 v20, 0x7f800000, v3
	v_mov_b32_e32 v21, v51
	v_cmp_ne_u64_e32 vcc, s[76:77], v[20:21]
                                        ; implicit-def: $vgpr0
                                        ; kill: killed $vgpr0
	s_and_saveexec_b64 s[28:29], vcc
	s_xor_b64 s[30:31], exec, s[28:29]
	s_cbranch_execz .LBB6_18511
; %bb.18498:                            ;   in Loop: Header=BB6_16537 Depth=3
	v_and_b32_e32 v20, 0x7fffffff, v3
	v_mov_b32_e32 v21, v51
	v_cmp_gt_u64_e32 vcc, s[78:79], v[20:21]
	v_and_b32_sdwa v0, v3, s96 dst_sel:DWORD dst_unused:UNUSED_PAD src0_sel:BYTE_3 src1_sel:DWORD
                                        ; implicit-def: $vgpr5
                                        ; kill: killed $vgpr5
	s_and_saveexec_b64 s[28:29], vcc
	s_xor_b64 s[34:35], exec, s[28:29]
	s_cbranch_execz .LBB6_18508
; %bb.18499:                            ;   in Loop: Header=BB6_16537 Depth=3
	v_mov_b32_e32 v5, 0
	v_cmp_ne_u32_e32 vcc, 0, v3
	buffer_store_dword v5, off, s[0:3], s33 offset:288 ; 4-byte Folded Spill
	s_and_saveexec_b64 s[36:37], vcc
	s_cbranch_execz .LBB6_18507
; %bb.18500:                            ;   in Loop: Header=BB6_16537 Depth=3
	v_and_b32_e32 v20, 0x7fffff, v3
	v_bfe_u32 v3, v3, 23, 8
	v_cmp_gt_u32_e64 s[28:29], s97, v3
	v_sub_u32_e32 v5, 0x79, v3
	v_cmp_eq_u32_e32 vcc, 0, v3
	v_cndmask_b32_e64 v5, 0, v5, s[28:29]
	v_mov_b32_e32 v22, 0x78
	v_cndmask_b32_e32 v5, v5, v22, vcc
	v_add_u32_e32 v22, 20, v5
	v_or_b32_e32 v21, 0x800000, v20
	v_lshlrev_b64 v[22:23], v22, -1
	v_cndmask_b32_e32 v20, v21, v20, vcc
	v_mov_b32_e32 v21, v51
	v_add_u32_e32 v24, 19, v5
	v_bfi_b32 v22, v22, 0, v20
	v_lshlrev_b64 v[24:25], v24, 1
	v_lshrrev_b64 v[20:21], v5, v[20:21]
	v_bfi_b32 v23, v23, 0, 0
	v_cmp_eq_u64_e64 s[28:29], v[22:23], v[24:25]
	v_mov_b32_e32 v22, v21
	v_mov_b32_e32 v21, v20
	s_and_saveexec_b64 s[38:39], s[28:29]
; %bb.18501:                            ;   in Loop: Header=BB6_16537 Depth=3
	v_bfe_u32 v21, v20, 20, 1
	v_add_co_u32_e64 v21, s[28:29], v20, v21
	v_add_co_u32_e64 v21, s[28:29], -1, v21
; %bb.18502:                            ;   in Loop: Header=BB6_16537 Depth=3
	s_or_b64 exec, exec, s[38:39]
	v_add_u32_e32 v3, 0xffffff81, v3
	v_mov_b32_e32 v22, 0xffffff82
	v_cndmask_b32_e32 v3, v3, v22, vcc
	v_lshrrev_b32_e32 v22, 23, v20
	v_add3_u32 v22, v5, v3, v22
	v_add_u32_e32 v5, 6, v22
	v_and_b32_e32 v3, 0xfffff, v21
	v_add_u32_e32 v20, v3, v20
	v_mov_b32_e32 v21, v51
	v_cmp_ne_u32_e32 vcc, 0, v5
                                        ; implicit-def: $vgpr3
	s_and_saveexec_b64 s[28:29], vcc
	s_xor_b64 s[28:29], exec, s[28:29]
; %bb.18503:                            ;   in Loop: Header=BB6_16537 Depth=3
	v_cmp_lt_u64_e32 vcc, s[88:89], v[20:21]
	v_add_u32_e32 v3, 7, v22
	v_cndmask_b32_e32 v3, v5, v3, vcc
	v_cndmask_b32_e64 v5, 0, 1, vcc
	v_lshrrev_b64 v[20:21], v5, v[20:21]
; %bb.18504:                            ;   in Loop: Header=BB6_16537 Depth=3
	s_andn2_saveexec_b64 s[28:29], s[28:29]
; %bb.18505:                            ;   in Loop: Header=BB6_16537 Depth=3
	v_bfe_u32 v3, v20, 23, 1
; %bb.18506:                            ;   in Loop: Header=BB6_16537 Depth=3
	s_or_b64 exec, exec, s[28:29]
	v_lshrrev_b64 v[20:21], 20, v[20:21]
	v_cmp_gt_i32_e32 vcc, 16, v3
	v_cndmask_b32_e32 v21, 0, v21, vcc
	v_cndmask_b32_e32 v20, 7, v20, vcc
	v_cmp_eq_u32_e32 vcc, 0, v3
	v_min_i32_e32 v3, 15, v3
	v_cmp_eq_u64_e64 s[28:29], 0, v[20:21]
	v_lshlrev_b32_e32 v3, 3, v3
	v_and_b32_e32 v3, 0xf8, v3
	v_and_or_b32 v3, v20, 7, v3
	s_and_b64 s[28:29], vcc, s[28:29]
	v_cndmask_b32_e64 v3, v3, 0, s[28:29]
	v_or_b32_e32 v0, v3, v0
	buffer_store_dword v0, off, s[0:3], s33 offset:288 ; 4-byte Folded Spill
.LBB6_18507:                            ;   in Loop: Header=BB6_16537 Depth=3
	s_or_b64 exec, exec, s[36:37]
                                        ; implicit-def: $vgpr0
.LBB6_18508:                            ;   in Loop: Header=BB6_16537 Depth=3
	s_andn2_saveexec_b64 s[28:29], s[34:35]
	s_cbranch_execz .LBB6_18510
; %bb.18509:                            ;   in Loop: Header=BB6_16537 Depth=3
	v_or_b32_e32 v0, 0x7e, v0
	buffer_store_dword v0, off, s[0:3], s33 offset:288 ; 4-byte Folded Spill
.LBB6_18510:                            ;   in Loop: Header=BB6_16537 Depth=3
	s_or_b64 exec, exec, s[28:29]
                                        ; implicit-def: $vgpr3
.LBB6_18511:                            ;   in Loop: Header=BB6_16537 Depth=3
	s_andn2_saveexec_b64 s[28:29], s[30:31]
	s_cbranch_execz .LBB6_18513
; %bb.18512:                            ;   in Loop: Header=BB6_16537 Depth=3
	v_or_b32_sdwa v0, v3, s86 dst_sel:DWORD dst_unused:UNUSED_PAD src0_sel:BYTE_3 src1_sel:DWORD
	buffer_store_dword v0, off, s[0:3], s33 offset:288 ; 4-byte Folded Spill
.LBB6_18513:                            ;   in Loop: Header=BB6_16537 Depth=3
	s_or_b64 exec, exec, s[28:29]
	buffer_load_dword v0, off, s[0:3], s33 offset:232 ; 4-byte Folded Reload
	buffer_load_dword v3, off, s[0:3], s33 offset:252 ; 4-byte Folded Reload
	v_lshlrev_b32_e32 v1, 24, v1
	v_mov_b32_e32 v21, v51
	v_cmp_ne_u32_e32 vcc, 0, v56
	s_waitcnt vmcnt(1)
	v_lshl_or_b32 v0, v0, 8, v56
	s_waitcnt vmcnt(0)
	v_lshlrev_b32_e32 v3, 16, v3
	v_or3_b32 v20, v3, v1, v0
	v_mov_b32_e32 v3, 0
	v_mov_b32_e32 v1, 0
	s_and_saveexec_b64 s[28:29], vcc
	s_cbranch_execz .LBB6_18519
; %bb.18514:                            ;   in Loop: Header=BB6_16537 Depth=3
	v_cmp_ne_u32_e32 vcc, s96, v56
	v_bfrev_b32_e32 v1, 1
	s_and_saveexec_b64 s[30:31], vcc
	s_cbranch_execz .LBB6_18518
; %bb.18515:                            ;   in Loop: Header=BB6_16537 Depth=3
	v_and_b32_e32 v5, 0x7f, v56
	v_cmp_ne_u32_e32 vcc, s86, v5
	v_mov_b32_e32 v1, 0x7f800001
	s_and_saveexec_b64 s[34:35], vcc
	s_cbranch_execz .LBB6_18517
; %bb.18516:                            ;   in Loop: Header=BB6_16537 Depth=3
	v_and_b32_e32 v1, 7, v56
	v_ffbh_u32_e32 v1, v1
	v_min_u32_e32 v1, 32, v1
	v_lshrrev_b32_e32 v22, 3, v5
	v_cmp_gt_u32_e32 vcc, 8, v5
	v_subrev_u32_e32 v5, 28, v1
	v_sub_u32_e32 v1, 29, v1
	v_cndmask_b32_e32 v5, 0, v5, vcc
	v_cndmask_b32_e32 v1, v22, v1, vcc
	v_lshlrev_b64 v[21:22], v5, v[20:21]
	v_bfrev_b32_e32 v22, 60
	v_lshlrev_b32_e32 v5, 20, v21
	v_lshlrev_b32_e32 v21, 24, v20
	v_and_b32_e32 v5, 0x700000, v5
	v_and_b32_e32 v21, 0x80000000, v21
	v_lshl_add_u32 v1, v1, 23, v22
	v_or3_b32 v1, v21, v1, v5
.LBB6_18517:                            ;   in Loop: Header=BB6_16537 Depth=3
	s_or_b64 exec, exec, s[34:35]
.LBB6_18518:                            ;   in Loop: Header=BB6_16537 Depth=3
	s_or_b64 exec, exec, s[30:31]
.LBB6_18519:                            ;   in Loop: Header=BB6_16537 Depth=3
	s_or_b64 exec, exec, s[28:29]
	v_cmp_ne_u16_sdwa vcc, v17, v51 src0_sel:BYTE_0 src1_sel:DWORD
	s_and_saveexec_b64 s[28:29], vcc
	s_cbranch_execz .LBB6_18525
; %bb.18520:                            ;   in Loop: Header=BB6_16537 Depth=3
	v_cmp_ne_u16_sdwa vcc, v17, s96 src0_sel:BYTE_0 src1_sel:DWORD
	v_bfrev_b32_e32 v3, 1
	s_and_saveexec_b64 s[30:31], vcc
	s_cbranch_execz .LBB6_18524
; %bb.18521:                            ;   in Loop: Header=BB6_16537 Depth=3
	v_and_b32_e32 v5, 0x7f, v17
	v_cmp_ne_u32_e32 vcc, s86, v5
	v_mov_b32_e32 v3, 0x7f800001
	s_and_saveexec_b64 s[34:35], vcc
	s_cbranch_execz .LBB6_18523
; %bb.18522:                            ;   in Loop: Header=BB6_16537 Depth=3
	v_and_b32_e32 v3, 7, v17
	v_ffbh_u32_e32 v3, v3
	v_min_u32_e32 v3, 32, v3
	v_lshrrev_b32_e32 v23, 3, v5
	v_cmp_gt_u32_e32 vcc, 8, v5
	v_subrev_u32_e32 v5, 28, v3
	v_mov_b32_e32 v21, v17
	v_mov_b32_e32 v22, v51
	v_sub_u32_e32 v3, 29, v3
	v_cndmask_b32_e32 v5, 0, v5, vcc
	v_cndmask_b32_e32 v3, v23, v3, vcc
	v_lshlrev_b64 v[22:23], v5, v[21:22]
	v_lshlrev_b32_e32 v21, 24, v21
	v_lshlrev_b32_e32 v5, 20, v22
	v_bfrev_b32_e32 v22, 60
	v_and_b32_e32 v5, 0x700000, v5
	v_and_b32_e32 v21, 0x80000000, v21
	v_lshl_add_u32 v3, v3, 23, v22
	v_or3_b32 v3, v21, v3, v5
.LBB6_18523:                            ;   in Loop: Header=BB6_16537 Depth=3
	s_or_b64 exec, exec, s[34:35]
.LBB6_18524:                            ;   in Loop: Header=BB6_16537 Depth=3
	s_or_b64 exec, exec, s[30:31]
.LBB6_18525:                            ;   in Loop: Header=BB6_16537 Depth=3
	s_or_b64 exec, exec, s[28:29]
	v_add_f32_e32 v5, v1, v3
	v_and_b32_e32 v21, 0x7f800000, v5
	v_mov_b32_e32 v22, v51
	v_cmp_ne_u64_e32 vcc, s[76:77], v[21:22]
                                        ; implicit-def: $vgpr1
                                        ; kill: killed $vgpr1
	s_and_saveexec_b64 s[28:29], vcc
	s_xor_b64 s[30:31], exec, s[28:29]
	s_cbranch_execz .LBB6_18539
; %bb.18526:                            ;   in Loop: Header=BB6_16537 Depth=3
	v_and_b32_e32 v21, 0x7fffffff, v5
	v_mov_b32_e32 v22, v51
	v_cmp_gt_u64_e32 vcc, s[78:79], v[21:22]
	v_and_b32_sdwa v3, v5, s96 dst_sel:DWORD dst_unused:UNUSED_PAD src0_sel:BYTE_3 src1_sel:DWORD
                                        ; implicit-def: $vgpr1
                                        ; kill: killed $vgpr1
	s_and_saveexec_b64 s[28:29], vcc
	s_xor_b64 s[34:35], exec, s[28:29]
	s_cbranch_execz .LBB6_18536
; %bb.18527:                            ;   in Loop: Header=BB6_16537 Depth=3
	v_mov_b32_e32 v1, 0
	v_cmp_ne_u32_e32 vcc, 0, v5
	buffer_store_dword v1, off, s[0:3], s33 offset:232 ; 4-byte Folded Spill
	s_and_saveexec_b64 s[36:37], vcc
	s_cbranch_execz .LBB6_18535
; %bb.18528:                            ;   in Loop: Header=BB6_16537 Depth=3
	v_bfe_u32 v1, v5, 23, 8
	v_and_b32_e32 v21, 0x7fffff, v5
	v_cmp_gt_u32_e64 s[28:29], s97, v1
	v_sub_u32_e32 v5, 0x79, v1
	v_cmp_eq_u32_e32 vcc, 0, v1
	v_cndmask_b32_e64 v5, 0, v5, s[28:29]
	v_mov_b32_e32 v23, 0x78
	v_cndmask_b32_e32 v5, v5, v23, vcc
	v_add_u32_e32 v23, 20, v5
	v_or_b32_e32 v22, 0x800000, v21
	v_lshlrev_b64 v[23:24], v23, -1
	v_cndmask_b32_e32 v21, v22, v21, vcc
	v_mov_b32_e32 v22, v51
	v_add_u32_e32 v25, 19, v5
	v_mov_b32_e32 v28, v32
	v_bfi_b32 v23, v23, 0, v21
	v_lshlrev_b64 v[32:33], v25, 1
	v_lshrrev_b64 v[21:22], v5, v[21:22]
	v_bfi_b32 v24, v24, 0, 0
	v_cmp_eq_u64_e64 s[28:29], v[23:24], v[32:33]
	v_mov_b32_e32 v23, v22
	v_mov_b32_e32 v22, v21
	s_and_saveexec_b64 s[38:39], s[28:29]
; %bb.18529:                            ;   in Loop: Header=BB6_16537 Depth=3
	v_bfe_u32 v22, v21, 20, 1
	v_add_co_u32_e64 v22, s[28:29], v21, v22
	v_add_co_u32_e64 v22, s[28:29], -1, v22
; %bb.18530:                            ;   in Loop: Header=BB6_16537 Depth=3
	s_or_b64 exec, exec, s[38:39]
	v_add_u32_e32 v1, 0xffffff81, v1
	v_mov_b32_e32 v23, 0xffffff82
	v_cndmask_b32_e32 v1, v1, v23, vcc
	v_lshrrev_b32_e32 v23, 23, v21
	v_add3_u32 v23, v5, v1, v23
	v_add_u32_e32 v5, 6, v23
	v_and_b32_e32 v1, 0xfffff, v22
	v_add_u32_e32 v21, v1, v21
	v_mov_b32_e32 v22, v51
	v_cmp_ne_u32_e32 vcc, 0, v5
                                        ; implicit-def: $vgpr1
	s_and_saveexec_b64 s[28:29], vcc
	s_xor_b64 s[28:29], exec, s[28:29]
; %bb.18531:                            ;   in Loop: Header=BB6_16537 Depth=3
	v_cmp_lt_u64_e32 vcc, s[88:89], v[21:22]
	v_add_u32_e32 v1, 7, v23
	v_cndmask_b32_e32 v1, v5, v1, vcc
	v_cndmask_b32_e64 v5, 0, 1, vcc
	v_lshrrev_b64 v[21:22], v5, v[21:22]
; %bb.18532:                            ;   in Loop: Header=BB6_16537 Depth=3
	s_or_saveexec_b64 s[28:29], s[28:29]
	v_mov_b32_e32 v32, v28
	s_xor_b64 exec, exec, s[28:29]
; %bb.18533:                            ;   in Loop: Header=BB6_16537 Depth=3
	v_bfe_u32 v1, v21, 23, 1
; %bb.18534:                            ;   in Loop: Header=BB6_16537 Depth=3
	s_or_b64 exec, exec, s[28:29]
	v_lshrrev_b64 v[21:22], 20, v[21:22]
	v_cmp_gt_i32_e32 vcc, 16, v1
	v_cndmask_b32_e32 v22, 0, v22, vcc
	v_cndmask_b32_e32 v21, 7, v21, vcc
	v_cmp_eq_u32_e32 vcc, 0, v1
	v_min_i32_e32 v1, 15, v1
	v_cmp_eq_u64_e64 s[28:29], 0, v[21:22]
	v_lshlrev_b32_e32 v1, 3, v1
	v_and_b32_e32 v1, 0xf8, v1
	v_and_or_b32 v1, v21, 7, v1
	s_and_b64 s[28:29], vcc, s[28:29]
	v_cndmask_b32_e64 v1, v1, 0, s[28:29]
	v_or_b32_e32 v1, v1, v3
	buffer_store_dword v1, off, s[0:3], s33 offset:232 ; 4-byte Folded Spill
.LBB6_18535:                            ;   in Loop: Header=BB6_16537 Depth=3
	s_or_b64 exec, exec, s[36:37]
                                        ; implicit-def: $vgpr3
.LBB6_18536:                            ;   in Loop: Header=BB6_16537 Depth=3
	s_andn2_saveexec_b64 s[28:29], s[34:35]
	s_cbranch_execz .LBB6_18538
; %bb.18537:                            ;   in Loop: Header=BB6_16537 Depth=3
	v_or_b32_e32 v1, 0x7e, v3
	buffer_store_dword v1, off, s[0:3], s33 offset:232 ; 4-byte Folded Spill
.LBB6_18538:                            ;   in Loop: Header=BB6_16537 Depth=3
	s_or_b64 exec, exec, s[28:29]
                                        ; implicit-def: $vgpr5
.LBB6_18539:                            ;   in Loop: Header=BB6_16537 Depth=3
	s_andn2_saveexec_b64 s[28:29], s[30:31]
	s_cbranch_execz .LBB6_18541
; %bb.18540:                            ;   in Loop: Header=BB6_16537 Depth=3
	v_or_b32_sdwa v1, v5, s86 dst_sel:DWORD dst_unused:UNUSED_PAD src0_sel:BYTE_3 src1_sel:DWORD
	buffer_store_dword v1, off, s[0:3], s33 offset:232 ; 4-byte Folded Spill
.LBB6_18541:                            ;   in Loop: Header=BB6_16537 Depth=3
	s_or_b64 exec, exec, s[28:29]
	v_lshrrev_b16_e32 v21, 8, v0
	v_cmp_ne_u16_e32 vcc, 0, v21
	v_mov_b32_e32 v3, 0
	v_mov_b32_e32 v5, 0
	s_and_saveexec_b64 s[28:29], vcc
	s_cbranch_execz .LBB6_18547
; %bb.18542:                            ;   in Loop: Header=BB6_16537 Depth=3
	v_cmp_ne_u16_e32 vcc, s96, v21
	v_bfrev_b32_e32 v5, 1
	s_and_saveexec_b64 s[30:31], vcc
	s_cbranch_execz .LBB6_18546
; %bb.18543:                            ;   in Loop: Header=BB6_16537 Depth=3
	v_and_b32_e32 v22, 0x7f, v21
	v_cmp_ne_u32_e32 vcc, s86, v22
	v_mov_b32_e32 v5, 0x7f800001
	s_and_saveexec_b64 s[34:35], vcc
	s_cbranch_execz .LBB6_18545
; %bb.18544:                            ;   in Loop: Header=BB6_16537 Depth=3
	v_and_b32_e32 v1, 7, v21
	v_lshrrev_b32_e32 v5, 3, v22
	v_cmp_gt_u32_e32 vcc, 8, v22
	v_ffbh_u32_e32 v22, v1
	v_min_u32_e32 v23, 32, v22
	v_subrev_u32_e32 v22, 28, v23
	v_lshlrev_b64 v[21:22], v22, v[21:22]
	v_sub_u32_e32 v22, 29, v23
	v_and_b32_e32 v21, 7, v21
	v_cndmask_b32_e32 v5, v5, v22, vcc
	v_cndmask_b32_e32 v1, v1, v21, vcc
	v_lshlrev_b32_e32 v0, 16, v0
	v_bfrev_b32_e32 v21, 60
	v_lshlrev_b32_e32 v1, 20, v1
	v_and_b32_e32 v0, 0x80000000, v0
	v_lshl_add_u32 v5, v5, 23, v21
	v_or3_b32 v5, v0, v5, v1
.LBB6_18545:                            ;   in Loop: Header=BB6_16537 Depth=3
	s_or_b64 exec, exec, s[34:35]
.LBB6_18546:                            ;   in Loop: Header=BB6_16537 Depth=3
	s_or_b64 exec, exec, s[30:31]
.LBB6_18547:                            ;   in Loop: Header=BB6_16537 Depth=3
	s_or_b64 exec, exec, s[28:29]
	v_lshrrev_b16_e32 v21, 8, v17
	v_cmp_ne_u16_e32 vcc, 0, v21
	s_and_saveexec_b64 s[28:29], vcc
	s_cbranch_execz .LBB6_18553
; %bb.18548:                            ;   in Loop: Header=BB6_16537 Depth=3
	v_cmp_ne_u16_e32 vcc, s96, v21
	v_bfrev_b32_e32 v3, 1
	s_and_saveexec_b64 s[30:31], vcc
	s_cbranch_execz .LBB6_18552
; %bb.18549:                            ;   in Loop: Header=BB6_16537 Depth=3
	v_and_b32_e32 v0, 0x7f, v21
	v_cmp_ne_u32_e32 vcc, s86, v0
	v_mov_b32_e32 v3, 0x7f800001
	s_and_saveexec_b64 s[34:35], vcc
	s_cbranch_execz .LBB6_18551
; %bb.18550:                            ;   in Loop: Header=BB6_16537 Depth=3
	v_and_b32_e32 v1, 7, v21
	v_lshrrev_b32_e32 v3, 3, v0
	v_cmp_gt_u32_e32 vcc, 8, v0
	v_ffbh_u32_e32 v0, v1
	v_min_u32_e32 v0, 32, v0
	v_subrev_u32_e32 v22, 28, v0
	v_lshlrev_b64 v[21:22], v22, v[21:22]
	v_sub_u32_e32 v0, 29, v0
	v_and_b32_e32 v21, 7, v21
	v_cndmask_b32_e32 v0, v3, v0, vcc
	v_cndmask_b32_e32 v1, v1, v21, vcc
	v_lshlrev_b32_e32 v3, 16, v17
	v_bfrev_b32_e32 v21, 60
	v_lshlrev_b32_e32 v1, 20, v1
	v_and_b32_e32 v3, 0x80000000, v3
	v_lshl_add_u32 v0, v0, 23, v21
	v_or3_b32 v3, v3, v0, v1
.LBB6_18551:                            ;   in Loop: Header=BB6_16537 Depth=3
	s_or_b64 exec, exec, s[34:35]
.LBB6_18552:                            ;   in Loop: Header=BB6_16537 Depth=3
	s_or_b64 exec, exec, s[30:31]
.LBB6_18553:                            ;   in Loop: Header=BB6_16537 Depth=3
	s_or_b64 exec, exec, s[28:29]
	v_add_f32_e32 v3, v5, v3
	v_and_b32_e32 v21, 0x7f800000, v3
	v_mov_b32_e32 v22, v51
	v_cmp_ne_u64_e32 vcc, s[76:77], v[21:22]
                                        ; implicit-def: $vgpr0
                                        ; kill: killed $vgpr0
	s_and_saveexec_b64 s[28:29], vcc
	s_xor_b64 s[30:31], exec, s[28:29]
	s_cbranch_execz .LBB6_18567
; %bb.18554:                            ;   in Loop: Header=BB6_16537 Depth=3
	v_and_b32_e32 v21, 0x7fffffff, v3
	v_mov_b32_e32 v22, v51
	v_cmp_gt_u64_e32 vcc, s[78:79], v[21:22]
	v_and_b32_sdwa v0, v3, s96 dst_sel:DWORD dst_unused:UNUSED_PAD src0_sel:BYTE_3 src1_sel:DWORD
                                        ; implicit-def: $vgpr1
                                        ; kill: killed $vgpr1
	s_and_saveexec_b64 s[28:29], vcc
	s_xor_b64 s[34:35], exec, s[28:29]
	s_cbranch_execz .LBB6_18564
; %bb.18555:                            ;   in Loop: Header=BB6_16537 Depth=3
	v_mov_b32_e32 v1, 0
	v_cmp_ne_u32_e32 vcc, 0, v3
	buffer_store_dword v1, off, s[0:3], s33 offset:252 ; 4-byte Folded Spill
	s_and_saveexec_b64 s[36:37], vcc
	s_cbranch_execz .LBB6_18563
; %bb.18556:                            ;   in Loop: Header=BB6_16537 Depth=3
	v_and_b32_e32 v1, 0x7fffff, v3
	v_bfe_u32 v3, v3, 23, 8
	v_cmp_gt_u32_e64 s[28:29], s97, v3
	v_sub_u32_e32 v5, 0x79, v3
	v_cmp_eq_u32_e32 vcc, 0, v3
	v_cndmask_b32_e64 v5, 0, v5, s[28:29]
	v_mov_b32_e32 v22, 0x78
	v_or_b32_e32 v21, 0x800000, v1
	v_cndmask_b32_e32 v5, v5, v22, vcc
	v_cndmask_b32_e32 v21, v21, v1, vcc
	v_add_u32_e32 v1, 20, v5
	v_lshlrev_b64 v[23:24], v1, -1
	v_mov_b32_e32 v22, v51
	v_add_u32_e32 v1, 19, v5
	v_mov_b32_e32 v25, v32
	v_bfi_b32 v23, v23, 0, v21
	v_lshlrev_b64 v[32:33], v1, 1
	v_lshrrev_b64 v[21:22], v5, v[21:22]
	v_bfi_b32 v24, v24, 0, 0
	v_cmp_eq_u64_e64 s[28:29], v[23:24], v[32:33]
	v_mov_b32_e32 v23, v22
	v_mov_b32_e32 v22, v21
	s_and_saveexec_b64 s[38:39], s[28:29]
; %bb.18557:                            ;   in Loop: Header=BB6_16537 Depth=3
	v_bfe_u32 v1, v21, 20, 1
	v_add_co_u32_e64 v1, s[28:29], v21, v1
	v_add_co_u32_e64 v22, s[28:29], -1, v1
; %bb.18558:                            ;   in Loop: Header=BB6_16537 Depth=3
	s_or_b64 exec, exec, s[38:39]
	v_add_u32_e32 v1, 0xffffff81, v3
	v_mov_b32_e32 v3, 0xffffff82
	v_cndmask_b32_e32 v1, v1, v3, vcc
	v_lshrrev_b32_e32 v3, 23, v21
	v_add3_u32 v23, v5, v1, v3
	v_add_u32_e32 v5, 6, v23
	v_and_b32_e32 v1, 0xfffff, v22
	v_add_u32_e32 v21, v1, v21
	v_mov_b32_e32 v22, v51
	v_cmp_ne_u32_e32 vcc, 0, v5
                                        ; implicit-def: $vgpr3
	s_and_saveexec_b64 s[28:29], vcc
	s_xor_b64 s[28:29], exec, s[28:29]
; %bb.18559:                            ;   in Loop: Header=BB6_16537 Depth=3
	v_cmp_lt_u64_e32 vcc, s[88:89], v[21:22]
	v_add_u32_e32 v1, 7, v23
	v_cndmask_b32_e32 v3, v5, v1, vcc
	v_cndmask_b32_e64 v1, 0, 1, vcc
	v_lshrrev_b64 v[21:22], v1, v[21:22]
; %bb.18560:                            ;   in Loop: Header=BB6_16537 Depth=3
	s_or_saveexec_b64 s[28:29], s[28:29]
	v_mov_b32_e32 v32, v25
	s_xor_b64 exec, exec, s[28:29]
; %bb.18561:                            ;   in Loop: Header=BB6_16537 Depth=3
	v_bfe_u32 v3, v21, 23, 1
; %bb.18562:                            ;   in Loop: Header=BB6_16537 Depth=3
	s_or_b64 exec, exec, s[28:29]
	v_lshrrev_b64 v[21:22], 20, v[21:22]
	v_cmp_gt_i32_e32 vcc, 16, v3
	v_cndmask_b32_e32 v22, 0, v22, vcc
	v_cndmask_b32_e32 v21, 7, v21, vcc
	v_min_i32_e32 v1, 15, v3
	v_cmp_eq_u64_e64 s[28:29], 0, v[21:22]
	v_lshlrev_b32_e32 v1, 3, v1
	v_cmp_eq_u32_e32 vcc, 0, v3
	v_and_b32_e32 v1, 0xf8, v1
	v_and_or_b32 v1, v21, 7, v1
	s_and_b64 s[28:29], vcc, s[28:29]
	v_cndmask_b32_e64 v1, v1, 0, s[28:29]
	v_or_b32_e32 v0, v1, v0
	buffer_store_dword v0, off, s[0:3], s33 offset:252 ; 4-byte Folded Spill
.LBB6_18563:                            ;   in Loop: Header=BB6_16537 Depth=3
	s_or_b64 exec, exec, s[36:37]
                                        ; implicit-def: $vgpr0
.LBB6_18564:                            ;   in Loop: Header=BB6_16537 Depth=3
	s_andn2_saveexec_b64 s[28:29], s[34:35]
	s_cbranch_execz .LBB6_18566
; %bb.18565:                            ;   in Loop: Header=BB6_16537 Depth=3
	v_or_b32_e32 v0, 0x7e, v0
	buffer_store_dword v0, off, s[0:3], s33 offset:252 ; 4-byte Folded Spill
.LBB6_18566:                            ;   in Loop: Header=BB6_16537 Depth=3
	s_or_b64 exec, exec, s[28:29]
                                        ; implicit-def: $vgpr3
.LBB6_18567:                            ;   in Loop: Header=BB6_16537 Depth=3
	s_andn2_saveexec_b64 s[28:29], s[30:31]
	s_cbranch_execz .LBB6_18569
; %bb.18568:                            ;   in Loop: Header=BB6_16537 Depth=3
	v_or_b32_sdwa v0, v3, s86 dst_sel:DWORD dst_unused:UNUSED_PAD src0_sel:BYTE_3 src1_sel:DWORD
	buffer_store_dword v0, off, s[0:3], s33 offset:252 ; 4-byte Folded Spill
.LBB6_18569:                            ;   in Loop: Header=BB6_16537 Depth=3
	s_or_b64 exec, exec, s[28:29]
	v_lshrrev_b32_e32 v21, 16, v20
	v_cmp_ne_u16_sdwa vcc, v21, v51 src0_sel:BYTE_0 src1_sel:DWORD
	v_mov_b32_e32 v0, 0
	v_mov_b32_e32 v3, 0
	s_and_saveexec_b64 s[28:29], vcc
	s_cbranch_execz .LBB6_18575
; %bb.18570:                            ;   in Loop: Header=BB6_16537 Depth=3
	v_cmp_ne_u16_sdwa vcc, v21, s96 src0_sel:BYTE_0 src1_sel:DWORD
	v_bfrev_b32_e32 v3, 1
	s_and_saveexec_b64 s[30:31], vcc
	s_cbranch_execz .LBB6_18574
; %bb.18571:                            ;   in Loop: Header=BB6_16537 Depth=3
	v_bfe_u32 v5, v20, 16, 7
	v_cmp_ne_u32_e32 vcc, s86, v5
	v_mov_b32_e32 v3, 0x7f800001
	s_and_saveexec_b64 s[34:35], vcc
	s_cbranch_execz .LBB6_18573
; %bb.18572:                            ;   in Loop: Header=BB6_16537 Depth=3
	v_and_b32_e32 v3, 7, v21
	v_lshrrev_b32_e32 v24, 3, v5
	v_cmp_gt_u32_e32 vcc, 8, v5
	v_ffbh_u32_e32 v5, v3
	v_min_u32_e32 v5, 32, v5
	v_subrev_u32_e32 v22, 28, v5
	v_lshlrev_b64 v[22:23], v22, v[21:22]
	v_sub_u32_e32 v5, 29, v5
	v_and_b32_e32 v22, 7, v22
	v_cndmask_b32_e32 v5, v24, v5, vcc
	v_cndmask_b32_e32 v3, v3, v22, vcc
	v_lshlrev_b32_e32 v21, 24, v21
	v_bfrev_b32_e32 v22, 60
	v_lshlrev_b32_e32 v3, 20, v3
	v_and_b32_e32 v21, 0x80000000, v21
	v_lshl_add_u32 v5, v5, 23, v22
	v_or3_b32 v3, v21, v5, v3
.LBB6_18573:                            ;   in Loop: Header=BB6_16537 Depth=3
	s_or_b64 exec, exec, s[34:35]
.LBB6_18574:                            ;   in Loop: Header=BB6_16537 Depth=3
	s_or_b64 exec, exec, s[30:31]
.LBB6_18575:                            ;   in Loop: Header=BB6_16537 Depth=3
	s_or_b64 exec, exec, s[28:29]
	v_lshrrev_b32_e32 v21, 16, v17
	v_cmp_ne_u16_sdwa vcc, v21, v51 src0_sel:BYTE_0 src1_sel:DWORD
	s_and_saveexec_b64 s[28:29], vcc
	s_cbranch_execz .LBB6_18581
; %bb.18576:                            ;   in Loop: Header=BB6_16537 Depth=3
	v_cmp_ne_u16_sdwa vcc, v21, s96 src0_sel:BYTE_0 src1_sel:DWORD
	v_bfrev_b32_e32 v0, 1
	s_and_saveexec_b64 s[30:31], vcc
	s_cbranch_execz .LBB6_18580
; %bb.18577:                            ;   in Loop: Header=BB6_16537 Depth=3
	v_bfe_u32 v5, v17, 16, 7
	v_cmp_ne_u32_e32 vcc, s86, v5
	v_mov_b32_e32 v0, 0x7f800001
	s_and_saveexec_b64 s[34:35], vcc
	s_cbranch_execz .LBB6_18579
; %bb.18578:                            ;   in Loop: Header=BB6_16537 Depth=3
	v_and_b32_e32 v0, 7, v21
	v_lshrrev_b32_e32 v23, 3, v5
	v_cmp_gt_u32_e32 vcc, 8, v5
	v_ffbh_u32_e32 v5, v0
	v_min_u32_e32 v5, 32, v5
	v_subrev_u32_e32 v22, 28, v5
	v_lshlrev_b64 v[21:22], v22, v[21:22]
	v_sub_u32_e32 v5, 29, v5
	v_and_b32_e32 v21, 7, v21
	v_cndmask_b32_e32 v5, v23, v5, vcc
	v_cndmask_b32_e32 v0, v0, v21, vcc
	v_lshlrev_b32_e32 v21, 8, v17
	v_bfrev_b32_e32 v22, 60
	v_lshlrev_b32_e32 v0, 20, v0
	v_and_b32_e32 v21, 0x80000000, v21
	v_lshl_add_u32 v5, v5, 23, v22
	v_or3_b32 v0, v21, v5, v0
.LBB6_18579:                            ;   in Loop: Header=BB6_16537 Depth=3
	s_or_b64 exec, exec, s[34:35]
.LBB6_18580:                            ;   in Loop: Header=BB6_16537 Depth=3
	s_or_b64 exec, exec, s[30:31]
.LBB6_18581:                            ;   in Loop: Header=BB6_16537 Depth=3
	s_or_b64 exec, exec, s[28:29]
	v_add_f32_e32 v3, v3, v0
	v_and_b32_e32 v21, 0x7f800000, v3
	v_mov_b32_e32 v22, v51
	v_cmp_ne_u64_e32 vcc, s[76:77], v[21:22]
                                        ; implicit-def: $vgpr0
                                        ; kill: killed $vgpr0
	s_and_saveexec_b64 s[28:29], vcc
	s_xor_b64 s[30:31], exec, s[28:29]
	s_cbranch_execz .LBB6_18595
; %bb.18582:                            ;   in Loop: Header=BB6_16537 Depth=3
	v_and_b32_e32 v21, 0x7fffffff, v3
	v_mov_b32_e32 v22, v51
	v_cmp_gt_u64_e32 vcc, s[78:79], v[21:22]
	v_and_b32_sdwa v0, v3, s96 dst_sel:DWORD dst_unused:UNUSED_PAD src0_sel:BYTE_3 src1_sel:DWORD
                                        ; implicit-def: $vgpr1
                                        ; kill: killed $vgpr1
	s_and_saveexec_b64 s[28:29], vcc
	s_xor_b64 s[34:35], exec, s[28:29]
	s_cbranch_execz .LBB6_18592
; %bb.18583:                            ;   in Loop: Header=BB6_16537 Depth=3
	v_mov_b32_e32 v1, 0
	v_cmp_ne_u32_e32 vcc, 0, v3
	buffer_store_dword v1, off, s[0:3], s33 offset:292 ; 4-byte Folded Spill
	s_and_saveexec_b64 s[36:37], vcc
	s_cbranch_execz .LBB6_18591
; %bb.18584:                            ;   in Loop: Header=BB6_16537 Depth=3
	v_and_b32_e32 v21, 0x7fffff, v3
	v_bfe_u32 v3, v3, 23, 8
	v_cmp_gt_u32_e64 s[28:29], s97, v3
	v_sub_u32_e32 v5, 0x79, v3
	v_cmp_eq_u32_e32 vcc, 0, v3
	v_cndmask_b32_e64 v5, 0, v5, s[28:29]
	v_mov_b32_e32 v23, 0x78
	v_cndmask_b32_e32 v5, v5, v23, vcc
	v_add_u32_e32 v23, 20, v5
	v_or_b32_e32 v22, 0x800000, v21
	v_lshlrev_b64 v[23:24], v23, -1
	v_cndmask_b32_e32 v21, v22, v21, vcc
	v_mov_b32_e32 v22, v51
	v_add_u32_e32 v25, 19, v5
	v_bfi_b32 v23, v23, 0, v21
	v_lshlrev_b64 v[37:38], v25, 1
	v_lshrrev_b64 v[21:22], v5, v[21:22]
	v_bfi_b32 v24, v24, 0, 0
	v_cmp_eq_u64_e64 s[28:29], v[23:24], v[37:38]
	v_mov_b32_e32 v23, v22
	v_mov_b32_e32 v22, v21
	s_and_saveexec_b64 s[38:39], s[28:29]
; %bb.18585:                            ;   in Loop: Header=BB6_16537 Depth=3
	v_bfe_u32 v22, v21, 20, 1
	v_add_co_u32_e64 v22, s[28:29], v21, v22
	v_add_co_u32_e64 v22, s[28:29], -1, v22
; %bb.18586:                            ;   in Loop: Header=BB6_16537 Depth=3
	s_or_b64 exec, exec, s[38:39]
	v_add_u32_e32 v3, 0xffffff81, v3
	v_mov_b32_e32 v23, 0xffffff82
	v_cndmask_b32_e32 v3, v3, v23, vcc
	v_lshrrev_b32_e32 v23, 23, v21
	v_add3_u32 v23, v5, v3, v23
	v_add_u32_e32 v5, 6, v23
	v_and_b32_e32 v3, 0xfffff, v22
	v_add_u32_e32 v21, v3, v21
	v_mov_b32_e32 v22, v51
	v_cmp_ne_u32_e32 vcc, 0, v5
                                        ; implicit-def: $vgpr3
	s_and_saveexec_b64 s[28:29], vcc
	s_xor_b64 s[28:29], exec, s[28:29]
; %bb.18587:                            ;   in Loop: Header=BB6_16537 Depth=3
	v_cmp_lt_u64_e32 vcc, s[88:89], v[21:22]
	v_add_u32_e32 v3, 7, v23
	v_cndmask_b32_e32 v3, v5, v3, vcc
	v_cndmask_b32_e64 v5, 0, 1, vcc
	v_lshrrev_b64 v[21:22], v5, v[21:22]
; %bb.18588:                            ;   in Loop: Header=BB6_16537 Depth=3
	s_andn2_saveexec_b64 s[28:29], s[28:29]
; %bb.18589:                            ;   in Loop: Header=BB6_16537 Depth=3
	v_bfe_u32 v3, v21, 23, 1
; %bb.18590:                            ;   in Loop: Header=BB6_16537 Depth=3
	s_or_b64 exec, exec, s[28:29]
	v_lshrrev_b64 v[21:22], 20, v[21:22]
	v_cmp_gt_i32_e32 vcc, 16, v3
	v_cndmask_b32_e32 v22, 0, v22, vcc
	v_cndmask_b32_e32 v21, 7, v21, vcc
	v_cmp_eq_u32_e32 vcc, 0, v3
	v_min_i32_e32 v3, 15, v3
	v_cmp_eq_u64_e64 s[28:29], 0, v[21:22]
	v_lshlrev_b32_e32 v3, 3, v3
	v_and_b32_e32 v3, 0xf8, v3
	v_and_or_b32 v3, v21, 7, v3
	s_and_b64 s[28:29], vcc, s[28:29]
	v_cndmask_b32_e64 v3, v3, 0, s[28:29]
	v_or_b32_e32 v0, v3, v0
	buffer_store_dword v0, off, s[0:3], s33 offset:292 ; 4-byte Folded Spill
.LBB6_18591:                            ;   in Loop: Header=BB6_16537 Depth=3
	s_or_b64 exec, exec, s[36:37]
                                        ; implicit-def: $vgpr0
.LBB6_18592:                            ;   in Loop: Header=BB6_16537 Depth=3
	s_andn2_saveexec_b64 s[28:29], s[34:35]
	s_cbranch_execz .LBB6_18594
; %bb.18593:                            ;   in Loop: Header=BB6_16537 Depth=3
	v_or_b32_e32 v0, 0x7e, v0
	buffer_store_dword v0, off, s[0:3], s33 offset:292 ; 4-byte Folded Spill
.LBB6_18594:                            ;   in Loop: Header=BB6_16537 Depth=3
	s_or_b64 exec, exec, s[28:29]
                                        ; implicit-def: $vgpr3
.LBB6_18595:                            ;   in Loop: Header=BB6_16537 Depth=3
	s_andn2_saveexec_b64 s[28:29], s[30:31]
	s_cbranch_execz .LBB6_18597
; %bb.18596:                            ;   in Loop: Header=BB6_16537 Depth=3
	v_or_b32_sdwa v0, v3, s86 dst_sel:DWORD dst_unused:UNUSED_PAD src0_sel:BYTE_3 src1_sel:DWORD
	buffer_store_dword v0, off, s[0:3], s33 offset:292 ; 4-byte Folded Spill
.LBB6_18597:                            ;   in Loop: Header=BB6_16537 Depth=3
	s_or_b64 exec, exec, s[28:29]
	v_cmp_lt_u32_e32 vcc, s57, v20
	v_mov_b32_e32 v0, 0
	v_mov_b32_e32 v3, 0
	s_and_saveexec_b64 s[28:29], vcc
	s_cbranch_execz .LBB6_18603
; %bb.18598:                            ;   in Loop: Header=BB6_16537 Depth=3
	v_lshrrev_b32_e32 v21, 24, v20
	v_cmp_ne_u32_sdwa vcc, v20, s96 src0_sel:BYTE_3 src1_sel:DWORD
	v_bfrev_b32_e32 v3, 1
	s_and_saveexec_b64 s[30:31], vcc
	s_cbranch_execz .LBB6_18602
; %bb.18599:                            ;   in Loop: Header=BB6_16537 Depth=3
	v_bfe_u32 v5, v20, 24, 7
	v_cmp_ne_u32_e32 vcc, s86, v5
	v_mov_b32_e32 v3, 0x7f800001
	s_and_saveexec_b64 s[34:35], vcc
	s_cbranch_execz .LBB6_18601
; %bb.18600:                            ;   in Loop: Header=BB6_16537 Depth=3
	v_and_b32_e32 v3, 7, v21
	v_lshrrev_b32_e32 v24, 3, v5
	v_cmp_gt_u32_e32 vcc, 8, v5
	v_ffbh_u32_e32 v5, v3
	v_min_u32_e32 v5, 32, v5
	v_subrev_u32_e32 v22, 28, v5
	v_lshlrev_b64 v[21:22], v22, v[21:22]
	v_sub_u32_e32 v5, 29, v5
	v_and_b32_e32 v21, 7, v21
	v_cndmask_b32_e32 v3, v3, v21, vcc
	v_mov_b32_e32 v21, 24
	v_cndmask_b32_e32 v5, v24, v5, vcc
	v_lshlrev_b32_sdwa v20, v21, v20 dst_sel:DWORD dst_unused:UNUSED_PAD src0_sel:DWORD src1_sel:BYTE_3
	v_bfrev_b32_e32 v21, 60
	v_lshlrev_b32_e32 v3, 20, v3
	v_and_b32_e32 v20, 0x80000000, v20
	v_lshl_add_u32 v5, v5, 23, v21
	v_or3_b32 v3, v20, v5, v3
.LBB6_18601:                            ;   in Loop: Header=BB6_16537 Depth=3
	s_or_b64 exec, exec, s[34:35]
.LBB6_18602:                            ;   in Loop: Header=BB6_16537 Depth=3
	s_or_b64 exec, exec, s[30:31]
.LBB6_18603:                            ;   in Loop: Header=BB6_16537 Depth=3
	s_or_b64 exec, exec, s[28:29]
	v_cmp_lt_u64_e32 vcc, s[56:57], v[16:17]
	s_and_saveexec_b64 s[28:29], vcc
	s_cbranch_execz .LBB6_18609
; %bb.18604:                            ;   in Loop: Header=BB6_16537 Depth=3
	v_lshrrev_b32_e32 v16, 24, v17
	v_cmp_ne_u32_e32 vcc, s96, v16
	v_bfrev_b32_e32 v0, 1
	s_and_saveexec_b64 s[30:31], vcc
	s_cbranch_execz .LBB6_18608
; %bb.18605:                            ;   in Loop: Header=BB6_16537 Depth=3
	v_bfe_u32 v5, v17, 24, 7
	v_cmp_ne_u32_e32 vcc, s86, v5
	v_mov_b32_e32 v0, 0x7f800001
	s_and_saveexec_b64 s[34:35], vcc
	s_cbranch_execz .LBB6_18607
; %bb.18606:                            ;   in Loop: Header=BB6_16537 Depth=3
	v_and_b32_e32 v0, 7, v16
	v_lshrrev_b32_e32 v17, 3, v5
	v_cmp_gt_u32_e32 vcc, 8, v5
	v_ffbh_u32_e32 v5, v0
	v_min_u32_e32 v5, 32, v5
	v_subrev_u32_e32 v20, 28, v5
	v_lshlrev_b64 v[20:21], v20, v[16:17]
	v_sub_u32_e32 v5, 29, v5
	v_and_b32_e32 v20, 7, v20
	v_cndmask_b32_e32 v5, v17, v5, vcc
	v_cndmask_b32_e32 v0, v0, v20, vcc
	v_lshlrev_b32_e32 v16, 24, v16
	v_bfrev_b32_e32 v17, 60
	v_lshlrev_b32_e32 v0, 20, v0
	v_and_b32_e32 v16, 0x80000000, v16
	v_lshl_add_u32 v5, v5, 23, v17
	v_or3_b32 v0, v16, v5, v0
.LBB6_18607:                            ;   in Loop: Header=BB6_16537 Depth=3
	s_or_b64 exec, exec, s[34:35]
.LBB6_18608:                            ;   in Loop: Header=BB6_16537 Depth=3
	s_or_b64 exec, exec, s[30:31]
.LBB6_18609:                            ;   in Loop: Header=BB6_16537 Depth=3
	s_or_b64 exec, exec, s[28:29]
	v_add_f32_e32 v3, v3, v0
	v_and_b32_e32 v16, 0x7f800000, v3
	v_mov_b32_e32 v17, v51
	v_cmp_ne_u64_e32 vcc, s[76:77], v[16:17]
                                        ; implicit-def: $vgpr33
	s_and_saveexec_b64 s[28:29], vcc
	s_xor_b64 s[30:31], exec, s[28:29]
	s_cbranch_execz .LBB6_18623
; %bb.18610:                            ;   in Loop: Header=BB6_16537 Depth=3
	v_and_b32_e32 v16, 0x7fffffff, v3
	v_mov_b32_e32 v17, v51
	v_cmp_gt_u64_e32 vcc, s[78:79], v[16:17]
	v_and_b32_sdwa v0, v3, s96 dst_sel:DWORD dst_unused:UNUSED_PAD src0_sel:BYTE_3 src1_sel:DWORD
                                        ; implicit-def: $vgpr33
	s_and_saveexec_b64 s[28:29], vcc
	s_xor_b64 s[34:35], exec, s[28:29]
	s_cbranch_execz .LBB6_18620
; %bb.18611:                            ;   in Loop: Header=BB6_16537 Depth=3
	v_mov_b32_e32 v33, 0
	v_cmp_ne_u32_e32 vcc, 0, v3
	s_and_saveexec_b64 s[36:37], vcc
	s_cbranch_execz .LBB6_18619
; %bb.18612:                            ;   in Loop: Header=BB6_16537 Depth=3
	v_and_b32_e32 v16, 0x7fffff, v3
	v_bfe_u32 v3, v3, 23, 8
	v_cmp_gt_u32_e64 s[28:29], s97, v3
	v_sub_u32_e32 v5, 0x79, v3
	v_cmp_eq_u32_e32 vcc, 0, v3
	v_cndmask_b32_e64 v5, 0, v5, s[28:29]
	v_mov_b32_e32 v20, 0x78
	v_cndmask_b32_e32 v5, v5, v20, vcc
	v_add_u32_e32 v20, 20, v5
	v_or_b32_e32 v17, 0x800000, v16
	v_lshlrev_b64 v[20:21], v20, -1
	v_cndmask_b32_e32 v16, v17, v16, vcc
	v_mov_b32_e32 v17, v51
	v_add_u32_e32 v22, 19, v5
	v_bfi_b32 v20, v20, 0, v16
	v_lshlrev_b64 v[24:25], v22, 1
	v_lshrrev_b64 v[16:17], v5, v[16:17]
	v_bfi_b32 v21, v21, 0, 0
	v_cmp_eq_u64_e64 s[28:29], v[20:21], v[24:25]
	v_mov_b32_e32 v21, v17
	v_mov_b32_e32 v20, v16
	s_and_saveexec_b64 s[38:39], s[28:29]
; %bb.18613:                            ;   in Loop: Header=BB6_16537 Depth=3
	v_bfe_u32 v17, v16, 20, 1
	v_add_co_u32_e64 v17, s[28:29], v16, v17
	v_add_co_u32_e64 v20, s[28:29], -1, v17
; %bb.18614:                            ;   in Loop: Header=BB6_16537 Depth=3
	s_or_b64 exec, exec, s[38:39]
	v_add_u32_e32 v3, 0xffffff81, v3
	v_mov_b32_e32 v17, 0xffffff82
	v_cndmask_b32_e32 v3, v3, v17, vcc
	v_lshrrev_b32_e32 v17, 23, v16
	v_add3_u32 v21, v5, v3, v17
	v_add_u32_e32 v5, 6, v21
	v_and_b32_e32 v3, 0xfffff, v20
	v_add_u32_e32 v16, v3, v16
	v_mov_b32_e32 v17, v51
	v_cmp_ne_u32_e32 vcc, 0, v5
                                        ; implicit-def: $vgpr3
	s_and_saveexec_b64 s[28:29], vcc
	s_xor_b64 s[28:29], exec, s[28:29]
; %bb.18615:                            ;   in Loop: Header=BB6_16537 Depth=3
	v_cmp_lt_u64_e32 vcc, s[88:89], v[16:17]
	v_add_u32_e32 v3, 7, v21
	v_cndmask_b32_e32 v3, v5, v3, vcc
	v_cndmask_b32_e64 v5, 0, 1, vcc
	v_lshrrev_b64 v[16:17], v5, v[16:17]
; %bb.18616:                            ;   in Loop: Header=BB6_16537 Depth=3
	s_andn2_saveexec_b64 s[28:29], s[28:29]
; %bb.18617:                            ;   in Loop: Header=BB6_16537 Depth=3
	v_bfe_u32 v3, v16, 23, 1
; %bb.18618:                            ;   in Loop: Header=BB6_16537 Depth=3
	s_or_b64 exec, exec, s[28:29]
	v_lshrrev_b64 v[16:17], 20, v[16:17]
	v_cmp_gt_i32_e32 vcc, 16, v3
	v_cndmask_b32_e32 v17, 0, v17, vcc
	v_cndmask_b32_e32 v16, 7, v16, vcc
	v_cmp_eq_u32_e32 vcc, 0, v3
	v_min_i32_e32 v3, 15, v3
	v_cmp_eq_u64_e64 s[28:29], 0, v[16:17]
	v_lshlrev_b32_e32 v3, 3, v3
	v_and_b32_e32 v3, 0xf8, v3
	v_and_or_b32 v3, v16, 7, v3
	s_and_b64 s[28:29], vcc, s[28:29]
	v_cndmask_b32_e64 v3, v3, 0, s[28:29]
	v_or_b32_e32 v33, v3, v0
.LBB6_18619:                            ;   in Loop: Header=BB6_16537 Depth=3
	s_or_b64 exec, exec, s[36:37]
                                        ; implicit-def: $vgpr0
.LBB6_18620:                            ;   in Loop: Header=BB6_16537 Depth=3
	s_andn2_saveexec_b64 s[28:29], s[34:35]
; %bb.18621:                            ;   in Loop: Header=BB6_16537 Depth=3
	v_or_b32_e32 v33, 0x7e, v0
; %bb.18622:                            ;   in Loop: Header=BB6_16537 Depth=3
	s_or_b64 exec, exec, s[28:29]
                                        ; implicit-def: $vgpr3
.LBB6_18623:                            ;   in Loop: Header=BB6_16537 Depth=3
	s_andn2_saveexec_b64 s[28:29], s[30:31]
; %bb.18624:                            ;   in Loop: Header=BB6_16537 Depth=3
	v_or_b32_sdwa v33, v3, s86 dst_sel:DWORD dst_unused:UNUSED_PAD src0_sel:BYTE_3 src1_sel:DWORD
; %bb.18625:                            ;   in Loop: Header=BB6_16537 Depth=3
	s_or_b64 exec, exec, s[28:29]
	buffer_load_dword v0, off, s[0:3], s33 offset:220 ; 4-byte Folded Reload
	buffer_load_dword v1, off, s[0:3], s33 offset:240 ; 4-byte Folded Reload
	v_mov_b32_e32 v17, v51
	v_cmp_ne_u32_e32 vcc, 0, v46
	s_waitcnt vmcnt(1)
	v_lshl_or_b32 v0, v0, 8, v46
	s_waitcnt vmcnt(0)
	v_lshlrev_b32_e32 v3, 16, v1
	buffer_load_dword v1, off, s[0:3], s33 offset:256 ; 4-byte Folded Reload
	s_waitcnt vmcnt(0)
	v_lshlrev_b32_e32 v5, 24, v1
	v_or3_b32 v16, v3, v5, v0
	v_mov_b32_e32 v3, 0
	v_mov_b32_e32 v5, 0
	s_and_saveexec_b64 s[28:29], vcc
	s_cbranch_execz .LBB6_18631
; %bb.18626:                            ;   in Loop: Header=BB6_16537 Depth=3
	v_cmp_ne_u32_e32 vcc, s96, v46
	v_bfrev_b32_e32 v5, 1
	s_and_saveexec_b64 s[30:31], vcc
	s_cbranch_execz .LBB6_18630
; %bb.18627:                            ;   in Loop: Header=BB6_16537 Depth=3
	v_and_b32_e32 v20, 0x7f, v46
	v_cmp_ne_u32_e32 vcc, s86, v20
	v_mov_b32_e32 v5, 0x7f800001
	s_and_saveexec_b64 s[34:35], vcc
	s_cbranch_execz .LBB6_18629
; %bb.18628:                            ;   in Loop: Header=BB6_16537 Depth=3
	v_and_b32_e32 v5, 7, v46
	v_ffbh_u32_e32 v5, v5
	v_min_u32_e32 v5, 32, v5
	v_lshrrev_b32_e32 v21, 3, v20
	v_cmp_gt_u32_e32 vcc, 8, v20
	v_subrev_u32_e32 v20, 28, v5
	v_sub_u32_e32 v5, 29, v5
	v_cndmask_b32_e32 v20, 0, v20, vcc
	v_cndmask_b32_e32 v5, v21, v5, vcc
	v_lshlrev_b64 v[20:21], v20, v[16:17]
	v_bfrev_b32_e32 v21, 60
	v_lshlrev_b32_e32 v17, 20, v20
	v_lshlrev_b32_e32 v20, 24, v16
	v_and_b32_e32 v17, 0x700000, v17
	v_and_b32_e32 v20, 0x80000000, v20
	v_lshl_add_u32 v5, v5, 23, v21
	v_or3_b32 v5, v20, v5, v17
.LBB6_18629:                            ;   in Loop: Header=BB6_16537 Depth=3
	s_or_b64 exec, exec, s[34:35]
.LBB6_18630:                            ;   in Loop: Header=BB6_16537 Depth=3
	s_or_b64 exec, exec, s[30:31]
.LBB6_18631:                            ;   in Loop: Header=BB6_16537 Depth=3
	s_or_b64 exec, exec, s[28:29]
	v_cmp_ne_u16_sdwa vcc, v18, v51 src0_sel:BYTE_0 src1_sel:DWORD
	s_and_saveexec_b64 s[28:29], vcc
	s_cbranch_execz .LBB6_18637
; %bb.18632:                            ;   in Loop: Header=BB6_16537 Depth=3
	v_cmp_ne_u16_sdwa vcc, v18, s96 src0_sel:BYTE_0 src1_sel:DWORD
	v_bfrev_b32_e32 v3, 1
	s_and_saveexec_b64 s[30:31], vcc
	s_cbranch_execz .LBB6_18636
; %bb.18633:                            ;   in Loop: Header=BB6_16537 Depth=3
	v_and_b32_e32 v17, 0x7f, v18
	v_cmp_ne_u32_e32 vcc, s86, v17
	v_mov_b32_e32 v3, 0x7f800001
	s_and_saveexec_b64 s[34:35], vcc
	s_cbranch_execz .LBB6_18635
; %bb.18634:                            ;   in Loop: Header=BB6_16537 Depth=3
	v_and_b32_e32 v3, 7, v18
	v_ffbh_u32_e32 v3, v3
	v_min_u32_e32 v3, 32, v3
	v_lshrrev_b32_e32 v20, 3, v17
	v_cmp_gt_u32_e32 vcc, 8, v17
	v_subrev_u32_e32 v17, 28, v3
	v_sub_u32_e32 v3, 29, v3
	v_cndmask_b32_e32 v17, 0, v17, vcc
	v_cndmask_b32_e32 v3, v20, v3, vcc
	v_lshlrev_b64 v[20:21], v17, v[18:19]
	v_bfrev_b32_e32 v21, 60
	v_lshlrev_b32_e32 v17, 20, v20
	v_lshlrev_b32_e32 v20, 24, v18
	v_and_b32_e32 v17, 0x700000, v17
	v_and_b32_e32 v20, 0x80000000, v20
	v_lshl_add_u32 v3, v3, 23, v21
	v_or3_b32 v3, v20, v3, v17
.LBB6_18635:                            ;   in Loop: Header=BB6_16537 Depth=3
	s_or_b64 exec, exec, s[34:35]
.LBB6_18636:                            ;   in Loop: Header=BB6_16537 Depth=3
	s_or_b64 exec, exec, s[30:31]
.LBB6_18637:                            ;   in Loop: Header=BB6_16537 Depth=3
	s_or_b64 exec, exec, s[28:29]
	v_add_f32_e32 v5, v5, v3
	v_and_b32_e32 v20, 0x7f800000, v5
	v_mov_b32_e32 v21, v51
	v_cmp_ne_u64_e32 vcc, s[76:77], v[20:21]
                                        ; implicit-def: $vgpr37
	s_and_saveexec_b64 s[28:29], vcc
	s_xor_b64 s[30:31], exec, s[28:29]
	s_cbranch_execz .LBB6_18651
; %bb.18638:                            ;   in Loop: Header=BB6_16537 Depth=3
	v_and_b32_e32 v20, 0x7fffffff, v5
	v_mov_b32_e32 v21, v51
	v_cmp_gt_u64_e32 vcc, s[78:79], v[20:21]
	v_and_b32_sdwa v3, v5, s96 dst_sel:DWORD dst_unused:UNUSED_PAD src0_sel:BYTE_3 src1_sel:DWORD
                                        ; implicit-def: $vgpr37
	s_and_saveexec_b64 s[28:29], vcc
	s_xor_b64 s[34:35], exec, s[28:29]
	s_cbranch_execz .LBB6_18648
; %bb.18639:                            ;   in Loop: Header=BB6_16537 Depth=3
	v_mov_b32_e32 v37, 0
	v_cmp_ne_u32_e32 vcc, 0, v5
	s_and_saveexec_b64 s[36:37], vcc
	s_cbranch_execz .LBB6_18647
; %bb.18640:                            ;   in Loop: Header=BB6_16537 Depth=3
	v_and_b32_e32 v20, 0x7fffff, v5
	v_bfe_u32 v5, v5, 23, 8
	v_cmp_gt_u32_e64 s[28:29], s97, v5
	v_sub_u32_e32 v17, 0x79, v5
	v_cmp_eq_u32_e32 vcc, 0, v5
	v_cndmask_b32_e64 v17, 0, v17, s[28:29]
	v_mov_b32_e32 v22, 0x78
	v_cndmask_b32_e32 v17, v17, v22, vcc
	v_add_u32_e32 v22, 20, v17
	v_or_b32_e32 v21, 0x800000, v20
	v_lshlrev_b64 v[24:25], v22, -1
	v_cndmask_b32_e32 v20, v21, v20, vcc
	v_mov_b32_e32 v21, v51
	v_add_u32_e32 v22, 19, v17
	v_bfi_b32 v24, v24, 0, v20
	v_lshlrev_b64 v[37:38], v22, 1
	v_lshrrev_b64 v[20:21], v17, v[20:21]
	v_bfi_b32 v25, v25, 0, 0
	v_cmp_eq_u64_e64 s[28:29], v[24:25], v[37:38]
	v_mov_b32_e32 v22, v21
	v_mov_b32_e32 v21, v20
	s_and_saveexec_b64 s[38:39], s[28:29]
; %bb.18641:                            ;   in Loop: Header=BB6_16537 Depth=3
	v_bfe_u32 v21, v20, 20, 1
	v_add_co_u32_e64 v21, s[28:29], v20, v21
	v_add_co_u32_e64 v21, s[28:29], -1, v21
; %bb.18642:                            ;   in Loop: Header=BB6_16537 Depth=3
	s_or_b64 exec, exec, s[38:39]
	v_add_u32_e32 v5, 0xffffff81, v5
	v_mov_b32_e32 v22, 0xffffff82
	v_cndmask_b32_e32 v5, v5, v22, vcc
	v_lshrrev_b32_e32 v22, 23, v20
	v_add3_u32 v22, v17, v5, v22
	v_add_u32_e32 v17, 6, v22
	v_and_b32_e32 v5, 0xfffff, v21
	v_add_u32_e32 v20, v5, v20
	v_mov_b32_e32 v21, v51
	v_cmp_ne_u32_e32 vcc, 0, v17
                                        ; implicit-def: $vgpr5
	s_and_saveexec_b64 s[28:29], vcc
	s_xor_b64 s[28:29], exec, s[28:29]
; %bb.18643:                            ;   in Loop: Header=BB6_16537 Depth=3
	v_cmp_lt_u64_e32 vcc, s[88:89], v[20:21]
	v_add_u32_e32 v5, 7, v22
	v_cndmask_b32_e32 v5, v17, v5, vcc
	v_cndmask_b32_e64 v17, 0, 1, vcc
	v_lshrrev_b64 v[20:21], v17, v[20:21]
; %bb.18644:                            ;   in Loop: Header=BB6_16537 Depth=3
	s_andn2_saveexec_b64 s[28:29], s[28:29]
; %bb.18645:                            ;   in Loop: Header=BB6_16537 Depth=3
	v_bfe_u32 v5, v20, 23, 1
; %bb.18646:                            ;   in Loop: Header=BB6_16537 Depth=3
	s_or_b64 exec, exec, s[28:29]
	v_lshrrev_b64 v[20:21], 20, v[20:21]
	v_cmp_gt_i32_e32 vcc, 16, v5
	v_cndmask_b32_e32 v21, 0, v21, vcc
	v_cndmask_b32_e32 v20, 7, v20, vcc
	v_cmp_eq_u32_e32 vcc, 0, v5
	v_min_i32_e32 v5, 15, v5
	v_cmp_eq_u64_e64 s[28:29], 0, v[20:21]
	v_lshlrev_b32_e32 v5, 3, v5
	v_and_b32_e32 v5, 0xf8, v5
	v_and_or_b32 v5, v20, 7, v5
	s_and_b64 s[28:29], vcc, s[28:29]
	v_cndmask_b32_e64 v5, v5, 0, s[28:29]
	v_or_b32_e32 v37, v5, v3
.LBB6_18647:                            ;   in Loop: Header=BB6_16537 Depth=3
	s_or_b64 exec, exec, s[36:37]
                                        ; implicit-def: $vgpr3
.LBB6_18648:                            ;   in Loop: Header=BB6_16537 Depth=3
	s_andn2_saveexec_b64 s[28:29], s[34:35]
; %bb.18649:                            ;   in Loop: Header=BB6_16537 Depth=3
	v_or_b32_e32 v37, 0x7e, v3
; %bb.18650:                            ;   in Loop: Header=BB6_16537 Depth=3
	s_or_b64 exec, exec, s[28:29]
                                        ; implicit-def: $vgpr5
.LBB6_18651:                            ;   in Loop: Header=BB6_16537 Depth=3
	s_andn2_saveexec_b64 s[28:29], s[30:31]
; %bb.18652:                            ;   in Loop: Header=BB6_16537 Depth=3
	v_or_b32_sdwa v37, v5, s86 dst_sel:DWORD dst_unused:UNUSED_PAD src0_sel:BYTE_3 src1_sel:DWORD
; %bb.18653:                            ;   in Loop: Header=BB6_16537 Depth=3
	s_or_b64 exec, exec, s[28:29]
	v_lshrrev_b16_e32 v17, 8, v0
	v_cmp_ne_u16_e32 vcc, 0, v17
	v_mov_b32_e32 v3, 0
	v_mov_b32_e32 v5, 0
	s_and_saveexec_b64 s[28:29], vcc
	s_cbranch_execz .LBB6_18659
; %bb.18654:                            ;   in Loop: Header=BB6_16537 Depth=3
	v_cmp_ne_u16_e32 vcc, s96, v17
	v_bfrev_b32_e32 v5, 1
	s_and_saveexec_b64 s[30:31], vcc
	s_cbranch_execz .LBB6_18658
; %bb.18655:                            ;   in Loop: Header=BB6_16537 Depth=3
	v_and_b32_e32 v20, 0x7f, v17
	v_cmp_ne_u32_e32 vcc, s86, v20
	v_mov_b32_e32 v5, 0x7f800001
	s_and_saveexec_b64 s[34:35], vcc
	s_cbranch_execz .LBB6_18657
; %bb.18656:                            ;   in Loop: Header=BB6_16537 Depth=3
	v_and_b32_e32 v5, 7, v17
	v_lshrrev_b32_e32 v22, 3, v20
	v_cmp_gt_u32_e32 vcc, 8, v20
	v_ffbh_u32_e32 v20, v5
	v_min_u32_e32 v24, 32, v20
	v_subrev_u32_e32 v20, 28, v24
	v_lshlrev_b64 v[20:21], v20, v[17:18]
	v_sub_u32_e32 v17, 29, v24
	v_and_b32_e32 v20, 7, v20
	v_cndmask_b32_e32 v17, v22, v17, vcc
	v_cndmask_b32_e32 v5, v5, v20, vcc
	v_lshlrev_b32_e32 v0, 16, v0
	v_bfrev_b32_e32 v20, 60
	v_lshlrev_b32_e32 v5, 20, v5
	v_and_b32_e32 v0, 0x80000000, v0
	v_lshl_add_u32 v17, v17, 23, v20
	v_or3_b32 v5, v0, v17, v5
.LBB6_18657:                            ;   in Loop: Header=BB6_16537 Depth=3
	s_or_b64 exec, exec, s[34:35]
.LBB6_18658:                            ;   in Loop: Header=BB6_16537 Depth=3
	s_or_b64 exec, exec, s[30:31]
.LBB6_18659:                            ;   in Loop: Header=BB6_16537 Depth=3
	s_or_b64 exec, exec, s[28:29]
	v_lshrrev_b16_e32 v17, 8, v18
	v_cmp_ne_u16_e32 vcc, 0, v17
	s_and_saveexec_b64 s[28:29], vcc
	s_cbranch_execz .LBB6_18665
; %bb.18660:                            ;   in Loop: Header=BB6_16537 Depth=3
	v_cmp_ne_u16_e32 vcc, s96, v17
	v_bfrev_b32_e32 v3, 1
	s_and_saveexec_b64 s[30:31], vcc
	s_cbranch_execz .LBB6_18664
; %bb.18661:                            ;   in Loop: Header=BB6_16537 Depth=3
	v_and_b32_e32 v0, 0x7f, v17
	v_cmp_ne_u32_e32 vcc, s86, v0
	v_mov_b32_e32 v3, 0x7f800001
	s_and_saveexec_b64 s[34:35], vcc
	s_cbranch_execz .LBB6_18663
; %bb.18662:                            ;   in Loop: Header=BB6_16537 Depth=3
	v_and_b32_e32 v3, 7, v17
	v_lshrrev_b32_e32 v22, 3, v0
	v_cmp_gt_u32_e32 vcc, 8, v0
	v_ffbh_u32_e32 v0, v3
	v_min_u32_e32 v0, 32, v0
	v_subrev_u32_e32 v20, 28, v0
	v_lshlrev_b64 v[20:21], v20, v[17:18]
	v_sub_u32_e32 v0, 29, v0
	v_and_b32_e32 v17, 7, v20
	v_cndmask_b32_e32 v0, v22, v0, vcc
	v_cndmask_b32_e32 v3, v3, v17, vcc
	v_lshlrev_b32_e32 v17, 16, v18
	v_bfrev_b32_e32 v20, 60
	v_lshlrev_b32_e32 v3, 20, v3
	v_and_b32_e32 v17, 0x80000000, v17
	v_lshl_add_u32 v0, v0, 23, v20
	v_or3_b32 v3, v17, v0, v3
.LBB6_18663:                            ;   in Loop: Header=BB6_16537 Depth=3
	s_or_b64 exec, exec, s[34:35]
.LBB6_18664:                            ;   in Loop: Header=BB6_16537 Depth=3
	s_or_b64 exec, exec, s[30:31]
.LBB6_18665:                            ;   in Loop: Header=BB6_16537 Depth=3
	s_or_b64 exec, exec, s[28:29]
	v_add_f32_e32 v3, v5, v3
	v_and_b32_e32 v20, 0x7f800000, v3
	v_mov_b32_e32 v21, v51
	v_cmp_ne_u64_e32 vcc, s[76:77], v[20:21]
                                        ; implicit-def: $vgpr39
	s_and_saveexec_b64 s[28:29], vcc
	s_xor_b64 s[30:31], exec, s[28:29]
	s_cbranch_execz .LBB6_18679
; %bb.18666:                            ;   in Loop: Header=BB6_16537 Depth=3
	v_and_b32_e32 v20, 0x7fffffff, v3
	v_mov_b32_e32 v21, v51
	v_cmp_gt_u64_e32 vcc, s[78:79], v[20:21]
	v_and_b32_sdwa v0, v3, s96 dst_sel:DWORD dst_unused:UNUSED_PAD src0_sel:BYTE_3 src1_sel:DWORD
                                        ; implicit-def: $vgpr39
	s_and_saveexec_b64 s[28:29], vcc
	s_xor_b64 s[34:35], exec, s[28:29]
	s_cbranch_execz .LBB6_18676
; %bb.18667:                            ;   in Loop: Header=BB6_16537 Depth=3
	v_mov_b32_e32 v39, 0
	v_cmp_ne_u32_e32 vcc, 0, v3
	s_and_saveexec_b64 s[36:37], vcc
	s_cbranch_execz .LBB6_18675
; %bb.18668:                            ;   in Loop: Header=BB6_16537 Depth=3
	v_and_b32_e32 v17, 0x7fffff, v3
	v_bfe_u32 v3, v3, 23, 8
	v_cmp_gt_u32_e64 s[28:29], s97, v3
	v_sub_u32_e32 v5, 0x79, v3
	v_cmp_eq_u32_e32 vcc, 0, v3
	v_cndmask_b32_e64 v5, 0, v5, s[28:29]
	v_mov_b32_e32 v21, 0x78
	v_or_b32_e32 v20, 0x800000, v17
	v_cndmask_b32_e32 v5, v5, v21, vcc
	v_cndmask_b32_e32 v20, v20, v17, vcc
	v_add_u32_e32 v17, 20, v5
	v_lshlrev_b64 v[24:25], v17, -1
	v_mov_b32_e32 v21, v51
	v_add_u32_e32 v17, 19, v5
	v_bfi_b32 v24, v24, 0, v20
	v_lshlrev_b64 v[38:39], v17, 1
	v_lshrrev_b64 v[20:21], v5, v[20:21]
	v_bfi_b32 v25, v25, 0, 0
	v_cmp_eq_u64_e64 s[28:29], v[24:25], v[38:39]
	v_mov_b32_e32 v22, v21
	v_mov_b32_e32 v21, v20
	s_and_saveexec_b64 s[38:39], s[28:29]
; %bb.18669:                            ;   in Loop: Header=BB6_16537 Depth=3
	v_bfe_u32 v17, v20, 20, 1
	v_add_co_u32_e64 v17, s[28:29], v20, v17
	v_add_co_u32_e64 v21, s[28:29], -1, v17
; %bb.18670:                            ;   in Loop: Header=BB6_16537 Depth=3
	s_or_b64 exec, exec, s[38:39]
	v_add_u32_e32 v3, 0xffffff81, v3
	v_mov_b32_e32 v17, 0xffffff82
	v_cndmask_b32_e32 v3, v3, v17, vcc
	v_lshrrev_b32_e32 v17, 23, v20
	v_add3_u32 v17, v5, v3, v17
	v_add_u32_e32 v5, 6, v17
	v_and_b32_e32 v3, 0xfffff, v21
	v_add_u32_e32 v20, v3, v20
	v_mov_b32_e32 v21, v51
	v_cmp_ne_u32_e32 vcc, 0, v5
                                        ; implicit-def: $vgpr3
	s_and_saveexec_b64 s[28:29], vcc
	s_xor_b64 s[28:29], exec, s[28:29]
; %bb.18671:                            ;   in Loop: Header=BB6_16537 Depth=3
	v_cmp_lt_u64_e32 vcc, s[88:89], v[20:21]
	v_add_u32_e32 v3, 7, v17
	v_cndmask_b32_e32 v3, v5, v3, vcc
	v_cndmask_b32_e64 v5, 0, 1, vcc
	v_lshrrev_b64 v[20:21], v5, v[20:21]
; %bb.18672:                            ;   in Loop: Header=BB6_16537 Depth=3
	s_andn2_saveexec_b64 s[28:29], s[28:29]
; %bb.18673:                            ;   in Loop: Header=BB6_16537 Depth=3
	v_bfe_u32 v3, v20, 23, 1
; %bb.18674:                            ;   in Loop: Header=BB6_16537 Depth=3
	s_or_b64 exec, exec, s[28:29]
	v_lshrrev_b64 v[20:21], 20, v[20:21]
	v_cmp_gt_i32_e32 vcc, 16, v3
	v_cndmask_b32_e32 v21, 0, v21, vcc
	v_cndmask_b32_e32 v20, 7, v20, vcc
	v_cmp_eq_u32_e32 vcc, 0, v3
	v_min_i32_e32 v3, 15, v3
	v_cmp_eq_u64_e64 s[28:29], 0, v[20:21]
	v_lshlrev_b32_e32 v3, 3, v3
	v_and_b32_e32 v3, 0xf8, v3
	v_and_or_b32 v3, v20, 7, v3
	s_and_b64 s[28:29], vcc, s[28:29]
	v_cndmask_b32_e64 v3, v3, 0, s[28:29]
	v_or_b32_e32 v39, v3, v0
.LBB6_18675:                            ;   in Loop: Header=BB6_16537 Depth=3
	s_or_b64 exec, exec, s[36:37]
                                        ; implicit-def: $vgpr0
.LBB6_18676:                            ;   in Loop: Header=BB6_16537 Depth=3
	s_andn2_saveexec_b64 s[28:29], s[34:35]
; %bb.18677:                            ;   in Loop: Header=BB6_16537 Depth=3
	v_or_b32_e32 v39, 0x7e, v0
; %bb.18678:                            ;   in Loop: Header=BB6_16537 Depth=3
	s_or_b64 exec, exec, s[28:29]
                                        ; implicit-def: $vgpr3
.LBB6_18679:                            ;   in Loop: Header=BB6_16537 Depth=3
	s_andn2_saveexec_b64 s[28:29], s[30:31]
; %bb.18680:                            ;   in Loop: Header=BB6_16537 Depth=3
	v_or_b32_sdwa v39, v3, s86 dst_sel:DWORD dst_unused:UNUSED_PAD src0_sel:BYTE_3 src1_sel:DWORD
; %bb.18681:                            ;   in Loop: Header=BB6_16537 Depth=3
	s_or_b64 exec, exec, s[28:29]
	v_lshrrev_b32_e32 v17, 16, v16
	v_cmp_ne_u16_sdwa vcc, v17, v51 src0_sel:BYTE_0 src1_sel:DWORD
	v_mov_b32_e32 v0, 0
	v_mov_b32_e32 v3, 0
	s_and_saveexec_b64 s[28:29], vcc
	s_cbranch_execz .LBB6_18687
; %bb.18682:                            ;   in Loop: Header=BB6_16537 Depth=3
	v_cmp_ne_u16_sdwa vcc, v17, s96 src0_sel:BYTE_0 src1_sel:DWORD
	v_bfrev_b32_e32 v3, 1
	s_and_saveexec_b64 s[30:31], vcc
	s_cbranch_execz .LBB6_18686
; %bb.18683:                            ;   in Loop: Header=BB6_16537 Depth=3
	v_bfe_u32 v5, v16, 16, 7
	v_cmp_ne_u32_e32 vcc, s86, v5
	v_mov_b32_e32 v3, 0x7f800001
	s_and_saveexec_b64 s[34:35], vcc
	s_cbranch_execz .LBB6_18685
; %bb.18684:                            ;   in Loop: Header=BB6_16537 Depth=3
	v_and_b32_e32 v3, 7, v17
	v_lshrrev_b32_e32 v22, 3, v5
	v_cmp_gt_u32_e32 vcc, 8, v5
	v_ffbh_u32_e32 v5, v3
	v_min_u32_e32 v5, 32, v5
	v_subrev_u32_e32 v20, 28, v5
	v_lshlrev_b64 v[20:21], v20, v[17:18]
	v_sub_u32_e32 v5, 29, v5
	v_and_b32_e32 v20, 7, v20
	v_cndmask_b32_e32 v5, v22, v5, vcc
	v_cndmask_b32_e32 v3, v3, v20, vcc
	v_lshlrev_b32_e32 v17, 24, v17
	v_bfrev_b32_e32 v20, 60
	v_lshlrev_b32_e32 v3, 20, v3
	v_and_b32_e32 v17, 0x80000000, v17
	v_lshl_add_u32 v5, v5, 23, v20
	v_or3_b32 v3, v17, v5, v3
.LBB6_18685:                            ;   in Loop: Header=BB6_16537 Depth=3
	s_or_b64 exec, exec, s[34:35]
.LBB6_18686:                            ;   in Loop: Header=BB6_16537 Depth=3
	s_or_b64 exec, exec, s[30:31]
.LBB6_18687:                            ;   in Loop: Header=BB6_16537 Depth=3
	s_or_b64 exec, exec, s[28:29]
	v_lshrrev_b32_e32 v17, 16, v18
	v_cmp_ne_u16_sdwa vcc, v17, v51 src0_sel:BYTE_0 src1_sel:DWORD
	s_and_saveexec_b64 s[28:29], vcc
	s_cbranch_execz .LBB6_18693
; %bb.18688:                            ;   in Loop: Header=BB6_16537 Depth=3
	v_cmp_ne_u16_sdwa vcc, v17, s96 src0_sel:BYTE_0 src1_sel:DWORD
	v_bfrev_b32_e32 v0, 1
	s_and_saveexec_b64 s[30:31], vcc
	s_cbranch_execz .LBB6_18692
; %bb.18689:                            ;   in Loop: Header=BB6_16537 Depth=3
	v_bfe_u32 v5, v18, 16, 7
	v_cmp_ne_u32_e32 vcc, s86, v5
	v_mov_b32_e32 v0, 0x7f800001
	s_and_saveexec_b64 s[34:35], vcc
	s_cbranch_execz .LBB6_18691
; %bb.18690:                            ;   in Loop: Header=BB6_16537 Depth=3
	v_and_b32_e32 v0, 7, v17
	v_lshrrev_b32_e32 v22, 3, v5
	v_cmp_gt_u32_e32 vcc, 8, v5
	v_ffbh_u32_e32 v5, v0
	v_min_u32_e32 v5, 32, v5
	v_subrev_u32_e32 v20, 28, v5
	v_lshlrev_b64 v[20:21], v20, v[17:18]
	v_sub_u32_e32 v5, 29, v5
	v_and_b32_e32 v17, 7, v20
	v_cndmask_b32_e32 v5, v22, v5, vcc
	v_cndmask_b32_e32 v0, v0, v17, vcc
	v_lshlrev_b32_e32 v17, 8, v18
	v_bfrev_b32_e32 v20, 60
	v_lshlrev_b32_e32 v0, 20, v0
	v_and_b32_e32 v17, 0x80000000, v17
	v_lshl_add_u32 v5, v5, 23, v20
	v_or3_b32 v0, v17, v5, v0
.LBB6_18691:                            ;   in Loop: Header=BB6_16537 Depth=3
	s_or_b64 exec, exec, s[34:35]
.LBB6_18692:                            ;   in Loop: Header=BB6_16537 Depth=3
	s_or_b64 exec, exec, s[30:31]
.LBB6_18693:                            ;   in Loop: Header=BB6_16537 Depth=3
	s_or_b64 exec, exec, s[28:29]
	v_add_f32_e32 v3, v3, v0
	v_and_b32_e32 v20, 0x7f800000, v3
	v_mov_b32_e32 v21, v51
	v_cmp_ne_u64_e32 vcc, s[76:77], v[20:21]
                                        ; implicit-def: $vgpr48
	s_and_saveexec_b64 s[28:29], vcc
	s_xor_b64 s[30:31], exec, s[28:29]
	s_cbranch_execz .LBB6_18707
; %bb.18694:                            ;   in Loop: Header=BB6_16537 Depth=3
	v_and_b32_e32 v20, 0x7fffffff, v3
	v_mov_b32_e32 v21, v51
	v_cmp_gt_u64_e32 vcc, s[78:79], v[20:21]
	v_and_b32_sdwa v0, v3, s96 dst_sel:DWORD dst_unused:UNUSED_PAD src0_sel:BYTE_3 src1_sel:DWORD
                                        ; implicit-def: $vgpr48
	s_and_saveexec_b64 s[28:29], vcc
	s_xor_b64 s[34:35], exec, s[28:29]
	s_cbranch_execz .LBB6_18704
; %bb.18695:                            ;   in Loop: Header=BB6_16537 Depth=3
	v_mov_b32_e32 v48, 0
	v_cmp_ne_u32_e32 vcc, 0, v3
	s_and_saveexec_b64 s[36:37], vcc
	s_cbranch_execz .LBB6_18703
; %bb.18696:                            ;   in Loop: Header=BB6_16537 Depth=3
	v_and_b32_e32 v17, 0x7fffff, v3
	v_bfe_u32 v3, v3, 23, 8
	v_cmp_gt_u32_e64 s[28:29], s97, v3
	v_sub_u32_e32 v5, 0x79, v3
	v_cmp_eq_u32_e32 vcc, 0, v3
	v_cndmask_b32_e64 v5, 0, v5, s[28:29]
	v_mov_b32_e32 v21, 0x78
	v_or_b32_e32 v20, 0x800000, v17
	v_cndmask_b32_e32 v5, v5, v21, vcc
	v_cndmask_b32_e32 v20, v20, v17, vcc
	v_add_u32_e32 v17, 20, v5
	v_lshlrev_b64 v[24:25], v17, -1
	v_mov_b32_e32 v21, v51
	v_add_u32_e32 v17, 19, v5
	v_bfi_b32 v24, v24, 0, v20
	v_lshlrev_b64 v[48:49], v17, 1
	v_lshrrev_b64 v[20:21], v5, v[20:21]
	v_bfi_b32 v25, v25, 0, 0
	v_cmp_eq_u64_e64 s[28:29], v[24:25], v[48:49]
	v_mov_b32_e32 v22, v21
	v_mov_b32_e32 v21, v20
	s_and_saveexec_b64 s[38:39], s[28:29]
; %bb.18697:                            ;   in Loop: Header=BB6_16537 Depth=3
	v_bfe_u32 v17, v20, 20, 1
	v_add_co_u32_e64 v17, s[28:29], v20, v17
	v_add_co_u32_e64 v21, s[28:29], -1, v17
; %bb.18698:                            ;   in Loop: Header=BB6_16537 Depth=3
	s_or_b64 exec, exec, s[38:39]
	v_add_u32_e32 v3, 0xffffff81, v3
	v_mov_b32_e32 v17, 0xffffff82
	v_cndmask_b32_e32 v3, v3, v17, vcc
	v_lshrrev_b32_e32 v17, 23, v20
	v_add3_u32 v17, v5, v3, v17
	v_add_u32_e32 v5, 6, v17
	v_and_b32_e32 v3, 0xfffff, v21
	v_add_u32_e32 v20, v3, v20
	v_mov_b32_e32 v21, v51
	v_cmp_ne_u32_e32 vcc, 0, v5
                                        ; implicit-def: $vgpr3
	s_and_saveexec_b64 s[28:29], vcc
	s_xor_b64 s[28:29], exec, s[28:29]
; %bb.18699:                            ;   in Loop: Header=BB6_16537 Depth=3
	v_cmp_lt_u64_e32 vcc, s[88:89], v[20:21]
	v_add_u32_e32 v3, 7, v17
	v_cndmask_b32_e32 v3, v5, v3, vcc
	v_cndmask_b32_e64 v5, 0, 1, vcc
	v_lshrrev_b64 v[20:21], v5, v[20:21]
; %bb.18700:                            ;   in Loop: Header=BB6_16537 Depth=3
	s_andn2_saveexec_b64 s[28:29], s[28:29]
; %bb.18701:                            ;   in Loop: Header=BB6_16537 Depth=3
	v_bfe_u32 v3, v20, 23, 1
; %bb.18702:                            ;   in Loop: Header=BB6_16537 Depth=3
	s_or_b64 exec, exec, s[28:29]
	v_lshrrev_b64 v[20:21], 20, v[20:21]
	v_cmp_gt_i32_e32 vcc, 16, v3
	v_cndmask_b32_e32 v21, 0, v21, vcc
	v_cndmask_b32_e32 v20, 7, v20, vcc
	v_cmp_eq_u32_e32 vcc, 0, v3
	v_min_i32_e32 v3, 15, v3
	v_cmp_eq_u64_e64 s[28:29], 0, v[20:21]
	v_lshlrev_b32_e32 v3, 3, v3
	v_and_b32_e32 v3, 0xf8, v3
	v_and_or_b32 v3, v20, 7, v3
	s_and_b64 s[28:29], vcc, s[28:29]
	v_cndmask_b32_e64 v3, v3, 0, s[28:29]
	v_or_b32_e32 v48, v3, v0
.LBB6_18703:                            ;   in Loop: Header=BB6_16537 Depth=3
	s_or_b64 exec, exec, s[36:37]
                                        ; implicit-def: $vgpr0
.LBB6_18704:                            ;   in Loop: Header=BB6_16537 Depth=3
	s_andn2_saveexec_b64 s[28:29], s[34:35]
; %bb.18705:                            ;   in Loop: Header=BB6_16537 Depth=3
	v_or_b32_e32 v48, 0x7e, v0
; %bb.18706:                            ;   in Loop: Header=BB6_16537 Depth=3
	s_or_b64 exec, exec, s[28:29]
                                        ; implicit-def: $vgpr3
.LBB6_18707:                            ;   in Loop: Header=BB6_16537 Depth=3
	s_andn2_saveexec_b64 s[28:29], s[30:31]
; %bb.18708:                            ;   in Loop: Header=BB6_16537 Depth=3
	v_or_b32_sdwa v48, v3, s86 dst_sel:DWORD dst_unused:UNUSED_PAD src0_sel:BYTE_3 src1_sel:DWORD
; %bb.18709:                            ;   in Loop: Header=BB6_16537 Depth=3
	s_or_b64 exec, exec, s[28:29]
	v_cmp_lt_u32_e32 vcc, s57, v16
	v_mov_b32_e32 v0, 0
	v_mov_b32_e32 v3, 0
	s_and_saveexec_b64 s[28:29], vcc
	s_cbranch_execz .LBB6_18715
; %bb.18710:                            ;   in Loop: Header=BB6_16537 Depth=3
	v_lshrrev_b32_e32 v17, 24, v16
	v_cmp_ne_u32_sdwa vcc, v16, s96 src0_sel:BYTE_3 src1_sel:DWORD
	v_bfrev_b32_e32 v3, 1
	s_and_saveexec_b64 s[30:31], vcc
	s_cbranch_execz .LBB6_18714
; %bb.18711:                            ;   in Loop: Header=BB6_16537 Depth=3
	v_bfe_u32 v5, v16, 24, 7
	v_cmp_ne_u32_e32 vcc, s86, v5
	v_mov_b32_e32 v3, 0x7f800001
	s_and_saveexec_b64 s[34:35], vcc
	s_cbranch_execz .LBB6_18713
; %bb.18712:                            ;   in Loop: Header=BB6_16537 Depth=3
	v_and_b32_e32 v3, 7, v17
	v_lshrrev_b32_e32 v22, 3, v5
	v_cmp_gt_u32_e32 vcc, 8, v5
	v_ffbh_u32_e32 v5, v3
	v_min_u32_e32 v5, 32, v5
	v_subrev_u32_e32 v20, 28, v5
	v_lshlrev_b64 v[20:21], v20, v[17:18]
	v_sub_u32_e32 v5, 29, v5
	v_and_b32_e32 v17, 7, v20
	v_cndmask_b32_e32 v3, v3, v17, vcc
	v_mov_b32_e32 v17, 24
	v_cndmask_b32_e32 v5, v22, v5, vcc
	v_lshlrev_b32_sdwa v16, v17, v16 dst_sel:DWORD dst_unused:UNUSED_PAD src0_sel:DWORD src1_sel:BYTE_3
	v_bfrev_b32_e32 v17, 60
	v_lshlrev_b32_e32 v3, 20, v3
	v_and_b32_e32 v16, 0x80000000, v16
	v_lshl_add_u32 v5, v5, 23, v17
	v_or3_b32 v3, v16, v5, v3
.LBB6_18713:                            ;   in Loop: Header=BB6_16537 Depth=3
	s_or_b64 exec, exec, s[34:35]
.LBB6_18714:                            ;   in Loop: Header=BB6_16537 Depth=3
	s_or_b64 exec, exec, s[30:31]
.LBB6_18715:                            ;   in Loop: Header=BB6_16537 Depth=3
	s_or_b64 exec, exec, s[28:29]
	v_cmp_lt_u32_e32 vcc, s57, v18
	s_and_saveexec_b64 s[28:29], vcc
	s_cbranch_execz .LBB6_18721
; %bb.18716:                            ;   in Loop: Header=BB6_16537 Depth=3
	v_lshrrev_b32_e32 v16, 24, v18
	v_cmp_ne_u32_e32 vcc, s96, v16
	v_bfrev_b32_e32 v0, 1
	s_and_saveexec_b64 s[30:31], vcc
	s_cbranch_execz .LBB6_18720
; %bb.18717:                            ;   in Loop: Header=BB6_16537 Depth=3
	v_bfe_u32 v5, v18, 24, 7
	v_cmp_ne_u32_e32 vcc, s86, v5
	v_mov_b32_e32 v0, 0x7f800001
	s_and_saveexec_b64 s[34:35], vcc
	s_cbranch_execz .LBB6_18719
; %bb.18718:                            ;   in Loop: Header=BB6_16537 Depth=3
	v_and_b32_e32 v0, 7, v16
	v_lshrrev_b32_e32 v17, 3, v5
	v_cmp_gt_u32_e32 vcc, 8, v5
	v_ffbh_u32_e32 v5, v0
	v_min_u32_e32 v5, 32, v5
	v_subrev_u32_e32 v20, 28, v5
	v_lshlrev_b64 v[20:21], v20, v[16:17]
	v_sub_u32_e32 v5, 29, v5
	v_and_b32_e32 v20, 7, v20
	v_cndmask_b32_e32 v5, v17, v5, vcc
	v_cndmask_b32_e32 v0, v0, v20, vcc
	v_lshlrev_b32_e32 v16, 24, v16
	v_bfrev_b32_e32 v17, 60
	v_lshlrev_b32_e32 v0, 20, v0
	v_and_b32_e32 v16, 0x80000000, v16
	v_lshl_add_u32 v5, v5, 23, v17
	v_or3_b32 v0, v16, v5, v0
.LBB6_18719:                            ;   in Loop: Header=BB6_16537 Depth=3
	s_or_b64 exec, exec, s[34:35]
.LBB6_18720:                            ;   in Loop: Header=BB6_16537 Depth=3
	s_or_b64 exec, exec, s[30:31]
.LBB6_18721:                            ;   in Loop: Header=BB6_16537 Depth=3
	s_or_b64 exec, exec, s[28:29]
	v_add_f32_e32 v3, v3, v0
	v_and_b32_e32 v16, 0x7f800000, v3
	v_mov_b32_e32 v17, v51
	v_cmp_ne_u64_e32 vcc, s[76:77], v[16:17]
                                        ; implicit-def: $vgpr50
	s_and_saveexec_b64 s[28:29], vcc
	s_xor_b64 s[30:31], exec, s[28:29]
	s_cbranch_execz .LBB6_18735
; %bb.18722:                            ;   in Loop: Header=BB6_16537 Depth=3
	v_and_b32_e32 v16, 0x7fffffff, v3
	v_mov_b32_e32 v17, v51
	v_cmp_gt_u64_e32 vcc, s[78:79], v[16:17]
	v_and_b32_sdwa v0, v3, s96 dst_sel:DWORD dst_unused:UNUSED_PAD src0_sel:BYTE_3 src1_sel:DWORD
                                        ; implicit-def: $vgpr50
	s_and_saveexec_b64 s[28:29], vcc
	s_xor_b64 s[34:35], exec, s[28:29]
	s_cbranch_execz .LBB6_18732
; %bb.18723:                            ;   in Loop: Header=BB6_16537 Depth=3
	v_mov_b32_e32 v50, 0
	v_cmp_ne_u32_e32 vcc, 0, v3
	s_and_saveexec_b64 s[36:37], vcc
	s_cbranch_execz .LBB6_18731
; %bb.18724:                            ;   in Loop: Header=BB6_16537 Depth=3
	v_and_b32_e32 v16, 0x7fffff, v3
	v_bfe_u32 v3, v3, 23, 8
	v_cmp_gt_u32_e64 s[28:29], s97, v3
	v_sub_u32_e32 v5, 0x79, v3
	v_cmp_eq_u32_e32 vcc, 0, v3
	v_cndmask_b32_e64 v5, 0, v5, s[28:29]
	v_mov_b32_e32 v20, 0x78
	v_cndmask_b32_e32 v5, v5, v20, vcc
	v_add_u32_e32 v20, 20, v5
	v_or_b32_e32 v17, 0x800000, v16
	v_lshlrev_b64 v[20:21], v20, -1
	v_cndmask_b32_e32 v16, v17, v16, vcc
	v_mov_b32_e32 v17, v51
	v_add_u32_e32 v22, 19, v5
	v_bfi_b32 v20, v20, 0, v16
	v_lshlrev_b64 v[24:25], v22, 1
	v_lshrrev_b64 v[16:17], v5, v[16:17]
	v_bfi_b32 v21, v21, 0, 0
	v_cmp_eq_u64_e64 s[28:29], v[20:21], v[24:25]
	v_mov_b32_e32 v21, v17
	v_mov_b32_e32 v20, v16
	s_and_saveexec_b64 s[38:39], s[28:29]
; %bb.18725:                            ;   in Loop: Header=BB6_16537 Depth=3
	v_bfe_u32 v17, v16, 20, 1
	v_add_co_u32_e64 v17, s[28:29], v16, v17
	v_add_co_u32_e64 v20, s[28:29], -1, v17
; %bb.18726:                            ;   in Loop: Header=BB6_16537 Depth=3
	s_or_b64 exec, exec, s[38:39]
	v_add_u32_e32 v3, 0xffffff81, v3
	v_mov_b32_e32 v17, 0xffffff82
	v_cndmask_b32_e32 v3, v3, v17, vcc
	v_lshrrev_b32_e32 v17, 23, v16
	v_add3_u32 v21, v5, v3, v17
	v_add_u32_e32 v5, 6, v21
	v_and_b32_e32 v3, 0xfffff, v20
	v_add_u32_e32 v16, v3, v16
	v_mov_b32_e32 v17, v51
	v_cmp_ne_u32_e32 vcc, 0, v5
                                        ; implicit-def: $vgpr3
	s_and_saveexec_b64 s[28:29], vcc
	s_xor_b64 s[28:29], exec, s[28:29]
; %bb.18727:                            ;   in Loop: Header=BB6_16537 Depth=3
	v_cmp_lt_u64_e32 vcc, s[88:89], v[16:17]
	v_add_u32_e32 v3, 7, v21
	v_cndmask_b32_e32 v3, v5, v3, vcc
	v_cndmask_b32_e64 v5, 0, 1, vcc
	v_lshrrev_b64 v[16:17], v5, v[16:17]
; %bb.18728:                            ;   in Loop: Header=BB6_16537 Depth=3
	s_andn2_saveexec_b64 s[28:29], s[28:29]
; %bb.18729:                            ;   in Loop: Header=BB6_16537 Depth=3
	v_bfe_u32 v3, v16, 23, 1
; %bb.18730:                            ;   in Loop: Header=BB6_16537 Depth=3
	s_or_b64 exec, exec, s[28:29]
	v_lshrrev_b64 v[16:17], 20, v[16:17]
	v_cmp_gt_i32_e32 vcc, 16, v3
	v_cndmask_b32_e32 v17, 0, v17, vcc
	v_cndmask_b32_e32 v16, 7, v16, vcc
	v_cmp_eq_u32_e32 vcc, 0, v3
	v_min_i32_e32 v3, 15, v3
	v_cmp_eq_u64_e64 s[28:29], 0, v[16:17]
	v_lshlrev_b32_e32 v3, 3, v3
	v_and_b32_e32 v3, 0xf8, v3
	v_and_or_b32 v3, v16, 7, v3
	s_and_b64 s[28:29], vcc, s[28:29]
	v_cndmask_b32_e64 v3, v3, 0, s[28:29]
	v_or_b32_e32 v50, v3, v0
.LBB6_18731:                            ;   in Loop: Header=BB6_16537 Depth=3
	s_or_b64 exec, exec, s[36:37]
                                        ; implicit-def: $vgpr0
.LBB6_18732:                            ;   in Loop: Header=BB6_16537 Depth=3
	s_andn2_saveexec_b64 s[28:29], s[34:35]
; %bb.18733:                            ;   in Loop: Header=BB6_16537 Depth=3
	v_or_b32_e32 v50, 0x7e, v0
; %bb.18734:                            ;   in Loop: Header=BB6_16537 Depth=3
	s_or_b64 exec, exec, s[28:29]
                                        ; implicit-def: $vgpr3
.LBB6_18735:                            ;   in Loop: Header=BB6_16537 Depth=3
	s_andn2_saveexec_b64 s[28:29], s[30:31]
; %bb.18736:                            ;   in Loop: Header=BB6_16537 Depth=3
	v_or_b32_sdwa v50, v3, s86 dst_sel:DWORD dst_unused:UNUSED_PAD src0_sel:BYTE_3 src1_sel:DWORD
; %bb.18737:                            ;   in Loop: Header=BB6_16537 Depth=3
	s_or_b64 exec, exec, s[28:29]
	buffer_load_dword v0, off, s[0:3], s33 offset:244 ; 4-byte Folded Reload
	v_mov_b32_e32 v17, v51
	v_cmp_ne_u32_e32 vcc, 0, v34
	s_waitcnt vmcnt(0)
	v_lshlrev_b32_e32 v3, 24, v0
	buffer_load_dword v0, off, s[0:3], s33 offset:224 ; 4-byte Folded Reload
	s_waitcnt vmcnt(0)
	v_lshlrev_b32_e32 v5, 16, v0
	buffer_load_dword v0, off, s[0:3], s33 offset:204 ; 4-byte Folded Reload
	s_waitcnt vmcnt(0)
	v_lshl_or_b32 v0, v0, 8, v34
	v_or3_b32 v16, v5, v3, v0
	v_mov_b32_e32 v5, 0
	v_mov_b32_e32 v3, 0
	s_and_saveexec_b64 s[28:29], vcc
	s_cbranch_execz .LBB6_18743
; %bb.18738:                            ;   in Loop: Header=BB6_16537 Depth=3
	v_cmp_ne_u32_e32 vcc, s96, v34
	v_bfrev_b32_e32 v3, 1
	s_and_saveexec_b64 s[30:31], vcc
	s_cbranch_execz .LBB6_18742
; %bb.18739:                            ;   in Loop: Header=BB6_16537 Depth=3
	v_and_b32_e32 v20, 0x7f, v34
	v_cmp_ne_u32_e32 vcc, s86, v20
	v_mov_b32_e32 v3, 0x7f800001
	s_and_saveexec_b64 s[34:35], vcc
	s_cbranch_execz .LBB6_18741
; %bb.18740:                            ;   in Loop: Header=BB6_16537 Depth=3
	v_and_b32_e32 v3, 7, v34
	v_ffbh_u32_e32 v3, v3
	v_min_u32_e32 v3, 32, v3
	v_lshrrev_b32_e32 v21, 3, v20
	v_cmp_gt_u32_e32 vcc, 8, v20
	v_subrev_u32_e32 v20, 28, v3
	v_sub_u32_e32 v3, 29, v3
	v_cndmask_b32_e32 v20, 0, v20, vcc
	v_cndmask_b32_e32 v3, v21, v3, vcc
	v_lshlrev_b64 v[20:21], v20, v[16:17]
	v_bfrev_b32_e32 v21, 60
	v_lshlrev_b32_e32 v17, 20, v20
	v_lshlrev_b32_e32 v20, 24, v16
	v_and_b32_e32 v17, 0x700000, v17
	v_and_b32_e32 v20, 0x80000000, v20
	v_lshl_add_u32 v3, v3, 23, v21
	v_or3_b32 v3, v20, v3, v17
.LBB6_18741:                            ;   in Loop: Header=BB6_16537 Depth=3
	s_or_b64 exec, exec, s[34:35]
.LBB6_18742:                            ;   in Loop: Header=BB6_16537 Depth=3
	s_or_b64 exec, exec, s[30:31]
.LBB6_18743:                            ;   in Loop: Header=BB6_16537 Depth=3
	s_or_b64 exec, exec, s[28:29]
	v_cmp_ne_u16_sdwa vcc, v19, v51 src0_sel:BYTE_0 src1_sel:DWORD
	s_and_saveexec_b64 s[28:29], vcc
	s_cbranch_execz .LBB6_18749
; %bb.18744:                            ;   in Loop: Header=BB6_16537 Depth=3
	v_cmp_ne_u16_sdwa vcc, v19, s96 src0_sel:BYTE_0 src1_sel:DWORD
	v_bfrev_b32_e32 v5, 1
	s_and_saveexec_b64 s[30:31], vcc
	s_cbranch_execz .LBB6_18748
; %bb.18745:                            ;   in Loop: Header=BB6_16537 Depth=3
	v_and_b32_e32 v17, 0x7f, v19
	v_cmp_ne_u32_e32 vcc, s86, v17
	v_mov_b32_e32 v5, 0x7f800001
	s_and_saveexec_b64 s[34:35], vcc
	s_cbranch_execz .LBB6_18747
; %bb.18746:                            ;   in Loop: Header=BB6_16537 Depth=3
	v_and_b32_e32 v5, 7, v19
	v_ffbh_u32_e32 v5, v5
	v_min_u32_e32 v5, 32, v5
	v_lshrrev_b32_e32 v22, 3, v17
	v_cmp_gt_u32_e32 vcc, 8, v17
	v_subrev_u32_e32 v17, 28, v5
	v_mov_b32_e32 v20, v19
	v_mov_b32_e32 v21, v51
	v_sub_u32_e32 v5, 29, v5
	v_cndmask_b32_e32 v17, 0, v17, vcc
	v_cndmask_b32_e32 v5, v22, v5, vcc
	v_lshlrev_b64 v[21:22], v17, v[20:21]
	v_lshlrev_b32_e32 v20, 24, v20
	v_lshlrev_b32_e32 v17, 20, v21
	v_bfrev_b32_e32 v21, 60
	v_and_b32_e32 v17, 0x700000, v17
	v_and_b32_e32 v20, 0x80000000, v20
	v_lshl_add_u32 v5, v5, 23, v21
	v_or3_b32 v5, v20, v5, v17
.LBB6_18747:                            ;   in Loop: Header=BB6_16537 Depth=3
	s_or_b64 exec, exec, s[34:35]
.LBB6_18748:                            ;   in Loop: Header=BB6_16537 Depth=3
	s_or_b64 exec, exec, s[30:31]
.LBB6_18749:                            ;   in Loop: Header=BB6_16537 Depth=3
	s_or_b64 exec, exec, s[28:29]
	v_add_f32_e32 v5, v3, v5
	v_and_b32_e32 v20, 0x7f800000, v5
	v_mov_b32_e32 v21, v51
	v_cmp_ne_u64_e32 vcc, s[76:77], v[20:21]
                                        ; implicit-def: $vgpr34
	s_and_saveexec_b64 s[28:29], vcc
	s_xor_b64 s[30:31], exec, s[28:29]
	s_cbranch_execz .LBB6_18763
; %bb.18750:                            ;   in Loop: Header=BB6_16537 Depth=3
	v_and_b32_e32 v20, 0x7fffffff, v5
	v_mov_b32_e32 v21, v51
	v_cmp_gt_u64_e32 vcc, s[78:79], v[20:21]
	v_and_b32_sdwa v3, v5, s96 dst_sel:DWORD dst_unused:UNUSED_PAD src0_sel:BYTE_3 src1_sel:DWORD
                                        ; implicit-def: $vgpr34
	s_and_saveexec_b64 s[28:29], vcc
	s_xor_b64 s[34:35], exec, s[28:29]
	s_cbranch_execz .LBB6_18760
; %bb.18751:                            ;   in Loop: Header=BB6_16537 Depth=3
	v_mov_b32_e32 v34, 0
	v_cmp_ne_u32_e32 vcc, 0, v5
	s_and_saveexec_b64 s[36:37], vcc
	s_cbranch_execz .LBB6_18759
; %bb.18752:                            ;   in Loop: Header=BB6_16537 Depth=3
	v_and_b32_e32 v20, 0x7fffff, v5
	v_bfe_u32 v5, v5, 23, 8
	v_cmp_gt_u32_e64 s[28:29], s97, v5
	v_sub_u32_e32 v17, 0x79, v5
	v_cmp_eq_u32_e32 vcc, 0, v5
	v_cndmask_b32_e64 v17, 0, v17, s[28:29]
	v_mov_b32_e32 v22, 0x78
	v_cndmask_b32_e32 v17, v17, v22, vcc
	v_add_u32_e32 v22, 20, v17
	v_or_b32_e32 v21, 0x800000, v20
	v_lshlrev_b64 v[24:25], v22, -1
	v_cndmask_b32_e32 v20, v21, v20, vcc
	v_mov_b32_e32 v21, v51
	v_add_u32_e32 v22, 19, v17
	v_bfi_b32 v24, v24, 0, v20
	v_lshlrev_b64 v[34:35], v22, 1
	v_lshrrev_b64 v[20:21], v17, v[20:21]
	v_bfi_b32 v25, v25, 0, 0
	v_cmp_eq_u64_e64 s[28:29], v[24:25], v[34:35]
	v_mov_b32_e32 v22, v21
	v_mov_b32_e32 v21, v20
	s_and_saveexec_b64 s[38:39], s[28:29]
; %bb.18753:                            ;   in Loop: Header=BB6_16537 Depth=3
	v_bfe_u32 v21, v20, 20, 1
	v_add_co_u32_e64 v21, s[28:29], v20, v21
	v_add_co_u32_e64 v21, s[28:29], -1, v21
; %bb.18754:                            ;   in Loop: Header=BB6_16537 Depth=3
	s_or_b64 exec, exec, s[38:39]
	v_add_u32_e32 v5, 0xffffff81, v5
	v_mov_b32_e32 v22, 0xffffff82
	v_cndmask_b32_e32 v5, v5, v22, vcc
	v_lshrrev_b32_e32 v22, 23, v20
	v_add3_u32 v22, v17, v5, v22
	v_add_u32_e32 v17, 6, v22
	v_and_b32_e32 v5, 0xfffff, v21
	v_add_u32_e32 v20, v5, v20
	v_mov_b32_e32 v21, v51
	v_cmp_ne_u32_e32 vcc, 0, v17
                                        ; implicit-def: $vgpr5
	s_and_saveexec_b64 s[28:29], vcc
	s_xor_b64 s[28:29], exec, s[28:29]
; %bb.18755:                            ;   in Loop: Header=BB6_16537 Depth=3
	v_cmp_lt_u64_e32 vcc, s[88:89], v[20:21]
	v_add_u32_e32 v5, 7, v22
	v_cndmask_b32_e32 v5, v17, v5, vcc
	v_cndmask_b32_e64 v17, 0, 1, vcc
	v_lshrrev_b64 v[20:21], v17, v[20:21]
; %bb.18756:                            ;   in Loop: Header=BB6_16537 Depth=3
	s_andn2_saveexec_b64 s[28:29], s[28:29]
; %bb.18757:                            ;   in Loop: Header=BB6_16537 Depth=3
	v_bfe_u32 v5, v20, 23, 1
; %bb.18758:                            ;   in Loop: Header=BB6_16537 Depth=3
	s_or_b64 exec, exec, s[28:29]
	v_lshrrev_b64 v[20:21], 20, v[20:21]
	v_cmp_gt_i32_e32 vcc, 16, v5
	v_cndmask_b32_e32 v21, 0, v21, vcc
	v_cndmask_b32_e32 v20, 7, v20, vcc
	v_cmp_eq_u32_e32 vcc, 0, v5
	v_min_i32_e32 v5, 15, v5
	v_cmp_eq_u64_e64 s[28:29], 0, v[20:21]
	v_lshlrev_b32_e32 v5, 3, v5
	v_and_b32_e32 v5, 0xf8, v5
	v_and_or_b32 v5, v20, 7, v5
	s_and_b64 s[28:29], vcc, s[28:29]
	v_cndmask_b32_e64 v5, v5, 0, s[28:29]
	v_or_b32_e32 v34, v5, v3
.LBB6_18759:                            ;   in Loop: Header=BB6_16537 Depth=3
	s_or_b64 exec, exec, s[36:37]
                                        ; implicit-def: $vgpr3
.LBB6_18760:                            ;   in Loop: Header=BB6_16537 Depth=3
	s_andn2_saveexec_b64 s[28:29], s[34:35]
; %bb.18761:                            ;   in Loop: Header=BB6_16537 Depth=3
	v_or_b32_e32 v34, 0x7e, v3
; %bb.18762:                            ;   in Loop: Header=BB6_16537 Depth=3
	s_or_b64 exec, exec, s[28:29]
                                        ; implicit-def: $vgpr5
.LBB6_18763:                            ;   in Loop: Header=BB6_16537 Depth=3
	s_andn2_saveexec_b64 s[28:29], s[30:31]
; %bb.18764:                            ;   in Loop: Header=BB6_16537 Depth=3
	v_or_b32_sdwa v34, v5, s86 dst_sel:DWORD dst_unused:UNUSED_PAD src0_sel:BYTE_3 src1_sel:DWORD
; %bb.18765:                            ;   in Loop: Header=BB6_16537 Depth=3
	s_or_b64 exec, exec, s[28:29]
	v_lshrrev_b16_e32 v17, 8, v0
	v_cmp_ne_u16_e32 vcc, 0, v17
	v_mov_b32_e32 v3, 0
	v_mov_b32_e32 v5, 0
	s_and_saveexec_b64 s[28:29], vcc
	s_cbranch_execz .LBB6_18771
; %bb.18766:                            ;   in Loop: Header=BB6_16537 Depth=3
	v_cmp_ne_u16_e32 vcc, s96, v17
	v_bfrev_b32_e32 v5, 1
	s_and_saveexec_b64 s[30:31], vcc
	s_cbranch_execz .LBB6_18770
; %bb.18767:                            ;   in Loop: Header=BB6_16537 Depth=3
	v_and_b32_e32 v20, 0x7f, v17
	v_cmp_ne_u32_e32 vcc, s86, v20
	v_mov_b32_e32 v5, 0x7f800001
	s_and_saveexec_b64 s[34:35], vcc
	s_cbranch_execz .LBB6_18769
; %bb.18768:                            ;   in Loop: Header=BB6_16537 Depth=3
	v_and_b32_e32 v5, 7, v17
	v_lshrrev_b32_e32 v22, 3, v20
	v_cmp_gt_u32_e32 vcc, 8, v20
	v_ffbh_u32_e32 v20, v5
	v_min_u32_e32 v24, 32, v20
	v_subrev_u32_e32 v20, 28, v24
	v_lshlrev_b64 v[20:21], v20, v[17:18]
	v_sub_u32_e32 v17, 29, v24
	v_and_b32_e32 v20, 7, v20
	v_cndmask_b32_e32 v17, v22, v17, vcc
	v_cndmask_b32_e32 v5, v5, v20, vcc
	v_lshlrev_b32_e32 v0, 16, v0
	v_bfrev_b32_e32 v20, 60
	v_lshlrev_b32_e32 v5, 20, v5
	v_and_b32_e32 v0, 0x80000000, v0
	v_lshl_add_u32 v17, v17, 23, v20
	v_or3_b32 v5, v0, v17, v5
.LBB6_18769:                            ;   in Loop: Header=BB6_16537 Depth=3
	s_or_b64 exec, exec, s[34:35]
.LBB6_18770:                            ;   in Loop: Header=BB6_16537 Depth=3
	s_or_b64 exec, exec, s[30:31]
.LBB6_18771:                            ;   in Loop: Header=BB6_16537 Depth=3
	s_or_b64 exec, exec, s[28:29]
	v_lshrrev_b16_e32 v17, 8, v19
	v_cmp_ne_u16_e32 vcc, 0, v17
	s_and_saveexec_b64 s[28:29], vcc
	s_cbranch_execz .LBB6_18777
; %bb.18772:                            ;   in Loop: Header=BB6_16537 Depth=3
	v_cmp_ne_u16_e32 vcc, s96, v17
	v_bfrev_b32_e32 v3, 1
	s_and_saveexec_b64 s[30:31], vcc
	s_cbranch_execz .LBB6_18776
; %bb.18773:                            ;   in Loop: Header=BB6_16537 Depth=3
	v_and_b32_e32 v0, 0x7f, v17
	v_cmp_ne_u32_e32 vcc, s86, v0
	v_mov_b32_e32 v3, 0x7f800001
	s_and_saveexec_b64 s[34:35], vcc
	s_cbranch_execz .LBB6_18775
; %bb.18774:                            ;   in Loop: Header=BB6_16537 Depth=3
	v_and_b32_e32 v3, 7, v17
	v_lshrrev_b32_e32 v22, 3, v0
	v_cmp_gt_u32_e32 vcc, 8, v0
	v_ffbh_u32_e32 v0, v3
	v_min_u32_e32 v0, 32, v0
	v_subrev_u32_e32 v20, 28, v0
	v_lshlrev_b64 v[20:21], v20, v[17:18]
	v_sub_u32_e32 v0, 29, v0
	v_and_b32_e32 v17, 7, v20
	v_cndmask_b32_e32 v0, v22, v0, vcc
	v_cndmask_b32_e32 v3, v3, v17, vcc
	v_lshlrev_b32_e32 v17, 16, v19
	v_bfrev_b32_e32 v20, 60
	v_lshlrev_b32_e32 v3, 20, v3
	v_and_b32_e32 v17, 0x80000000, v17
	v_lshl_add_u32 v0, v0, 23, v20
	v_or3_b32 v3, v17, v0, v3
.LBB6_18775:                            ;   in Loop: Header=BB6_16537 Depth=3
	s_or_b64 exec, exec, s[34:35]
.LBB6_18776:                            ;   in Loop: Header=BB6_16537 Depth=3
	s_or_b64 exec, exec, s[30:31]
.LBB6_18777:                            ;   in Loop: Header=BB6_16537 Depth=3
	s_or_b64 exec, exec, s[28:29]
	v_add_f32_e32 v3, v5, v3
	v_and_b32_e32 v20, 0x7f800000, v3
	v_mov_b32_e32 v21, v51
	v_cmp_ne_u64_e32 vcc, s[76:77], v[20:21]
                                        ; implicit-def: $vgpr49
	s_and_saveexec_b64 s[28:29], vcc
	s_xor_b64 s[30:31], exec, s[28:29]
	s_cbranch_execz .LBB6_18791
; %bb.18778:                            ;   in Loop: Header=BB6_16537 Depth=3
	v_and_b32_e32 v20, 0x7fffffff, v3
	v_mov_b32_e32 v21, v51
	v_cmp_gt_u64_e32 vcc, s[78:79], v[20:21]
	v_and_b32_sdwa v0, v3, s96 dst_sel:DWORD dst_unused:UNUSED_PAD src0_sel:BYTE_3 src1_sel:DWORD
                                        ; implicit-def: $vgpr49
	s_and_saveexec_b64 s[28:29], vcc
	s_xor_b64 s[34:35], exec, s[28:29]
	s_cbranch_execz .LBB6_18788
; %bb.18779:                            ;   in Loop: Header=BB6_16537 Depth=3
	v_mov_b32_e32 v49, 0
	v_cmp_ne_u32_e32 vcc, 0, v3
	s_and_saveexec_b64 s[36:37], vcc
	s_cbranch_execz .LBB6_18787
; %bb.18780:                            ;   in Loop: Header=BB6_16537 Depth=3
	v_and_b32_e32 v17, 0x7fffff, v3
	v_bfe_u32 v3, v3, 23, 8
	v_cmp_gt_u32_e64 s[28:29], s97, v3
	v_sub_u32_e32 v5, 0x79, v3
	v_cmp_eq_u32_e32 vcc, 0, v3
	v_cndmask_b32_e64 v5, 0, v5, s[28:29]
	v_mov_b32_e32 v21, 0x78
	v_or_b32_e32 v20, 0x800000, v17
	v_cndmask_b32_e32 v5, v5, v21, vcc
	v_cndmask_b32_e32 v20, v20, v17, vcc
	v_add_u32_e32 v17, 20, v5
	v_lshlrev_b64 v[24:25], v17, -1
	v_mov_b32_e32 v21, v51
	v_add_u32_e32 v17, 19, v5
	v_bfi_b32 v24, v24, 0, v20
	v_lshlrev_b64 v[52:53], v17, 1
	v_lshrrev_b64 v[20:21], v5, v[20:21]
	v_bfi_b32 v25, v25, 0, 0
	v_cmp_eq_u64_e64 s[28:29], v[24:25], v[52:53]
	v_mov_b32_e32 v22, v21
	v_mov_b32_e32 v21, v20
	s_and_saveexec_b64 s[38:39], s[28:29]
; %bb.18781:                            ;   in Loop: Header=BB6_16537 Depth=3
	v_bfe_u32 v17, v20, 20, 1
	v_add_co_u32_e64 v17, s[28:29], v20, v17
	v_add_co_u32_e64 v21, s[28:29], -1, v17
; %bb.18782:                            ;   in Loop: Header=BB6_16537 Depth=3
	s_or_b64 exec, exec, s[38:39]
	v_add_u32_e32 v3, 0xffffff81, v3
	v_mov_b32_e32 v17, 0xffffff82
	v_cndmask_b32_e32 v3, v3, v17, vcc
	v_lshrrev_b32_e32 v17, 23, v20
	v_add3_u32 v17, v5, v3, v17
	v_add_u32_e32 v5, 6, v17
	v_and_b32_e32 v3, 0xfffff, v21
	v_add_u32_e32 v20, v3, v20
	v_mov_b32_e32 v21, v51
	v_cmp_ne_u32_e32 vcc, 0, v5
                                        ; implicit-def: $vgpr3
	s_and_saveexec_b64 s[28:29], vcc
	s_xor_b64 s[28:29], exec, s[28:29]
; %bb.18783:                            ;   in Loop: Header=BB6_16537 Depth=3
	v_cmp_lt_u64_e32 vcc, s[88:89], v[20:21]
	v_add_u32_e32 v3, 7, v17
	v_cndmask_b32_e32 v3, v5, v3, vcc
	v_cndmask_b32_e64 v5, 0, 1, vcc
	v_lshrrev_b64 v[20:21], v5, v[20:21]
; %bb.18784:                            ;   in Loop: Header=BB6_16537 Depth=3
	s_andn2_saveexec_b64 s[28:29], s[28:29]
; %bb.18785:                            ;   in Loop: Header=BB6_16537 Depth=3
	v_bfe_u32 v3, v20, 23, 1
; %bb.18786:                            ;   in Loop: Header=BB6_16537 Depth=3
	s_or_b64 exec, exec, s[28:29]
	v_lshrrev_b64 v[20:21], 20, v[20:21]
	v_cmp_gt_i32_e32 vcc, 16, v3
	v_cndmask_b32_e32 v21, 0, v21, vcc
	v_cndmask_b32_e32 v20, 7, v20, vcc
	v_cmp_eq_u32_e32 vcc, 0, v3
	v_min_i32_e32 v3, 15, v3
	v_cmp_eq_u64_e64 s[28:29], 0, v[20:21]
	v_lshlrev_b32_e32 v3, 3, v3
	v_and_b32_e32 v3, 0xf8, v3
	v_and_or_b32 v3, v20, 7, v3
	s_and_b64 s[28:29], vcc, s[28:29]
	v_cndmask_b32_e64 v3, v3, 0, s[28:29]
	v_or_b32_e32 v49, v3, v0
.LBB6_18787:                            ;   in Loop: Header=BB6_16537 Depth=3
	s_or_b64 exec, exec, s[36:37]
                                        ; implicit-def: $vgpr0
.LBB6_18788:                            ;   in Loop: Header=BB6_16537 Depth=3
	s_andn2_saveexec_b64 s[28:29], s[34:35]
; %bb.18789:                            ;   in Loop: Header=BB6_16537 Depth=3
	v_or_b32_e32 v49, 0x7e, v0
; %bb.18790:                            ;   in Loop: Header=BB6_16537 Depth=3
	s_or_b64 exec, exec, s[28:29]
                                        ; implicit-def: $vgpr3
.LBB6_18791:                            ;   in Loop: Header=BB6_16537 Depth=3
	s_andn2_saveexec_b64 s[28:29], s[30:31]
; %bb.18792:                            ;   in Loop: Header=BB6_16537 Depth=3
	v_or_b32_sdwa v49, v3, s86 dst_sel:DWORD dst_unused:UNUSED_PAD src0_sel:BYTE_3 src1_sel:DWORD
; %bb.18793:                            ;   in Loop: Header=BB6_16537 Depth=3
	s_or_b64 exec, exec, s[28:29]
	v_lshrrev_b32_e32 v17, 16, v16
	v_cmp_ne_u16_sdwa vcc, v17, v51 src0_sel:BYTE_0 src1_sel:DWORD
	v_mov_b32_e32 v0, 0
	v_mov_b32_e32 v3, 0
	s_and_saveexec_b64 s[28:29], vcc
	s_cbranch_execz .LBB6_18799
; %bb.18794:                            ;   in Loop: Header=BB6_16537 Depth=3
	v_cmp_ne_u16_sdwa vcc, v17, s96 src0_sel:BYTE_0 src1_sel:DWORD
	v_bfrev_b32_e32 v3, 1
	s_and_saveexec_b64 s[30:31], vcc
	s_cbranch_execz .LBB6_18798
; %bb.18795:                            ;   in Loop: Header=BB6_16537 Depth=3
	v_bfe_u32 v5, v16, 16, 7
	v_cmp_ne_u32_e32 vcc, s86, v5
	v_mov_b32_e32 v3, 0x7f800001
	s_and_saveexec_b64 s[34:35], vcc
	s_cbranch_execz .LBB6_18797
; %bb.18796:                            ;   in Loop: Header=BB6_16537 Depth=3
	v_and_b32_e32 v3, 7, v17
	v_lshrrev_b32_e32 v22, 3, v5
	v_cmp_gt_u32_e32 vcc, 8, v5
	v_ffbh_u32_e32 v5, v3
	v_min_u32_e32 v5, 32, v5
	v_subrev_u32_e32 v20, 28, v5
	v_lshlrev_b64 v[20:21], v20, v[17:18]
	v_sub_u32_e32 v5, 29, v5
	v_and_b32_e32 v20, 7, v20
	v_cndmask_b32_e32 v5, v22, v5, vcc
	v_cndmask_b32_e32 v3, v3, v20, vcc
	v_lshlrev_b32_e32 v17, 24, v17
	v_bfrev_b32_e32 v20, 60
	v_lshlrev_b32_e32 v3, 20, v3
	v_and_b32_e32 v17, 0x80000000, v17
	v_lshl_add_u32 v5, v5, 23, v20
	v_or3_b32 v3, v17, v5, v3
.LBB6_18797:                            ;   in Loop: Header=BB6_16537 Depth=3
	s_or_b64 exec, exec, s[34:35]
.LBB6_18798:                            ;   in Loop: Header=BB6_16537 Depth=3
	s_or_b64 exec, exec, s[30:31]
.LBB6_18799:                            ;   in Loop: Header=BB6_16537 Depth=3
	s_or_b64 exec, exec, s[28:29]
	v_lshrrev_b32_e32 v17, 16, v19
	v_cmp_ne_u16_sdwa vcc, v17, v51 src0_sel:BYTE_0 src1_sel:DWORD
	s_and_saveexec_b64 s[28:29], vcc
	s_cbranch_execz .LBB6_18805
; %bb.18800:                            ;   in Loop: Header=BB6_16537 Depth=3
	v_cmp_ne_u16_sdwa vcc, v17, s96 src0_sel:BYTE_0 src1_sel:DWORD
	v_bfrev_b32_e32 v0, 1
	s_and_saveexec_b64 s[30:31], vcc
	s_cbranch_execz .LBB6_18804
; %bb.18801:                            ;   in Loop: Header=BB6_16537 Depth=3
	v_bfe_u32 v5, v19, 16, 7
	v_cmp_ne_u32_e32 vcc, s86, v5
	v_mov_b32_e32 v0, 0x7f800001
	s_and_saveexec_b64 s[34:35], vcc
	s_cbranch_execz .LBB6_18803
; %bb.18802:                            ;   in Loop: Header=BB6_16537 Depth=3
	v_and_b32_e32 v0, 7, v17
	v_lshrrev_b32_e32 v22, 3, v5
	v_cmp_gt_u32_e32 vcc, 8, v5
	v_ffbh_u32_e32 v5, v0
	v_min_u32_e32 v5, 32, v5
	v_subrev_u32_e32 v20, 28, v5
	v_lshlrev_b64 v[20:21], v20, v[17:18]
	v_sub_u32_e32 v5, 29, v5
	v_and_b32_e32 v17, 7, v20
	v_cndmask_b32_e32 v5, v22, v5, vcc
	v_cndmask_b32_e32 v0, v0, v17, vcc
	v_lshlrev_b32_e32 v17, 8, v19
	v_bfrev_b32_e32 v20, 60
	v_lshlrev_b32_e32 v0, 20, v0
	v_and_b32_e32 v17, 0x80000000, v17
	v_lshl_add_u32 v5, v5, 23, v20
	v_or3_b32 v0, v17, v5, v0
.LBB6_18803:                            ;   in Loop: Header=BB6_16537 Depth=3
	s_or_b64 exec, exec, s[34:35]
.LBB6_18804:                            ;   in Loop: Header=BB6_16537 Depth=3
	s_or_b64 exec, exec, s[30:31]
.LBB6_18805:                            ;   in Loop: Header=BB6_16537 Depth=3
	s_or_b64 exec, exec, s[28:29]
	v_add_f32_e32 v3, v3, v0
	v_and_b32_e32 v20, 0x7f800000, v3
	v_mov_b32_e32 v21, v51
	v_cmp_ne_u64_e32 vcc, s[76:77], v[20:21]
                                        ; implicit-def: $vgpr20
	s_and_saveexec_b64 s[28:29], vcc
	s_xor_b64 s[30:31], exec, s[28:29]
	s_cbranch_execz .LBB6_18819
; %bb.18806:                            ;   in Loop: Header=BB6_16537 Depth=3
	v_and_b32_e32 v20, 0x7fffffff, v3
	v_mov_b32_e32 v21, v51
	v_cmp_gt_u64_e32 vcc, s[78:79], v[20:21]
	v_and_b32_sdwa v0, v3, s96 dst_sel:DWORD dst_unused:UNUSED_PAD src0_sel:BYTE_3 src1_sel:DWORD
                                        ; implicit-def: $vgpr20
	s_and_saveexec_b64 s[28:29], vcc
	s_xor_b64 s[34:35], exec, s[28:29]
	s_cbranch_execz .LBB6_18816
; %bb.18807:                            ;   in Loop: Header=BB6_16537 Depth=3
	v_mov_b32_e32 v20, 0
	v_cmp_ne_u32_e32 vcc, 0, v3
	s_and_saveexec_b64 s[36:37], vcc
	s_cbranch_execz .LBB6_18815
; %bb.18808:                            ;   in Loop: Header=BB6_16537 Depth=3
	v_and_b32_e32 v17, 0x7fffff, v3
	v_bfe_u32 v3, v3, 23, 8
	v_cmp_gt_u32_e64 s[28:29], s97, v3
	v_sub_u32_e32 v5, 0x79, v3
	v_cmp_eq_u32_e32 vcc, 0, v3
	v_cndmask_b32_e64 v5, 0, v5, s[28:29]
	v_mov_b32_e32 v21, 0x78
	v_or_b32_e32 v20, 0x800000, v17
	v_cndmask_b32_e32 v5, v5, v21, vcc
	v_cndmask_b32_e32 v20, v20, v17, vcc
	v_add_u32_e32 v17, 20, v5
	v_lshlrev_b64 v[24:25], v17, -1
	v_mov_b32_e32 v21, v51
	v_add_u32_e32 v17, 19, v5
	v_bfi_b32 v24, v24, 0, v20
	v_lshlrev_b64 v[52:53], v17, 1
	v_lshrrev_b64 v[20:21], v5, v[20:21]
	v_bfi_b32 v25, v25, 0, 0
	v_cmp_eq_u64_e64 s[28:29], v[24:25], v[52:53]
	v_mov_b32_e32 v22, v21
	v_mov_b32_e32 v21, v20
	s_and_saveexec_b64 s[38:39], s[28:29]
; %bb.18809:                            ;   in Loop: Header=BB6_16537 Depth=3
	v_bfe_u32 v17, v20, 20, 1
	v_add_co_u32_e64 v17, s[28:29], v20, v17
	v_add_co_u32_e64 v21, s[28:29], -1, v17
; %bb.18810:                            ;   in Loop: Header=BB6_16537 Depth=3
	s_or_b64 exec, exec, s[38:39]
	v_add_u32_e32 v3, 0xffffff81, v3
	v_mov_b32_e32 v17, 0xffffff82
	v_cndmask_b32_e32 v3, v3, v17, vcc
	v_lshrrev_b32_e32 v17, 23, v20
	v_add3_u32 v17, v5, v3, v17
	v_add_u32_e32 v5, 6, v17
	v_and_b32_e32 v3, 0xfffff, v21
	v_add_u32_e32 v20, v3, v20
	v_mov_b32_e32 v21, v51
	v_cmp_ne_u32_e32 vcc, 0, v5
                                        ; implicit-def: $vgpr3
	s_and_saveexec_b64 s[28:29], vcc
	s_xor_b64 s[28:29], exec, s[28:29]
; %bb.18811:                            ;   in Loop: Header=BB6_16537 Depth=3
	v_cmp_lt_u64_e32 vcc, s[88:89], v[20:21]
	v_add_u32_e32 v3, 7, v17
	v_cndmask_b32_e32 v3, v5, v3, vcc
	v_cndmask_b32_e64 v5, 0, 1, vcc
	v_lshrrev_b64 v[20:21], v5, v[20:21]
; %bb.18812:                            ;   in Loop: Header=BB6_16537 Depth=3
	s_andn2_saveexec_b64 s[28:29], s[28:29]
; %bb.18813:                            ;   in Loop: Header=BB6_16537 Depth=3
	v_bfe_u32 v3, v20, 23, 1
; %bb.18814:                            ;   in Loop: Header=BB6_16537 Depth=3
	s_or_b64 exec, exec, s[28:29]
	v_lshrrev_b64 v[20:21], 20, v[20:21]
	v_cmp_gt_i32_e32 vcc, 16, v3
	v_cndmask_b32_e32 v21, 0, v21, vcc
	v_cndmask_b32_e32 v20, 7, v20, vcc
	v_cmp_eq_u32_e32 vcc, 0, v3
	v_min_i32_e32 v3, 15, v3
	v_cmp_eq_u64_e64 s[28:29], 0, v[20:21]
	v_lshlrev_b32_e32 v3, 3, v3
	v_and_b32_e32 v3, 0xf8, v3
	v_and_or_b32 v3, v20, 7, v3
	s_and_b64 s[28:29], vcc, s[28:29]
	v_cndmask_b32_e64 v3, v3, 0, s[28:29]
	v_or_b32_e32 v20, v3, v0
.LBB6_18815:                            ;   in Loop: Header=BB6_16537 Depth=3
	s_or_b64 exec, exec, s[36:37]
                                        ; implicit-def: $vgpr0
.LBB6_18816:                            ;   in Loop: Header=BB6_16537 Depth=3
	s_andn2_saveexec_b64 s[28:29], s[34:35]
; %bb.18817:                            ;   in Loop: Header=BB6_16537 Depth=3
	v_or_b32_e32 v20, 0x7e, v0
; %bb.18818:                            ;   in Loop: Header=BB6_16537 Depth=3
	s_or_b64 exec, exec, s[28:29]
                                        ; implicit-def: $vgpr3
.LBB6_18819:                            ;   in Loop: Header=BB6_16537 Depth=3
	s_andn2_saveexec_b64 s[28:29], s[30:31]
; %bb.18820:                            ;   in Loop: Header=BB6_16537 Depth=3
	v_or_b32_sdwa v20, v3, s86 dst_sel:DWORD dst_unused:UNUSED_PAD src0_sel:BYTE_3 src1_sel:DWORD
; %bb.18821:                            ;   in Loop: Header=BB6_16537 Depth=3
	s_or_b64 exec, exec, s[28:29]
	v_cmp_lt_u32_e32 vcc, s57, v16
	v_mov_b32_e32 v0, 0
	v_mov_b32_e32 v3, 0
	s_and_saveexec_b64 s[28:29], vcc
	s_cbranch_execz .LBB6_18827
; %bb.18822:                            ;   in Loop: Header=BB6_16537 Depth=3
	v_lshrrev_b32_e32 v17, 24, v16
	v_cmp_ne_u32_sdwa vcc, v16, s96 src0_sel:BYTE_3 src1_sel:DWORD
	v_bfrev_b32_e32 v3, 1
	s_and_saveexec_b64 s[30:31], vcc
	s_cbranch_execz .LBB6_18826
; %bb.18823:                            ;   in Loop: Header=BB6_16537 Depth=3
	v_bfe_u32 v5, v16, 24, 7
	v_cmp_ne_u32_e32 vcc, s86, v5
	v_mov_b32_e32 v3, 0x7f800001
	s_and_saveexec_b64 s[34:35], vcc
	s_cbranch_execz .LBB6_18825
; %bb.18824:                            ;   in Loop: Header=BB6_16537 Depth=3
	v_and_b32_e32 v3, 7, v17
	v_lshrrev_b32_e32 v24, 3, v5
	v_cmp_gt_u32_e32 vcc, 8, v5
	v_ffbh_u32_e32 v5, v3
	v_min_u32_e32 v5, 32, v5
	v_subrev_u32_e32 v21, 28, v5
	v_lshlrev_b64 v[21:22], v21, v[17:18]
	v_sub_u32_e32 v5, 29, v5
	v_and_b32_e32 v17, 7, v21
	v_cndmask_b32_e32 v3, v3, v17, vcc
	v_mov_b32_e32 v17, 24
	v_cndmask_b32_e32 v5, v24, v5, vcc
	v_lshlrev_b32_sdwa v16, v17, v16 dst_sel:DWORD dst_unused:UNUSED_PAD src0_sel:DWORD src1_sel:BYTE_3
	v_bfrev_b32_e32 v17, 60
	v_lshlrev_b32_e32 v3, 20, v3
	v_and_b32_e32 v16, 0x80000000, v16
	v_lshl_add_u32 v5, v5, 23, v17
	v_or3_b32 v3, v16, v5, v3
.LBB6_18825:                            ;   in Loop: Header=BB6_16537 Depth=3
	s_or_b64 exec, exec, s[34:35]
.LBB6_18826:                            ;   in Loop: Header=BB6_16537 Depth=3
	s_or_b64 exec, exec, s[30:31]
.LBB6_18827:                            ;   in Loop: Header=BB6_16537 Depth=3
	s_or_b64 exec, exec, s[28:29]
	v_cmp_lt_u64_e32 vcc, s[56:57], v[18:19]
	s_and_saveexec_b64 s[28:29], vcc
	s_cbranch_execz .LBB6_18833
; %bb.18828:                            ;   in Loop: Header=BB6_16537 Depth=3
	v_lshrrev_b32_e32 v16, 24, v19
	v_cmp_ne_u32_e32 vcc, s96, v16
	v_bfrev_b32_e32 v0, 1
	s_and_saveexec_b64 s[30:31], vcc
	s_cbranch_execz .LBB6_18832
; %bb.18829:                            ;   in Loop: Header=BB6_16537 Depth=3
	v_bfe_u32 v5, v19, 24, 7
	v_cmp_ne_u32_e32 vcc, s86, v5
	v_mov_b32_e32 v0, 0x7f800001
	s_and_saveexec_b64 s[34:35], vcc
	s_cbranch_execz .LBB6_18831
; %bb.18830:                            ;   in Loop: Header=BB6_16537 Depth=3
	v_and_b32_e32 v0, 7, v16
	v_lshrrev_b32_e32 v19, 3, v5
	v_cmp_gt_u32_e32 vcc, 8, v5
	v_ffbh_u32_e32 v5, v0
	v_min_u32_e32 v5, 32, v5
	v_subrev_u32_e32 v17, 28, v5
	v_lshlrev_b64 v[17:18], v17, v[16:17]
	v_sub_u32_e32 v5, 29, v5
	v_and_b32_e32 v17, 7, v17
	v_cndmask_b32_e32 v5, v19, v5, vcc
	v_cndmask_b32_e32 v0, v0, v17, vcc
	v_lshlrev_b32_e32 v16, 24, v16
	v_bfrev_b32_e32 v17, 60
	v_lshlrev_b32_e32 v0, 20, v0
	v_and_b32_e32 v16, 0x80000000, v16
	v_lshl_add_u32 v5, v5, 23, v17
	v_or3_b32 v0, v16, v5, v0
.LBB6_18831:                            ;   in Loop: Header=BB6_16537 Depth=3
	s_or_b64 exec, exec, s[34:35]
.LBB6_18832:                            ;   in Loop: Header=BB6_16537 Depth=3
	s_or_b64 exec, exec, s[30:31]
.LBB6_18833:                            ;   in Loop: Header=BB6_16537 Depth=3
	s_or_b64 exec, exec, s[28:29]
	v_add_f32_e32 v3, v3, v0
	v_and_b32_e32 v16, 0x7f800000, v3
	v_mov_b32_e32 v17, v51
	v_cmp_ne_u64_e32 vcc, s[76:77], v[16:17]
                                        ; implicit-def: $vgpr21
	s_and_saveexec_b64 s[28:29], vcc
	s_xor_b64 s[30:31], exec, s[28:29]
	s_cbranch_execz .LBB6_18847
; %bb.18834:                            ;   in Loop: Header=BB6_16537 Depth=3
	v_and_b32_e32 v16, 0x7fffffff, v3
	v_mov_b32_e32 v17, v51
	v_cmp_gt_u64_e32 vcc, s[78:79], v[16:17]
	v_and_b32_sdwa v0, v3, s96 dst_sel:DWORD dst_unused:UNUSED_PAD src0_sel:BYTE_3 src1_sel:DWORD
                                        ; implicit-def: $vgpr21
	s_and_saveexec_b64 s[28:29], vcc
	s_xor_b64 s[34:35], exec, s[28:29]
	s_cbranch_execz .LBB6_18844
; %bb.18835:                            ;   in Loop: Header=BB6_16537 Depth=3
	v_mov_b32_e32 v21, 0
	v_cmp_ne_u32_e32 vcc, 0, v3
	s_and_saveexec_b64 s[36:37], vcc
	s_cbranch_execz .LBB6_18843
; %bb.18836:                            ;   in Loop: Header=BB6_16537 Depth=3
	v_and_b32_e32 v16, 0x7fffff, v3
	v_bfe_u32 v3, v3, 23, 8
	v_cmp_gt_u32_e64 s[28:29], s97, v3
	v_sub_u32_e32 v5, 0x79, v3
	v_cmp_eq_u32_e32 vcc, 0, v3
	v_cndmask_b32_e64 v5, 0, v5, s[28:29]
	v_mov_b32_e32 v18, 0x78
	v_cndmask_b32_e32 v5, v5, v18, vcc
	v_add_u32_e32 v18, 20, v5
	v_or_b32_e32 v17, 0x800000, v16
	v_lshlrev_b64 v[18:19], v18, -1
	v_cndmask_b32_e32 v16, v17, v16, vcc
	v_mov_b32_e32 v17, v51
	v_add_u32_e32 v21, 19, v5
	v_bfi_b32 v18, v18, 0, v16
	v_lshlrev_b64 v[21:22], v21, 1
	v_lshrrev_b64 v[16:17], v5, v[16:17]
	v_bfi_b32 v19, v19, 0, 0
	v_cmp_eq_u64_e64 s[28:29], v[18:19], v[21:22]
	v_mov_b32_e32 v18, v17
	v_mov_b32_e32 v17, v16
	s_and_saveexec_b64 s[38:39], s[28:29]
; %bb.18837:                            ;   in Loop: Header=BB6_16537 Depth=3
	v_bfe_u32 v17, v16, 20, 1
	v_add_co_u32_e64 v17, s[28:29], v16, v17
	v_add_co_u32_e64 v17, s[28:29], -1, v17
; %bb.18838:                            ;   in Loop: Header=BB6_16537 Depth=3
	s_or_b64 exec, exec, s[38:39]
	v_add_u32_e32 v3, 0xffffff81, v3
	v_mov_b32_e32 v18, 0xffffff82
	v_cndmask_b32_e32 v3, v3, v18, vcc
	v_lshrrev_b32_e32 v18, 23, v16
	v_add3_u32 v18, v5, v3, v18
	v_add_u32_e32 v5, 6, v18
	v_and_b32_e32 v3, 0xfffff, v17
	v_add_u32_e32 v16, v3, v16
	v_mov_b32_e32 v17, v51
	v_cmp_ne_u32_e32 vcc, 0, v5
                                        ; implicit-def: $vgpr3
	s_and_saveexec_b64 s[28:29], vcc
	s_xor_b64 s[28:29], exec, s[28:29]
; %bb.18839:                            ;   in Loop: Header=BB6_16537 Depth=3
	v_cmp_lt_u64_e32 vcc, s[88:89], v[16:17]
	v_add_u32_e32 v3, 7, v18
	v_cndmask_b32_e32 v3, v5, v3, vcc
	v_cndmask_b32_e64 v5, 0, 1, vcc
	v_lshrrev_b64 v[16:17], v5, v[16:17]
; %bb.18840:                            ;   in Loop: Header=BB6_16537 Depth=3
	s_andn2_saveexec_b64 s[28:29], s[28:29]
; %bb.18841:                            ;   in Loop: Header=BB6_16537 Depth=3
	v_bfe_u32 v3, v16, 23, 1
; %bb.18842:                            ;   in Loop: Header=BB6_16537 Depth=3
	s_or_b64 exec, exec, s[28:29]
	v_lshrrev_b64 v[16:17], 20, v[16:17]
	v_cmp_gt_i32_e32 vcc, 16, v3
	v_cndmask_b32_e32 v17, 0, v17, vcc
	v_cndmask_b32_e32 v16, 7, v16, vcc
	v_cmp_eq_u32_e32 vcc, 0, v3
	v_min_i32_e32 v3, 15, v3
	v_cmp_eq_u64_e64 s[28:29], 0, v[16:17]
	v_lshlrev_b32_e32 v3, 3, v3
	v_and_b32_e32 v3, 0xf8, v3
	v_and_or_b32 v3, v16, 7, v3
	s_and_b64 s[28:29], vcc, s[28:29]
	v_cndmask_b32_e64 v3, v3, 0, s[28:29]
	v_or_b32_e32 v21, v3, v0
.LBB6_18843:                            ;   in Loop: Header=BB6_16537 Depth=3
	s_or_b64 exec, exec, s[36:37]
                                        ; implicit-def: $vgpr0
.LBB6_18844:                            ;   in Loop: Header=BB6_16537 Depth=3
	s_andn2_saveexec_b64 s[28:29], s[34:35]
; %bb.18845:                            ;   in Loop: Header=BB6_16537 Depth=3
	v_or_b32_e32 v21, 0x7e, v0
; %bb.18846:                            ;   in Loop: Header=BB6_16537 Depth=3
	s_or_b64 exec, exec, s[28:29]
                                        ; implicit-def: $vgpr3
.LBB6_18847:                            ;   in Loop: Header=BB6_16537 Depth=3
	s_andn2_saveexec_b64 s[28:29], s[30:31]
; %bb.18848:                            ;   in Loop: Header=BB6_16537 Depth=3
	v_or_b32_sdwa v21, v3, s86 dst_sel:DWORD dst_unused:UNUSED_PAD src0_sel:BYTE_3 src1_sel:DWORD
; %bb.18849:                            ;   in Loop: Header=BB6_16537 Depth=3
	s_or_b64 exec, exec, s[28:29]
	buffer_load_dword v1, off, s[0:3], s33 offset:208 ; 4-byte Folded Reload
	v_lshl_or_b32 v0, v44, 8, v36
	v_mov_b32_e32 v17, v51
	v_cmp_ne_u32_e32 vcc, 0, v36
	s_waitcnt vmcnt(0)
	v_lshlrev_b32_e32 v3, 16, v1
	buffer_load_dword v1, off, s[0:3], s33 offset:228 ; 4-byte Folded Reload
	s_waitcnt vmcnt(0)
	v_lshlrev_b32_e32 v5, 24, v1
	v_or3_b32 v16, v3, v5, v0
	v_mov_b32_e32 v3, 0
	v_mov_b32_e32 v5, 0
	s_and_saveexec_b64 s[28:29], vcc
	s_cbranch_execz .LBB6_18855
; %bb.18850:                            ;   in Loop: Header=BB6_16537 Depth=3
	v_cmp_ne_u32_e32 vcc, s96, v36
	v_bfrev_b32_e32 v5, 1
	s_and_saveexec_b64 s[30:31], vcc
	s_cbranch_execz .LBB6_18854
; %bb.18851:                            ;   in Loop: Header=BB6_16537 Depth=3
	v_and_b32_e32 v18, 0x7f, v36
	v_cmp_ne_u32_e32 vcc, s86, v18
	v_mov_b32_e32 v5, 0x7f800001
	s_and_saveexec_b64 s[34:35], vcc
	s_cbranch_execz .LBB6_18853
; %bb.18852:                            ;   in Loop: Header=BB6_16537 Depth=3
	v_and_b32_e32 v5, 7, v36
	v_ffbh_u32_e32 v5, v5
	v_min_u32_e32 v5, 32, v5
	v_lshrrev_b32_e32 v19, 3, v18
	v_cmp_gt_u32_e32 vcc, 8, v18
	v_subrev_u32_e32 v18, 28, v5
	v_cndmask_b32_e32 v18, 0, v18, vcc
	v_lshlrev_b64 v[17:18], v18, v[16:17]
	v_sub_u32_e32 v5, 29, v5
	v_cndmask_b32_e32 v5, v19, v5, vcc
	v_lshlrev_b32_e32 v17, 20, v17
	v_lshlrev_b32_e32 v18, 24, v16
	v_bfrev_b32_e32 v19, 60
	v_and_b32_e32 v17, 0x700000, v17
	v_and_b32_e32 v18, 0x80000000, v18
	v_lshl_add_u32 v5, v5, 23, v19
	v_or3_b32 v5, v18, v5, v17
.LBB6_18853:                            ;   in Loop: Header=BB6_16537 Depth=3
	s_or_b64 exec, exec, s[34:35]
.LBB6_18854:                            ;   in Loop: Header=BB6_16537 Depth=3
	s_or_b64 exec, exec, s[30:31]
.LBB6_18855:                            ;   in Loop: Header=BB6_16537 Depth=3
	s_or_b64 exec, exec, s[28:29]
	v_cmp_ne_u16_sdwa vcc, v12, v51 src0_sel:BYTE_0 src1_sel:DWORD
	s_and_saveexec_b64 s[28:29], vcc
	s_cbranch_execz .LBB6_18861
; %bb.18856:                            ;   in Loop: Header=BB6_16537 Depth=3
	v_cmp_ne_u16_sdwa vcc, v12, s96 src0_sel:BYTE_0 src1_sel:DWORD
	v_bfrev_b32_e32 v3, 1
	s_and_saveexec_b64 s[30:31], vcc
	s_cbranch_execz .LBB6_18860
; %bb.18857:                            ;   in Loop: Header=BB6_16537 Depth=3
	v_and_b32_e32 v17, 0x7f, v12
	v_cmp_ne_u32_e32 vcc, s86, v17
	v_mov_b32_e32 v3, 0x7f800001
	s_and_saveexec_b64 s[34:35], vcc
	s_cbranch_execz .LBB6_18859
; %bb.18858:                            ;   in Loop: Header=BB6_16537 Depth=3
	v_and_b32_e32 v3, 7, v12
	v_ffbh_u32_e32 v3, v3
	v_min_u32_e32 v3, 32, v3
	v_lshrrev_b32_e32 v18, 3, v17
	v_cmp_gt_u32_e32 vcc, 8, v17
	v_subrev_u32_e32 v17, 28, v3
	v_sub_u32_e32 v3, 29, v3
	v_cndmask_b32_e32 v17, 0, v17, vcc
	v_cndmask_b32_e32 v3, v18, v3, vcc
	v_lshlrev_b64 v[17:18], v17, v[12:13]
	v_lshlrev_b32_e32 v18, 24, v12
	v_lshlrev_b32_e32 v17, 20, v17
	v_bfrev_b32_e32 v19, 60
	v_and_b32_e32 v17, 0x700000, v17
	v_and_b32_e32 v18, 0x80000000, v18
	v_lshl_add_u32 v3, v3, 23, v19
	v_or3_b32 v3, v18, v3, v17
.LBB6_18859:                            ;   in Loop: Header=BB6_16537 Depth=3
	s_or_b64 exec, exec, s[34:35]
.LBB6_18860:                            ;   in Loop: Header=BB6_16537 Depth=3
	s_or_b64 exec, exec, s[30:31]
.LBB6_18861:                            ;   in Loop: Header=BB6_16537 Depth=3
	s_or_b64 exec, exec, s[28:29]
	v_add_f32_e32 v5, v5, v3
	v_and_b32_e32 v17, 0x7f800000, v5
	v_mov_b32_e32 v18, v51
	v_cmp_ne_u64_e32 vcc, s[76:77], v[17:18]
                                        ; implicit-def: $vgpr22
	s_and_saveexec_b64 s[28:29], vcc
	s_xor_b64 s[30:31], exec, s[28:29]
	s_cbranch_execz .LBB6_18875
; %bb.18862:                            ;   in Loop: Header=BB6_16537 Depth=3
	v_and_b32_e32 v17, 0x7fffffff, v5
	v_mov_b32_e32 v18, v51
	v_cmp_gt_u64_e32 vcc, s[78:79], v[17:18]
	v_and_b32_sdwa v3, v5, s96 dst_sel:DWORD dst_unused:UNUSED_PAD src0_sel:BYTE_3 src1_sel:DWORD
                                        ; implicit-def: $vgpr22
	s_and_saveexec_b64 s[28:29], vcc
	s_xor_b64 s[34:35], exec, s[28:29]
	s_cbranch_execz .LBB6_18872
; %bb.18863:                            ;   in Loop: Header=BB6_16537 Depth=3
	v_mov_b32_e32 v22, 0
	v_cmp_ne_u32_e32 vcc, 0, v5
	s_and_saveexec_b64 s[36:37], vcc
	s_cbranch_execz .LBB6_18871
; %bb.18864:                            ;   in Loop: Header=BB6_16537 Depth=3
	v_and_b32_e32 v17, 0x7fffff, v5
	v_bfe_u32 v5, v5, 23, 8
	v_cmp_gt_u32_e64 s[28:29], s97, v5
	v_sub_u32_e32 v18, 0x79, v5
	v_cmp_eq_u32_e32 vcc, 0, v5
	v_cndmask_b32_e64 v18, 0, v18, s[28:29]
	v_mov_b32_e32 v22, 0x78
	v_or_b32_e32 v19, 0x800000, v17
	v_cndmask_b32_e32 v22, v18, v22, vcc
	v_cndmask_b32_e32 v17, v19, v17, vcc
	v_add_u32_e32 v19, 20, v22
	v_lshlrev_b64 v[24:25], v19, -1
	v_mov_b32_e32 v18, v51
	v_add_u32_e32 v19, 19, v22
	v_bfi_b32 v24, v24, 0, v17
	v_lshlrev_b64 v[35:36], v19, 1
	v_lshrrev_b64 v[17:18], v22, v[17:18]
	v_bfi_b32 v25, v25, 0, 0
	v_cmp_eq_u64_e64 s[28:29], v[24:25], v[35:36]
	v_mov_b32_e32 v19, v18
	v_mov_b32_e32 v18, v17
	s_and_saveexec_b64 s[38:39], s[28:29]
; %bb.18865:                            ;   in Loop: Header=BB6_16537 Depth=3
	v_bfe_u32 v18, v17, 20, 1
	v_add_co_u32_e64 v18, s[28:29], v17, v18
	v_add_co_u32_e64 v18, s[28:29], -1, v18
; %bb.18866:                            ;   in Loop: Header=BB6_16537 Depth=3
	s_or_b64 exec, exec, s[38:39]
	v_add_u32_e32 v5, 0xffffff81, v5
	v_mov_b32_e32 v19, 0xffffff82
	v_cndmask_b32_e32 v5, v5, v19, vcc
	v_lshrrev_b32_e32 v19, 23, v17
	v_add3_u32 v22, v22, v5, v19
	v_add_u32_e32 v19, 6, v22
	v_and_b32_e32 v5, 0xfffff, v18
	v_add_u32_e32 v17, v5, v17
	v_mov_b32_e32 v18, v51
	v_cmp_ne_u32_e32 vcc, 0, v19
                                        ; implicit-def: $vgpr5
	s_and_saveexec_b64 s[28:29], vcc
	s_xor_b64 s[28:29], exec, s[28:29]
; %bb.18867:                            ;   in Loop: Header=BB6_16537 Depth=3
	v_cmp_lt_u64_e32 vcc, s[88:89], v[17:18]
	v_add_u32_e32 v5, 7, v22
	v_cndmask_b32_e32 v5, v19, v5, vcc
	v_cndmask_b32_e64 v19, 0, 1, vcc
	v_lshrrev_b64 v[17:18], v19, v[17:18]
; %bb.18868:                            ;   in Loop: Header=BB6_16537 Depth=3
	s_andn2_saveexec_b64 s[28:29], s[28:29]
; %bb.18869:                            ;   in Loop: Header=BB6_16537 Depth=3
	v_bfe_u32 v5, v17, 23, 1
; %bb.18870:                            ;   in Loop: Header=BB6_16537 Depth=3
	s_or_b64 exec, exec, s[28:29]
	v_lshrrev_b64 v[17:18], 20, v[17:18]
	v_cmp_gt_i32_e32 vcc, 16, v5
	v_cndmask_b32_e32 v18, 0, v18, vcc
	v_cndmask_b32_e32 v17, 7, v17, vcc
	v_cmp_eq_u32_e32 vcc, 0, v5
	v_min_i32_e32 v5, 15, v5
	v_cmp_eq_u64_e64 s[28:29], 0, v[17:18]
	v_lshlrev_b32_e32 v5, 3, v5
	v_and_b32_e32 v5, 0xf8, v5
	v_and_or_b32 v5, v17, 7, v5
	s_and_b64 s[28:29], vcc, s[28:29]
	v_cndmask_b32_e64 v5, v5, 0, s[28:29]
	v_or_b32_e32 v22, v5, v3
.LBB6_18871:                            ;   in Loop: Header=BB6_16537 Depth=3
	s_or_b64 exec, exec, s[36:37]
                                        ; implicit-def: $vgpr3
.LBB6_18872:                            ;   in Loop: Header=BB6_16537 Depth=3
	s_andn2_saveexec_b64 s[28:29], s[34:35]
; %bb.18873:                            ;   in Loop: Header=BB6_16537 Depth=3
	v_or_b32_e32 v22, 0x7e, v3
; %bb.18874:                            ;   in Loop: Header=BB6_16537 Depth=3
	s_or_b64 exec, exec, s[28:29]
                                        ; implicit-def: $vgpr5
.LBB6_18875:                            ;   in Loop: Header=BB6_16537 Depth=3
	s_andn2_saveexec_b64 s[28:29], s[30:31]
; %bb.18876:                            ;   in Loop: Header=BB6_16537 Depth=3
	v_or_b32_sdwa v22, v5, s86 dst_sel:DWORD dst_unused:UNUSED_PAD src0_sel:BYTE_3 src1_sel:DWORD
; %bb.18877:                            ;   in Loop: Header=BB6_16537 Depth=3
	s_or_b64 exec, exec, s[28:29]
	v_lshrrev_b16_e32 v17, 8, v0
	v_cmp_ne_u16_e32 vcc, 0, v17
	v_mov_b32_e32 v3, 0
	v_mov_b32_e32 v5, 0
	s_and_saveexec_b64 s[28:29], vcc
	s_cbranch_execz .LBB6_18883
; %bb.18878:                            ;   in Loop: Header=BB6_16537 Depth=3
	v_cmp_ne_u16_e32 vcc, s96, v17
	v_bfrev_b32_e32 v5, 1
	s_and_saveexec_b64 s[30:31], vcc
	s_cbranch_execz .LBB6_18882
; %bb.18879:                            ;   in Loop: Header=BB6_16537 Depth=3
	v_and_b32_e32 v18, 0x7f, v17
	v_cmp_ne_u32_e32 vcc, s86, v18
	v_mov_b32_e32 v5, 0x7f800001
	s_and_saveexec_b64 s[34:35], vcc
	s_cbranch_execz .LBB6_18881
; %bb.18880:                            ;   in Loop: Header=BB6_16537 Depth=3
	v_and_b32_e32 v5, 7, v17
	v_lshrrev_b32_e32 v19, 3, v18
	v_cmp_gt_u32_e32 vcc, 8, v18
	v_ffbh_u32_e32 v18, v5
	v_min_u32_e32 v24, 32, v18
	v_subrev_u32_e32 v18, 28, v24
	v_lshlrev_b64 v[17:18], v18, v[17:18]
	v_sub_u32_e32 v18, 29, v24
	v_and_b32_e32 v17, 7, v17
	v_cndmask_b32_e32 v18, v19, v18, vcc
	v_cndmask_b32_e32 v5, v5, v17, vcc
	v_lshlrev_b32_e32 v0, 16, v0
	v_bfrev_b32_e32 v17, 60
	v_lshlrev_b32_e32 v5, 20, v5
	v_and_b32_e32 v0, 0x80000000, v0
	v_lshl_add_u32 v17, v18, 23, v17
	v_or3_b32 v5, v0, v17, v5
.LBB6_18881:                            ;   in Loop: Header=BB6_16537 Depth=3
	s_or_b64 exec, exec, s[34:35]
.LBB6_18882:                            ;   in Loop: Header=BB6_16537 Depth=3
	s_or_b64 exec, exec, s[30:31]
.LBB6_18883:                            ;   in Loop: Header=BB6_16537 Depth=3
	s_or_b64 exec, exec, s[28:29]
	v_lshrrev_b16_e32 v17, 8, v12
	v_cmp_ne_u16_e32 vcc, 0, v17
	s_and_saveexec_b64 s[28:29], vcc
	s_cbranch_execz .LBB6_18889
; %bb.18884:                            ;   in Loop: Header=BB6_16537 Depth=3
	v_cmp_ne_u16_e32 vcc, s96, v17
	v_bfrev_b32_e32 v3, 1
	s_and_saveexec_b64 s[30:31], vcc
	s_cbranch_execz .LBB6_18888
; %bb.18885:                            ;   in Loop: Header=BB6_16537 Depth=3
	v_and_b32_e32 v0, 0x7f, v17
	v_cmp_ne_u32_e32 vcc, s86, v0
	v_mov_b32_e32 v3, 0x7f800001
	s_and_saveexec_b64 s[34:35], vcc
	s_cbranch_execz .LBB6_18887
; %bb.18886:                            ;   in Loop: Header=BB6_16537 Depth=3
	v_and_b32_e32 v3, 7, v17
	v_lshrrev_b32_e32 v19, 3, v0
	v_cmp_gt_u32_e32 vcc, 8, v0
	v_ffbh_u32_e32 v0, v3
	v_min_u32_e32 v0, 32, v0
	v_subrev_u32_e32 v18, 28, v0
	v_lshlrev_b64 v[17:18], v18, v[17:18]
	v_sub_u32_e32 v0, 29, v0
	v_and_b32_e32 v17, 7, v17
	v_cndmask_b32_e32 v0, v19, v0, vcc
	v_cndmask_b32_e32 v3, v3, v17, vcc
	v_lshlrev_b32_e32 v17, 16, v12
	v_bfrev_b32_e32 v18, 60
	v_lshlrev_b32_e32 v3, 20, v3
	v_and_b32_e32 v17, 0x80000000, v17
	v_lshl_add_u32 v0, v0, 23, v18
	v_or3_b32 v3, v17, v0, v3
.LBB6_18887:                            ;   in Loop: Header=BB6_16537 Depth=3
	s_or_b64 exec, exec, s[34:35]
.LBB6_18888:                            ;   in Loop: Header=BB6_16537 Depth=3
	s_or_b64 exec, exec, s[30:31]
.LBB6_18889:                            ;   in Loop: Header=BB6_16537 Depth=3
	s_or_b64 exec, exec, s[28:29]
	v_add_f32_e32 v3, v5, v3
	v_and_b32_e32 v17, 0x7f800000, v3
	v_mov_b32_e32 v18, v51
	v_cmp_ne_u64_e32 vcc, s[76:77], v[17:18]
                                        ; implicit-def: $vgpr36
	s_and_saveexec_b64 s[28:29], vcc
	s_xor_b64 s[30:31], exec, s[28:29]
	s_cbranch_execz .LBB6_18903
; %bb.18890:                            ;   in Loop: Header=BB6_16537 Depth=3
	v_and_b32_e32 v17, 0x7fffffff, v3
	v_mov_b32_e32 v18, v51
	v_cmp_gt_u64_e32 vcc, s[78:79], v[17:18]
	v_and_b32_sdwa v0, v3, s96 dst_sel:DWORD dst_unused:UNUSED_PAD src0_sel:BYTE_3 src1_sel:DWORD
                                        ; implicit-def: $vgpr36
	s_and_saveexec_b64 s[28:29], vcc
	s_xor_b64 s[34:35], exec, s[28:29]
	s_cbranch_execz .LBB6_18900
; %bb.18891:                            ;   in Loop: Header=BB6_16537 Depth=3
	v_mov_b32_e32 v36, 0
	v_cmp_ne_u32_e32 vcc, 0, v3
	s_and_saveexec_b64 s[36:37], vcc
	s_cbranch_execz .LBB6_18899
; %bb.18892:                            ;   in Loop: Header=BB6_16537 Depth=3
	v_and_b32_e32 v17, 0x7fffff, v3
	v_bfe_u32 v3, v3, 23, 8
	v_cmp_gt_u32_e64 s[28:29], s97, v3
	v_sub_u32_e32 v5, 0x79, v3
	v_cmp_eq_u32_e32 vcc, 0, v3
	v_cndmask_b32_e64 v5, 0, v5, s[28:29]
	v_mov_b32_e32 v19, 0x78
	v_cndmask_b32_e32 v5, v5, v19, vcc
	v_add_u32_e32 v19, 20, v5
	v_or_b32_e32 v18, 0x800000, v17
	v_lshlrev_b64 v[24:25], v19, -1
	v_cndmask_b32_e32 v17, v18, v17, vcc
	v_mov_b32_e32 v18, v51
	v_add_u32_e32 v19, 19, v5
	v_bfi_b32 v24, v24, 0, v17
	v_lshlrev_b64 v[35:36], v19, 1
	v_lshrrev_b64 v[17:18], v5, v[17:18]
	v_bfi_b32 v25, v25, 0, 0
	v_cmp_eq_u64_e64 s[28:29], v[24:25], v[35:36]
	v_mov_b32_e32 v19, v18
	v_mov_b32_e32 v18, v17
	s_and_saveexec_b64 s[38:39], s[28:29]
; %bb.18893:                            ;   in Loop: Header=BB6_16537 Depth=3
	v_bfe_u32 v18, v17, 20, 1
	v_add_co_u32_e64 v18, s[28:29], v17, v18
	v_add_co_u32_e64 v18, s[28:29], -1, v18
; %bb.18894:                            ;   in Loop: Header=BB6_16537 Depth=3
	s_or_b64 exec, exec, s[38:39]
	v_add_u32_e32 v3, 0xffffff81, v3
	v_mov_b32_e32 v19, 0xffffff82
	v_cndmask_b32_e32 v3, v3, v19, vcc
	v_lshrrev_b32_e32 v19, 23, v17
	v_add3_u32 v19, v5, v3, v19
	v_add_u32_e32 v5, 6, v19
	v_and_b32_e32 v3, 0xfffff, v18
	v_add_u32_e32 v17, v3, v17
	v_mov_b32_e32 v18, v51
	v_cmp_ne_u32_e32 vcc, 0, v5
                                        ; implicit-def: $vgpr3
	s_and_saveexec_b64 s[28:29], vcc
	s_xor_b64 s[28:29], exec, s[28:29]
; %bb.18895:                            ;   in Loop: Header=BB6_16537 Depth=3
	v_cmp_lt_u64_e32 vcc, s[88:89], v[17:18]
	v_add_u32_e32 v3, 7, v19
	v_cndmask_b32_e32 v3, v5, v3, vcc
	v_cndmask_b32_e64 v5, 0, 1, vcc
	v_lshrrev_b64 v[17:18], v5, v[17:18]
; %bb.18896:                            ;   in Loop: Header=BB6_16537 Depth=3
	s_andn2_saveexec_b64 s[28:29], s[28:29]
; %bb.18897:                            ;   in Loop: Header=BB6_16537 Depth=3
	v_bfe_u32 v3, v17, 23, 1
; %bb.18898:                            ;   in Loop: Header=BB6_16537 Depth=3
	s_or_b64 exec, exec, s[28:29]
	v_lshrrev_b64 v[17:18], 20, v[17:18]
	v_cmp_gt_i32_e32 vcc, 16, v3
	v_cndmask_b32_e32 v18, 0, v18, vcc
	v_cndmask_b32_e32 v17, 7, v17, vcc
	v_cmp_eq_u32_e32 vcc, 0, v3
	v_min_i32_e32 v3, 15, v3
	v_cmp_eq_u64_e64 s[28:29], 0, v[17:18]
	v_lshlrev_b32_e32 v3, 3, v3
	v_and_b32_e32 v3, 0xf8, v3
	v_and_or_b32 v3, v17, 7, v3
	s_and_b64 s[28:29], vcc, s[28:29]
	v_cndmask_b32_e64 v3, v3, 0, s[28:29]
	v_or_b32_e32 v36, v3, v0
.LBB6_18899:                            ;   in Loop: Header=BB6_16537 Depth=3
	s_or_b64 exec, exec, s[36:37]
                                        ; implicit-def: $vgpr0
.LBB6_18900:                            ;   in Loop: Header=BB6_16537 Depth=3
	s_andn2_saveexec_b64 s[28:29], s[34:35]
; %bb.18901:                            ;   in Loop: Header=BB6_16537 Depth=3
	v_or_b32_e32 v36, 0x7e, v0
; %bb.18902:                            ;   in Loop: Header=BB6_16537 Depth=3
	s_or_b64 exec, exec, s[28:29]
                                        ; implicit-def: $vgpr3
.LBB6_18903:                            ;   in Loop: Header=BB6_16537 Depth=3
	s_andn2_saveexec_b64 s[28:29], s[30:31]
; %bb.18904:                            ;   in Loop: Header=BB6_16537 Depth=3
	v_or_b32_sdwa v36, v3, s86 dst_sel:DWORD dst_unused:UNUSED_PAD src0_sel:BYTE_3 src1_sel:DWORD
; %bb.18905:                            ;   in Loop: Header=BB6_16537 Depth=3
	s_or_b64 exec, exec, s[28:29]
	v_lshrrev_b32_e32 v17, 16, v16
	v_cmp_ne_u16_sdwa vcc, v17, v51 src0_sel:BYTE_0 src1_sel:DWORD
	v_mov_b32_e32 v0, 0
	v_mov_b32_e32 v3, 0
	s_and_saveexec_b64 s[28:29], vcc
	s_cbranch_execz .LBB6_18911
; %bb.18906:                            ;   in Loop: Header=BB6_16537 Depth=3
	v_cmp_ne_u16_sdwa vcc, v17, s96 src0_sel:BYTE_0 src1_sel:DWORD
	v_bfrev_b32_e32 v3, 1
	s_and_saveexec_b64 s[30:31], vcc
	s_cbranch_execz .LBB6_18910
; %bb.18907:                            ;   in Loop: Header=BB6_16537 Depth=3
	v_bfe_u32 v5, v16, 16, 7
	v_cmp_ne_u32_e32 vcc, s86, v5
	v_mov_b32_e32 v3, 0x7f800001
	s_and_saveexec_b64 s[34:35], vcc
	s_cbranch_execz .LBB6_18909
; %bb.18908:                            ;   in Loop: Header=BB6_16537 Depth=3
	v_and_b32_e32 v3, 7, v17
	v_lshrrev_b32_e32 v24, 3, v5
	v_cmp_gt_u32_e32 vcc, 8, v5
	v_ffbh_u32_e32 v5, v3
	v_min_u32_e32 v5, 32, v5
	v_subrev_u32_e32 v18, 28, v5
	v_lshlrev_b64 v[18:19], v18, v[17:18]
	v_sub_u32_e32 v5, 29, v5
	v_and_b32_e32 v18, 7, v18
	v_cndmask_b32_e32 v5, v24, v5, vcc
	v_cndmask_b32_e32 v3, v3, v18, vcc
	v_lshlrev_b32_e32 v17, 24, v17
	v_bfrev_b32_e32 v18, 60
	v_lshlrev_b32_e32 v3, 20, v3
	v_and_b32_e32 v17, 0x80000000, v17
	v_lshl_add_u32 v5, v5, 23, v18
	v_or3_b32 v3, v17, v5, v3
.LBB6_18909:                            ;   in Loop: Header=BB6_16537 Depth=3
	s_or_b64 exec, exec, s[34:35]
.LBB6_18910:                            ;   in Loop: Header=BB6_16537 Depth=3
	s_or_b64 exec, exec, s[30:31]
.LBB6_18911:                            ;   in Loop: Header=BB6_16537 Depth=3
	s_or_b64 exec, exec, s[28:29]
	v_lshrrev_b32_e32 v17, 16, v12
	v_cmp_ne_u16_sdwa vcc, v17, v51 src0_sel:BYTE_0 src1_sel:DWORD
	s_and_saveexec_b64 s[28:29], vcc
	s_cbranch_execz .LBB6_18917
; %bb.18912:                            ;   in Loop: Header=BB6_16537 Depth=3
	v_cmp_ne_u16_sdwa vcc, v17, s96 src0_sel:BYTE_0 src1_sel:DWORD
	v_bfrev_b32_e32 v0, 1
	s_and_saveexec_b64 s[30:31], vcc
	s_cbranch_execz .LBB6_18916
; %bb.18913:                            ;   in Loop: Header=BB6_16537 Depth=3
	v_bfe_u32 v5, v12, 16, 7
	v_cmp_ne_u32_e32 vcc, s86, v5
	v_mov_b32_e32 v0, 0x7f800001
	s_and_saveexec_b64 s[34:35], vcc
	s_cbranch_execz .LBB6_18915
; %bb.18914:                            ;   in Loop: Header=BB6_16537 Depth=3
	v_and_b32_e32 v0, 7, v17
	v_lshrrev_b32_e32 v19, 3, v5
	v_cmp_gt_u32_e32 vcc, 8, v5
	v_ffbh_u32_e32 v5, v0
	v_min_u32_e32 v5, 32, v5
	v_subrev_u32_e32 v18, 28, v5
	v_lshlrev_b64 v[17:18], v18, v[17:18]
	v_sub_u32_e32 v5, 29, v5
	v_and_b32_e32 v17, 7, v17
	v_cndmask_b32_e32 v5, v19, v5, vcc
	v_cndmask_b32_e32 v0, v0, v17, vcc
	v_lshlrev_b32_e32 v17, 8, v12
	v_bfrev_b32_e32 v18, 60
	v_lshlrev_b32_e32 v0, 20, v0
	v_and_b32_e32 v17, 0x80000000, v17
	v_lshl_add_u32 v5, v5, 23, v18
	v_or3_b32 v0, v17, v5, v0
.LBB6_18915:                            ;   in Loop: Header=BB6_16537 Depth=3
	s_or_b64 exec, exec, s[34:35]
.LBB6_18916:                            ;   in Loop: Header=BB6_16537 Depth=3
	s_or_b64 exec, exec, s[30:31]
.LBB6_18917:                            ;   in Loop: Header=BB6_16537 Depth=3
	s_or_b64 exec, exec, s[28:29]
	v_add_f32_e32 v3, v3, v0
	v_and_b32_e32 v17, 0x7f800000, v3
	v_mov_b32_e32 v18, v51
	v_cmp_ne_u64_e32 vcc, s[76:77], v[17:18]
                                        ; implicit-def: $vgpr55
	s_and_saveexec_b64 s[28:29], vcc
	s_xor_b64 s[30:31], exec, s[28:29]
	s_cbranch_execz .LBB6_18931
; %bb.18918:                            ;   in Loop: Header=BB6_16537 Depth=3
	v_and_b32_e32 v17, 0x7fffffff, v3
	v_mov_b32_e32 v18, v51
	v_cmp_gt_u64_e32 vcc, s[78:79], v[17:18]
	v_and_b32_sdwa v0, v3, s96 dst_sel:DWORD dst_unused:UNUSED_PAD src0_sel:BYTE_3 src1_sel:DWORD
                                        ; implicit-def: $vgpr55
	s_and_saveexec_b64 s[28:29], vcc
	s_xor_b64 s[34:35], exec, s[28:29]
	s_cbranch_execz .LBB6_18928
; %bb.18919:                            ;   in Loop: Header=BB6_16537 Depth=3
	v_mov_b32_e32 v55, 0
	v_cmp_ne_u32_e32 vcc, 0, v3
	s_and_saveexec_b64 s[36:37], vcc
	s_cbranch_execz .LBB6_18927
; %bb.18920:                            ;   in Loop: Header=BB6_16537 Depth=3
	v_and_b32_e32 v17, 0x7fffff, v3
	v_bfe_u32 v3, v3, 23, 8
	v_cmp_gt_u32_e64 s[28:29], s97, v3
	v_sub_u32_e32 v5, 0x79, v3
	v_cmp_eq_u32_e32 vcc, 0, v3
	v_cndmask_b32_e64 v5, 0, v5, s[28:29]
	v_mov_b32_e32 v19, 0x78
	v_cndmask_b32_e32 v5, v5, v19, vcc
	v_add_u32_e32 v19, 20, v5
	v_or_b32_e32 v18, 0x800000, v17
	v_lshlrev_b64 v[24:25], v19, -1
	v_cndmask_b32_e32 v17, v18, v17, vcc
	v_mov_b32_e32 v18, v51
	v_add_u32_e32 v19, 19, v5
	v_bfi_b32 v24, v24, 0, v17
	v_lshlrev_b64 v[52:53], v19, 1
	v_lshrrev_b64 v[17:18], v5, v[17:18]
	v_bfi_b32 v25, v25, 0, 0
	v_cmp_eq_u64_e64 s[28:29], v[24:25], v[52:53]
	v_mov_b32_e32 v19, v18
	v_mov_b32_e32 v18, v17
	s_and_saveexec_b64 s[38:39], s[28:29]
; %bb.18921:                            ;   in Loop: Header=BB6_16537 Depth=3
	v_bfe_u32 v18, v17, 20, 1
	v_add_co_u32_e64 v18, s[28:29], v17, v18
	v_add_co_u32_e64 v18, s[28:29], -1, v18
; %bb.18922:                            ;   in Loop: Header=BB6_16537 Depth=3
	s_or_b64 exec, exec, s[38:39]
	v_add_u32_e32 v3, 0xffffff81, v3
	v_mov_b32_e32 v19, 0xffffff82
	v_cndmask_b32_e32 v3, v3, v19, vcc
	v_lshrrev_b32_e32 v19, 23, v17
	v_add3_u32 v19, v5, v3, v19
	v_add_u32_e32 v5, 6, v19
	v_and_b32_e32 v3, 0xfffff, v18
	v_add_u32_e32 v17, v3, v17
	v_mov_b32_e32 v18, v51
	v_cmp_ne_u32_e32 vcc, 0, v5
                                        ; implicit-def: $vgpr3
	s_and_saveexec_b64 s[28:29], vcc
	s_xor_b64 s[28:29], exec, s[28:29]
; %bb.18923:                            ;   in Loop: Header=BB6_16537 Depth=3
	v_cmp_lt_u64_e32 vcc, s[88:89], v[17:18]
	v_add_u32_e32 v3, 7, v19
	v_cndmask_b32_e32 v3, v5, v3, vcc
	v_cndmask_b32_e64 v5, 0, 1, vcc
	v_lshrrev_b64 v[17:18], v5, v[17:18]
; %bb.18924:                            ;   in Loop: Header=BB6_16537 Depth=3
	s_andn2_saveexec_b64 s[28:29], s[28:29]
; %bb.18925:                            ;   in Loop: Header=BB6_16537 Depth=3
	v_bfe_u32 v3, v17, 23, 1
; %bb.18926:                            ;   in Loop: Header=BB6_16537 Depth=3
	s_or_b64 exec, exec, s[28:29]
	v_lshrrev_b64 v[17:18], 20, v[17:18]
	v_cmp_gt_i32_e32 vcc, 16, v3
	v_cndmask_b32_e32 v18, 0, v18, vcc
	v_cndmask_b32_e32 v17, 7, v17, vcc
	v_cmp_eq_u32_e32 vcc, 0, v3
	v_min_i32_e32 v3, 15, v3
	v_cmp_eq_u64_e64 s[28:29], 0, v[17:18]
	v_lshlrev_b32_e32 v3, 3, v3
	v_and_b32_e32 v3, 0xf8, v3
	v_and_or_b32 v3, v17, 7, v3
	s_and_b64 s[28:29], vcc, s[28:29]
	v_cndmask_b32_e64 v3, v3, 0, s[28:29]
	v_or_b32_e32 v55, v3, v0
.LBB6_18927:                            ;   in Loop: Header=BB6_16537 Depth=3
	s_or_b64 exec, exec, s[36:37]
                                        ; implicit-def: $vgpr0
.LBB6_18928:                            ;   in Loop: Header=BB6_16537 Depth=3
	s_andn2_saveexec_b64 s[28:29], s[34:35]
; %bb.18929:                            ;   in Loop: Header=BB6_16537 Depth=3
	v_or_b32_e32 v55, 0x7e, v0
; %bb.18930:                            ;   in Loop: Header=BB6_16537 Depth=3
	s_or_b64 exec, exec, s[28:29]
                                        ; implicit-def: $vgpr3
.LBB6_18931:                            ;   in Loop: Header=BB6_16537 Depth=3
	s_andn2_saveexec_b64 s[28:29], s[30:31]
; %bb.18932:                            ;   in Loop: Header=BB6_16537 Depth=3
	v_or_b32_sdwa v55, v3, s86 dst_sel:DWORD dst_unused:UNUSED_PAD src0_sel:BYTE_3 src1_sel:DWORD
; %bb.18933:                            ;   in Loop: Header=BB6_16537 Depth=3
	s_or_b64 exec, exec, s[28:29]
	v_cmp_lt_u32_e32 vcc, s57, v16
	v_mov_b32_e32 v0, 0
	v_mov_b32_e32 v3, 0
	s_and_saveexec_b64 s[28:29], vcc
	s_cbranch_execz .LBB6_18939
; %bb.18934:                            ;   in Loop: Header=BB6_16537 Depth=3
	v_lshrrev_b32_e32 v17, 24, v16
	v_cmp_ne_u32_sdwa vcc, v16, s96 src0_sel:BYTE_3 src1_sel:DWORD
	v_bfrev_b32_e32 v3, 1
	s_and_saveexec_b64 s[30:31], vcc
	s_cbranch_execz .LBB6_18938
; %bb.18935:                            ;   in Loop: Header=BB6_16537 Depth=3
	v_bfe_u32 v5, v16, 24, 7
	v_cmp_ne_u32_e32 vcc, s86, v5
	v_mov_b32_e32 v3, 0x7f800001
	s_and_saveexec_b64 s[34:35], vcc
	s_cbranch_execz .LBB6_18937
; %bb.18936:                            ;   in Loop: Header=BB6_16537 Depth=3
	v_and_b32_e32 v3, 7, v17
	v_lshrrev_b32_e32 v19, 3, v5
	v_cmp_gt_u32_e32 vcc, 8, v5
	v_ffbh_u32_e32 v5, v3
	v_min_u32_e32 v5, 32, v5
	v_subrev_u32_e32 v18, 28, v5
	v_lshlrev_b64 v[17:18], v18, v[17:18]
	v_sub_u32_e32 v5, 29, v5
	v_and_b32_e32 v17, 7, v17
	v_cndmask_b32_e32 v3, v3, v17, vcc
	v_mov_b32_e32 v17, 24
	v_cndmask_b32_e32 v5, v19, v5, vcc
	v_lshlrev_b32_sdwa v16, v17, v16 dst_sel:DWORD dst_unused:UNUSED_PAD src0_sel:DWORD src1_sel:BYTE_3
	v_bfrev_b32_e32 v17, 60
	v_lshlrev_b32_e32 v3, 20, v3
	v_and_b32_e32 v16, 0x80000000, v16
	v_lshl_add_u32 v5, v5, 23, v17
	v_or3_b32 v3, v16, v5, v3
.LBB6_18937:                            ;   in Loop: Header=BB6_16537 Depth=3
	s_or_b64 exec, exec, s[34:35]
.LBB6_18938:                            ;   in Loop: Header=BB6_16537 Depth=3
	s_or_b64 exec, exec, s[30:31]
.LBB6_18939:                            ;   in Loop: Header=BB6_16537 Depth=3
	s_or_b64 exec, exec, s[28:29]
	v_cmp_lt_u32_e32 vcc, s57, v12
	s_and_saveexec_b64 s[28:29], vcc
	s_cbranch_execz .LBB6_18945
; %bb.18940:                            ;   in Loop: Header=BB6_16537 Depth=3
	v_lshrrev_b32_e32 v16, 24, v12
	v_cmp_ne_u32_e32 vcc, s96, v16
	v_bfrev_b32_e32 v0, 1
	s_and_saveexec_b64 s[30:31], vcc
	s_cbranch_execz .LBB6_18944
; %bb.18941:                            ;   in Loop: Header=BB6_16537 Depth=3
	v_bfe_u32 v5, v12, 24, 7
	v_cmp_ne_u32_e32 vcc, s86, v5
	v_mov_b32_e32 v0, 0x7f800001
	s_and_saveexec_b64 s[34:35], vcc
	s_cbranch_execz .LBB6_18943
; %bb.18942:                            ;   in Loop: Header=BB6_16537 Depth=3
	v_and_b32_e32 v0, 7, v16
	v_lshrrev_b32_e32 v19, 3, v5
	v_cmp_gt_u32_e32 vcc, 8, v5
	v_ffbh_u32_e32 v5, v0
	v_min_u32_e32 v5, 32, v5
	v_subrev_u32_e32 v17, 28, v5
	v_lshlrev_b64 v[17:18], v17, v[16:17]
	v_sub_u32_e32 v5, 29, v5
	v_and_b32_e32 v17, 7, v17
	v_cndmask_b32_e32 v5, v19, v5, vcc
	v_cndmask_b32_e32 v0, v0, v17, vcc
	v_lshlrev_b32_e32 v16, 24, v16
	v_bfrev_b32_e32 v17, 60
	v_lshlrev_b32_e32 v0, 20, v0
	v_and_b32_e32 v16, 0x80000000, v16
	v_lshl_add_u32 v5, v5, 23, v17
	v_or3_b32 v0, v16, v5, v0
.LBB6_18943:                            ;   in Loop: Header=BB6_16537 Depth=3
	s_or_b64 exec, exec, s[34:35]
.LBB6_18944:                            ;   in Loop: Header=BB6_16537 Depth=3
	s_or_b64 exec, exec, s[30:31]
.LBB6_18945:                            ;   in Loop: Header=BB6_16537 Depth=3
	s_or_b64 exec, exec, s[28:29]
	v_add_f32_e32 v3, v3, v0
	v_and_b32_e32 v16, 0x7f800000, v3
	v_mov_b32_e32 v17, v51
	v_cmp_ne_u64_e32 vcc, s[76:77], v[16:17]
                                        ; implicit-def: $vgpr40
	s_and_saveexec_b64 s[28:29], vcc
	s_xor_b64 s[30:31], exec, s[28:29]
	s_cbranch_execz .LBB6_18959
; %bb.18946:                            ;   in Loop: Header=BB6_16537 Depth=3
	v_and_b32_e32 v16, 0x7fffffff, v3
	v_mov_b32_e32 v17, v51
	v_cmp_gt_u64_e32 vcc, s[78:79], v[16:17]
	v_and_b32_sdwa v0, v3, s96 dst_sel:DWORD dst_unused:UNUSED_PAD src0_sel:BYTE_3 src1_sel:DWORD
                                        ; implicit-def: $vgpr40
	s_and_saveexec_b64 s[28:29], vcc
	s_xor_b64 s[34:35], exec, s[28:29]
	s_cbranch_execz .LBB6_18956
; %bb.18947:                            ;   in Loop: Header=BB6_16537 Depth=3
	v_mov_b32_e32 v40, 0
	v_cmp_ne_u32_e32 vcc, 0, v3
	s_and_saveexec_b64 s[36:37], vcc
	s_cbranch_execz .LBB6_18955
; %bb.18948:                            ;   in Loop: Header=BB6_16537 Depth=3
	v_and_b32_e32 v16, 0x7fffff, v3
	v_bfe_u32 v3, v3, 23, 8
	v_cmp_gt_u32_e64 s[28:29], s97, v3
	v_sub_u32_e32 v5, 0x79, v3
	v_cmp_eq_u32_e32 vcc, 0, v3
	v_cndmask_b32_e64 v5, 0, v5, s[28:29]
	v_mov_b32_e32 v18, 0x78
	v_cndmask_b32_e32 v5, v5, v18, vcc
	v_add_u32_e32 v18, 20, v5
	v_or_b32_e32 v17, 0x800000, v16
	v_lshlrev_b64 v[18:19], v18, -1
	v_cndmask_b32_e32 v16, v17, v16, vcc
	v_mov_b32_e32 v17, v51
	v_add_u32_e32 v24, 19, v5
	v_bfi_b32 v18, v18, 0, v16
	v_lshlrev_b64 v[24:25], v24, 1
	v_lshrrev_b64 v[16:17], v5, v[16:17]
	v_bfi_b32 v19, v19, 0, 0
	v_cmp_eq_u64_e64 s[28:29], v[18:19], v[24:25]
	v_mov_b32_e32 v18, v17
	v_mov_b32_e32 v17, v16
	s_and_saveexec_b64 s[38:39], s[28:29]
; %bb.18949:                            ;   in Loop: Header=BB6_16537 Depth=3
	v_bfe_u32 v17, v16, 20, 1
	v_add_co_u32_e64 v17, s[28:29], v16, v17
	v_add_co_u32_e64 v17, s[28:29], -1, v17
; %bb.18950:                            ;   in Loop: Header=BB6_16537 Depth=3
	s_or_b64 exec, exec, s[38:39]
	v_add_u32_e32 v3, 0xffffff81, v3
	v_mov_b32_e32 v18, 0xffffff82
	v_cndmask_b32_e32 v3, v3, v18, vcc
	v_lshrrev_b32_e32 v18, 23, v16
	v_add3_u32 v18, v5, v3, v18
	v_add_u32_e32 v5, 6, v18
	v_and_b32_e32 v3, 0xfffff, v17
	v_add_u32_e32 v16, v3, v16
	v_mov_b32_e32 v17, v51
	v_cmp_ne_u32_e32 vcc, 0, v5
                                        ; implicit-def: $vgpr3
	s_and_saveexec_b64 s[28:29], vcc
	s_xor_b64 s[28:29], exec, s[28:29]
; %bb.18951:                            ;   in Loop: Header=BB6_16537 Depth=3
	v_cmp_lt_u64_e32 vcc, s[88:89], v[16:17]
	v_add_u32_e32 v3, 7, v18
	v_cndmask_b32_e32 v3, v5, v3, vcc
	v_cndmask_b32_e64 v5, 0, 1, vcc
	v_lshrrev_b64 v[16:17], v5, v[16:17]
; %bb.18952:                            ;   in Loop: Header=BB6_16537 Depth=3
	s_andn2_saveexec_b64 s[28:29], s[28:29]
; %bb.18953:                            ;   in Loop: Header=BB6_16537 Depth=3
	v_bfe_u32 v3, v16, 23, 1
; %bb.18954:                            ;   in Loop: Header=BB6_16537 Depth=3
	s_or_b64 exec, exec, s[28:29]
	v_lshrrev_b64 v[16:17], 20, v[16:17]
	v_cmp_gt_i32_e32 vcc, 16, v3
	v_cndmask_b32_e32 v17, 0, v17, vcc
	v_cndmask_b32_e32 v16, 7, v16, vcc
	v_cmp_eq_u32_e32 vcc, 0, v3
	v_min_i32_e32 v3, 15, v3
	v_cmp_eq_u64_e64 s[28:29], 0, v[16:17]
	v_lshlrev_b32_e32 v3, 3, v3
	v_and_b32_e32 v3, 0xf8, v3
	v_and_or_b32 v3, v16, 7, v3
	s_and_b64 s[28:29], vcc, s[28:29]
	v_cndmask_b32_e64 v3, v3, 0, s[28:29]
	v_or_b32_e32 v40, v3, v0
.LBB6_18955:                            ;   in Loop: Header=BB6_16537 Depth=3
	s_or_b64 exec, exec, s[36:37]
                                        ; implicit-def: $vgpr0
.LBB6_18956:                            ;   in Loop: Header=BB6_16537 Depth=3
	s_andn2_saveexec_b64 s[28:29], s[34:35]
; %bb.18957:                            ;   in Loop: Header=BB6_16537 Depth=3
	v_or_b32_e32 v40, 0x7e, v0
; %bb.18958:                            ;   in Loop: Header=BB6_16537 Depth=3
	s_or_b64 exec, exec, s[28:29]
                                        ; implicit-def: $vgpr3
.LBB6_18959:                            ;   in Loop: Header=BB6_16537 Depth=3
	s_andn2_saveexec_b64 s[28:29], s[30:31]
; %bb.18960:                            ;   in Loop: Header=BB6_16537 Depth=3
	v_or_b32_sdwa v40, v3, s86 dst_sel:DWORD dst_unused:UNUSED_PAD src0_sel:BYTE_3 src1_sel:DWORD
; %bb.18961:                            ;   in Loop: Header=BB6_16537 Depth=3
	s_or_b64 exec, exec, s[28:29]
	buffer_load_dword v3, off, s[0:3], s33 offset:196 ; 4-byte Folded Reload
	buffer_load_dword v1, off, s[0:3], s33 offset:212 ; 4-byte Folded Reload
	v_lshl_or_b32 v0, v43, 8, v30
	v_mov_b32_e32 v17, v51
	v_cmp_ne_u32_e32 vcc, 0, v30
	s_waitcnt vmcnt(1)
	v_lshlrev_b32_e32 v3, 16, v3
	s_waitcnt vmcnt(0)
	v_lshlrev_b32_e32 v5, 24, v1
	v_or3_b32 v16, v3, v5, v0
	v_mov_b32_e32 v5, 0
	v_mov_b32_e32 v3, 0
	s_and_saveexec_b64 s[28:29], vcc
	s_cbranch_execz .LBB6_18967
; %bb.18962:                            ;   in Loop: Header=BB6_16537 Depth=3
	v_cmp_ne_u32_e32 vcc, s96, v30
	v_bfrev_b32_e32 v3, 1
	s_and_saveexec_b64 s[30:31], vcc
	s_cbranch_execz .LBB6_18966
; %bb.18963:                            ;   in Loop: Header=BB6_16537 Depth=3
	v_and_b32_e32 v18, 0x7f, v30
	v_cmp_ne_u32_e32 vcc, s86, v18
	v_mov_b32_e32 v3, 0x7f800001
	s_and_saveexec_b64 s[34:35], vcc
	s_cbranch_execz .LBB6_18965
; %bb.18964:                            ;   in Loop: Header=BB6_16537 Depth=3
	v_and_b32_e32 v3, 7, v30
	v_ffbh_u32_e32 v3, v3
	v_min_u32_e32 v3, 32, v3
	v_lshrrev_b32_e32 v19, 3, v18
	v_cmp_gt_u32_e32 vcc, 8, v18
	v_subrev_u32_e32 v18, 28, v3
	v_cndmask_b32_e32 v18, 0, v18, vcc
	v_lshlrev_b64 v[17:18], v18, v[16:17]
	v_sub_u32_e32 v3, 29, v3
	v_cndmask_b32_e32 v3, v19, v3, vcc
	v_lshlrev_b32_e32 v17, 20, v17
	v_lshlrev_b32_e32 v18, 24, v16
	v_bfrev_b32_e32 v19, 60
	v_and_b32_e32 v17, 0x700000, v17
	v_and_b32_e32 v18, 0x80000000, v18
	v_lshl_add_u32 v3, v3, 23, v19
	v_or3_b32 v3, v18, v3, v17
.LBB6_18965:                            ;   in Loop: Header=BB6_16537 Depth=3
	s_or_b64 exec, exec, s[34:35]
.LBB6_18966:                            ;   in Loop: Header=BB6_16537 Depth=3
	s_or_b64 exec, exec, s[30:31]
.LBB6_18967:                            ;   in Loop: Header=BB6_16537 Depth=3
	s_or_b64 exec, exec, s[28:29]
	v_cmp_ne_u16_sdwa vcc, v13, v51 src0_sel:BYTE_0 src1_sel:DWORD
	s_and_saveexec_b64 s[28:29], vcc
	s_cbranch_execz .LBB6_18973
; %bb.18968:                            ;   in Loop: Header=BB6_16537 Depth=3
	v_cmp_ne_u16_sdwa vcc, v13, s96 src0_sel:BYTE_0 src1_sel:DWORD
	v_bfrev_b32_e32 v5, 1
	s_and_saveexec_b64 s[30:31], vcc
	s_cbranch_execz .LBB6_18972
; %bb.18969:                            ;   in Loop: Header=BB6_16537 Depth=3
	v_and_b32_e32 v17, 0x7f, v13
	v_cmp_ne_u32_e32 vcc, s86, v17
	v_mov_b32_e32 v5, 0x7f800001
	s_and_saveexec_b64 s[34:35], vcc
	s_cbranch_execz .LBB6_18971
; %bb.18970:                            ;   in Loop: Header=BB6_16537 Depth=3
	v_and_b32_e32 v5, 7, v13
	v_ffbh_u32_e32 v5, v5
	v_min_u32_e32 v5, 32, v5
	v_lshrrev_b32_e32 v24, 3, v17
	v_cmp_gt_u32_e32 vcc, 8, v17
	v_subrev_u32_e32 v17, 28, v5
	v_mov_b32_e32 v18, v13
	v_mov_b32_e32 v19, v51
	v_sub_u32_e32 v5, 29, v5
	v_cndmask_b32_e32 v17, 0, v17, vcc
	v_cndmask_b32_e32 v5, v24, v5, vcc
	v_lshlrev_b64 v[24:25], v17, v[18:19]
	v_lshlrev_b32_e32 v18, 24, v18
	v_lshlrev_b32_e32 v17, 20, v24
	v_bfrev_b32_e32 v19, 60
	v_and_b32_e32 v17, 0x700000, v17
	v_and_b32_e32 v18, 0x80000000, v18
	v_lshl_add_u32 v5, v5, 23, v19
	v_or3_b32 v5, v18, v5, v17
.LBB6_18971:                            ;   in Loop: Header=BB6_16537 Depth=3
	s_or_b64 exec, exec, s[34:35]
.LBB6_18972:                            ;   in Loop: Header=BB6_16537 Depth=3
	s_or_b64 exec, exec, s[30:31]
.LBB6_18973:                            ;   in Loop: Header=BB6_16537 Depth=3
	s_or_b64 exec, exec, s[28:29]
	v_add_f32_e32 v5, v3, v5
	v_and_b32_e32 v17, 0x7f800000, v5
	v_mov_b32_e32 v18, v51
	v_cmp_ne_u64_e32 vcc, s[76:77], v[17:18]
                                        ; implicit-def: $vgpr30
	s_and_saveexec_b64 s[28:29], vcc
	s_xor_b64 s[30:31], exec, s[28:29]
	s_cbranch_execz .LBB6_18987
; %bb.18974:                            ;   in Loop: Header=BB6_16537 Depth=3
	v_and_b32_e32 v17, 0x7fffffff, v5
	v_mov_b32_e32 v18, v51
	v_cmp_gt_u64_e32 vcc, s[78:79], v[17:18]
	v_and_b32_sdwa v3, v5, s96 dst_sel:DWORD dst_unused:UNUSED_PAD src0_sel:BYTE_3 src1_sel:DWORD
                                        ; implicit-def: $vgpr30
	s_and_saveexec_b64 s[28:29], vcc
	s_xor_b64 s[34:35], exec, s[28:29]
	s_cbranch_execz .LBB6_18984
; %bb.18975:                            ;   in Loop: Header=BB6_16537 Depth=3
	v_mov_b32_e32 v30, 0
	v_cmp_ne_u32_e32 vcc, 0, v5
	s_and_saveexec_b64 s[36:37], vcc
	s_cbranch_execz .LBB6_18983
; %bb.18976:                            ;   in Loop: Header=BB6_16537 Depth=3
	v_and_b32_e32 v17, 0x7fffff, v5
	v_bfe_u32 v5, v5, 23, 8
	v_cmp_gt_u32_e64 s[28:29], s97, v5
	v_sub_u32_e32 v18, 0x79, v5
	v_cmp_eq_u32_e32 vcc, 0, v5
	v_cndmask_b32_e64 v18, 0, v18, s[28:29]
	v_mov_b32_e32 v24, 0x78
	v_or_b32_e32 v19, 0x800000, v17
	v_cndmask_b32_e32 v24, v18, v24, vcc
	v_cndmask_b32_e32 v17, v19, v17, vcc
	v_add_u32_e32 v19, 20, v24
	v_lshlrev_b64 v[52:53], v19, -1
	v_mov_b32_e32 v18, v51
	v_add_u32_e32 v19, 19, v24
	v_bfi_b32 v52, v52, 0, v17
	v_lshlrev_b64 v[43:44], v19, 1
	v_lshrrev_b64 v[17:18], v24, v[17:18]
	v_bfi_b32 v53, v53, 0, 0
	v_cmp_eq_u64_e64 s[28:29], v[52:53], v[43:44]
	v_mov_b32_e32 v19, v18
	v_mov_b32_e32 v18, v17
	s_and_saveexec_b64 s[38:39], s[28:29]
; %bb.18977:                            ;   in Loop: Header=BB6_16537 Depth=3
	v_bfe_u32 v18, v17, 20, 1
	v_add_co_u32_e64 v18, s[28:29], v17, v18
	v_add_co_u32_e64 v18, s[28:29], -1, v18
; %bb.18978:                            ;   in Loop: Header=BB6_16537 Depth=3
	s_or_b64 exec, exec, s[38:39]
	v_add_u32_e32 v5, 0xffffff81, v5
	v_mov_b32_e32 v19, 0xffffff82
	v_cndmask_b32_e32 v5, v5, v19, vcc
	v_lshrrev_b32_e32 v19, 23, v17
	v_add3_u32 v24, v24, v5, v19
	v_add_u32_e32 v19, 6, v24
	v_and_b32_e32 v5, 0xfffff, v18
	v_add_u32_e32 v17, v5, v17
	v_mov_b32_e32 v18, v51
	v_cmp_ne_u32_e32 vcc, 0, v19
                                        ; implicit-def: $vgpr5
	s_and_saveexec_b64 s[28:29], vcc
	s_xor_b64 s[28:29], exec, s[28:29]
; %bb.18979:                            ;   in Loop: Header=BB6_16537 Depth=3
	v_cmp_lt_u64_e32 vcc, s[88:89], v[17:18]
	v_add_u32_e32 v5, 7, v24
	v_cndmask_b32_e32 v5, v19, v5, vcc
	v_cndmask_b32_e64 v19, 0, 1, vcc
	v_lshrrev_b64 v[17:18], v19, v[17:18]
; %bb.18980:                            ;   in Loop: Header=BB6_16537 Depth=3
	s_andn2_saveexec_b64 s[28:29], s[28:29]
; %bb.18981:                            ;   in Loop: Header=BB6_16537 Depth=3
	v_bfe_u32 v5, v17, 23, 1
; %bb.18982:                            ;   in Loop: Header=BB6_16537 Depth=3
	s_or_b64 exec, exec, s[28:29]
	v_lshrrev_b64 v[17:18], 20, v[17:18]
	v_cmp_gt_i32_e32 vcc, 16, v5
	v_cndmask_b32_e32 v18, 0, v18, vcc
	v_cndmask_b32_e32 v17, 7, v17, vcc
	v_cmp_eq_u32_e32 vcc, 0, v5
	v_min_i32_e32 v5, 15, v5
	v_cmp_eq_u64_e64 s[28:29], 0, v[17:18]
	v_lshlrev_b32_e32 v5, 3, v5
	v_and_b32_e32 v5, 0xf8, v5
	v_and_or_b32 v5, v17, 7, v5
	s_and_b64 s[28:29], vcc, s[28:29]
	v_cndmask_b32_e64 v5, v5, 0, s[28:29]
	v_or_b32_e32 v30, v5, v3
.LBB6_18983:                            ;   in Loop: Header=BB6_16537 Depth=3
	s_or_b64 exec, exec, s[36:37]
                                        ; implicit-def: $vgpr3
.LBB6_18984:                            ;   in Loop: Header=BB6_16537 Depth=3
	s_andn2_saveexec_b64 s[28:29], s[34:35]
; %bb.18985:                            ;   in Loop: Header=BB6_16537 Depth=3
	v_or_b32_e32 v30, 0x7e, v3
; %bb.18986:                            ;   in Loop: Header=BB6_16537 Depth=3
	s_or_b64 exec, exec, s[28:29]
                                        ; implicit-def: $vgpr5
.LBB6_18987:                            ;   in Loop: Header=BB6_16537 Depth=3
	s_andn2_saveexec_b64 s[28:29], s[30:31]
; %bb.18988:                            ;   in Loop: Header=BB6_16537 Depth=3
	v_or_b32_sdwa v30, v5, s86 dst_sel:DWORD dst_unused:UNUSED_PAD src0_sel:BYTE_3 src1_sel:DWORD
; %bb.18989:                            ;   in Loop: Header=BB6_16537 Depth=3
	s_or_b64 exec, exec, s[28:29]
	v_lshrrev_b16_e32 v17, 8, v0
	v_cmp_ne_u16_e32 vcc, 0, v17
	v_mov_b32_e32 v3, 0
	v_mov_b32_e32 v5, 0
	s_and_saveexec_b64 s[28:29], vcc
	s_cbranch_execz .LBB6_18995
; %bb.18990:                            ;   in Loop: Header=BB6_16537 Depth=3
	v_cmp_ne_u16_e32 vcc, s96, v17
	v_bfrev_b32_e32 v5, 1
	s_and_saveexec_b64 s[30:31], vcc
	s_cbranch_execz .LBB6_18994
; %bb.18991:                            ;   in Loop: Header=BB6_16537 Depth=3
	v_and_b32_e32 v18, 0x7f, v17
	v_cmp_ne_u32_e32 vcc, s86, v18
	v_mov_b32_e32 v5, 0x7f800001
	s_and_saveexec_b64 s[34:35], vcc
	s_cbranch_execz .LBB6_18993
; %bb.18992:                            ;   in Loop: Header=BB6_16537 Depth=3
	v_and_b32_e32 v5, 7, v17
	v_lshrrev_b32_e32 v19, 3, v18
	v_cmp_gt_u32_e32 vcc, 8, v18
	v_ffbh_u32_e32 v18, v5
	v_min_u32_e32 v24, 32, v18
	v_subrev_u32_e32 v18, 28, v24
	v_lshlrev_b64 v[17:18], v18, v[17:18]
	v_sub_u32_e32 v18, 29, v24
	v_and_b32_e32 v17, 7, v17
	v_cndmask_b32_e32 v18, v19, v18, vcc
	v_cndmask_b32_e32 v5, v5, v17, vcc
	v_lshlrev_b32_e32 v0, 16, v0
	v_bfrev_b32_e32 v17, 60
	v_lshlrev_b32_e32 v5, 20, v5
	v_and_b32_e32 v0, 0x80000000, v0
	v_lshl_add_u32 v17, v18, 23, v17
	v_or3_b32 v5, v0, v17, v5
.LBB6_18993:                            ;   in Loop: Header=BB6_16537 Depth=3
	s_or_b64 exec, exec, s[34:35]
.LBB6_18994:                            ;   in Loop: Header=BB6_16537 Depth=3
	s_or_b64 exec, exec, s[30:31]
.LBB6_18995:                            ;   in Loop: Header=BB6_16537 Depth=3
	s_or_b64 exec, exec, s[28:29]
	v_lshrrev_b16_e32 v17, 8, v13
	v_cmp_ne_u16_e32 vcc, 0, v17
	s_and_saveexec_b64 s[28:29], vcc
	s_cbranch_execz .LBB6_19001
; %bb.18996:                            ;   in Loop: Header=BB6_16537 Depth=3
	v_cmp_ne_u16_e32 vcc, s96, v17
	v_bfrev_b32_e32 v3, 1
	s_and_saveexec_b64 s[30:31], vcc
	s_cbranch_execz .LBB6_19000
; %bb.18997:                            ;   in Loop: Header=BB6_16537 Depth=3
	v_and_b32_e32 v0, 0x7f, v17
	v_cmp_ne_u32_e32 vcc, s86, v0
	v_mov_b32_e32 v3, 0x7f800001
	s_and_saveexec_b64 s[34:35], vcc
	s_cbranch_execz .LBB6_18999
; %bb.18998:                            ;   in Loop: Header=BB6_16537 Depth=3
	v_and_b32_e32 v3, 7, v17
	v_lshrrev_b32_e32 v19, 3, v0
	v_cmp_gt_u32_e32 vcc, 8, v0
	v_ffbh_u32_e32 v0, v3
	v_min_u32_e32 v0, 32, v0
	v_subrev_u32_e32 v18, 28, v0
	v_lshlrev_b64 v[17:18], v18, v[17:18]
	v_sub_u32_e32 v0, 29, v0
	v_and_b32_e32 v17, 7, v17
	v_cndmask_b32_e32 v0, v19, v0, vcc
	v_cndmask_b32_e32 v3, v3, v17, vcc
	v_lshlrev_b32_e32 v17, 16, v13
	v_bfrev_b32_e32 v18, 60
	v_lshlrev_b32_e32 v3, 20, v3
	v_and_b32_e32 v17, 0x80000000, v17
	v_lshl_add_u32 v0, v0, 23, v18
	v_or3_b32 v3, v17, v0, v3
.LBB6_18999:                            ;   in Loop: Header=BB6_16537 Depth=3
	s_or_b64 exec, exec, s[34:35]
.LBB6_19000:                            ;   in Loop: Header=BB6_16537 Depth=3
	s_or_b64 exec, exec, s[30:31]
.LBB6_19001:                            ;   in Loop: Header=BB6_16537 Depth=3
	s_or_b64 exec, exec, s[28:29]
	v_add_f32_e32 v3, v5, v3
	v_and_b32_e32 v17, 0x7f800000, v3
	v_mov_b32_e32 v18, v51
	v_cmp_ne_u64_e32 vcc, s[76:77], v[17:18]
                                        ; implicit-def: $vgpr43
	s_and_saveexec_b64 s[28:29], vcc
	s_xor_b64 s[30:31], exec, s[28:29]
	s_cbranch_execz .LBB6_19015
; %bb.19002:                            ;   in Loop: Header=BB6_16537 Depth=3
	v_and_b32_e32 v17, 0x7fffffff, v3
	v_mov_b32_e32 v18, v51
	v_cmp_gt_u64_e32 vcc, s[78:79], v[17:18]
	v_and_b32_sdwa v0, v3, s96 dst_sel:DWORD dst_unused:UNUSED_PAD src0_sel:BYTE_3 src1_sel:DWORD
                                        ; implicit-def: $vgpr43
	s_and_saveexec_b64 s[28:29], vcc
	s_xor_b64 s[34:35], exec, s[28:29]
	s_cbranch_execz .LBB6_19012
; %bb.19003:                            ;   in Loop: Header=BB6_16537 Depth=3
	v_mov_b32_e32 v43, 0
	v_cmp_ne_u32_e32 vcc, 0, v3
	s_and_saveexec_b64 s[36:37], vcc
	s_cbranch_execz .LBB6_19011
; %bb.19004:                            ;   in Loop: Header=BB6_16537 Depth=3
	v_and_b32_e32 v17, 0x7fffff, v3
	v_bfe_u32 v3, v3, 23, 8
	v_cmp_gt_u32_e64 s[28:29], s97, v3
	v_sub_u32_e32 v5, 0x79, v3
	v_cmp_eq_u32_e32 vcc, 0, v3
	v_cndmask_b32_e64 v5, 0, v5, s[28:29]
	v_mov_b32_e32 v19, 0x78
	v_cndmask_b32_e32 v5, v5, v19, vcc
	v_add_u32_e32 v19, 20, v5
	v_or_b32_e32 v18, 0x800000, v17
	v_lshlrev_b64 v[24:25], v19, -1
	v_cndmask_b32_e32 v17, v18, v17, vcc
	v_mov_b32_e32 v18, v51
	v_add_u32_e32 v19, 19, v5
	v_bfi_b32 v24, v24, 0, v17
	v_lshlrev_b64 v[52:53], v19, 1
	v_lshrrev_b64 v[17:18], v5, v[17:18]
	v_bfi_b32 v25, v25, 0, 0
	v_cmp_eq_u64_e64 s[28:29], v[24:25], v[52:53]
	v_mov_b32_e32 v19, v18
	v_mov_b32_e32 v18, v17
	s_and_saveexec_b64 s[38:39], s[28:29]
; %bb.19005:                            ;   in Loop: Header=BB6_16537 Depth=3
	v_bfe_u32 v18, v17, 20, 1
	v_add_co_u32_e64 v18, s[28:29], v17, v18
	v_add_co_u32_e64 v18, s[28:29], -1, v18
; %bb.19006:                            ;   in Loop: Header=BB6_16537 Depth=3
	s_or_b64 exec, exec, s[38:39]
	v_add_u32_e32 v3, 0xffffff81, v3
	v_mov_b32_e32 v19, 0xffffff82
	v_cndmask_b32_e32 v3, v3, v19, vcc
	v_lshrrev_b32_e32 v19, 23, v17
	v_add3_u32 v19, v5, v3, v19
	v_add_u32_e32 v5, 6, v19
	v_and_b32_e32 v3, 0xfffff, v18
	v_add_u32_e32 v17, v3, v17
	v_mov_b32_e32 v18, v51
	v_cmp_ne_u32_e32 vcc, 0, v5
                                        ; implicit-def: $vgpr3
	s_and_saveexec_b64 s[28:29], vcc
	s_xor_b64 s[28:29], exec, s[28:29]
; %bb.19007:                            ;   in Loop: Header=BB6_16537 Depth=3
	v_cmp_lt_u64_e32 vcc, s[88:89], v[17:18]
	v_add_u32_e32 v3, 7, v19
	v_cndmask_b32_e32 v3, v5, v3, vcc
	v_cndmask_b32_e64 v5, 0, 1, vcc
	v_lshrrev_b64 v[17:18], v5, v[17:18]
; %bb.19008:                            ;   in Loop: Header=BB6_16537 Depth=3
	s_andn2_saveexec_b64 s[28:29], s[28:29]
; %bb.19009:                            ;   in Loop: Header=BB6_16537 Depth=3
	v_bfe_u32 v3, v17, 23, 1
; %bb.19010:                            ;   in Loop: Header=BB6_16537 Depth=3
	s_or_b64 exec, exec, s[28:29]
	v_lshrrev_b64 v[17:18], 20, v[17:18]
	v_cmp_gt_i32_e32 vcc, 16, v3
	v_cndmask_b32_e32 v18, 0, v18, vcc
	v_cndmask_b32_e32 v17, 7, v17, vcc
	v_cmp_eq_u32_e32 vcc, 0, v3
	v_min_i32_e32 v3, 15, v3
	v_cmp_eq_u64_e64 s[28:29], 0, v[17:18]
	v_lshlrev_b32_e32 v3, 3, v3
	v_and_b32_e32 v3, 0xf8, v3
	v_and_or_b32 v3, v17, 7, v3
	s_and_b64 s[28:29], vcc, s[28:29]
	v_cndmask_b32_e64 v3, v3, 0, s[28:29]
	v_or_b32_e32 v43, v3, v0
.LBB6_19011:                            ;   in Loop: Header=BB6_16537 Depth=3
	s_or_b64 exec, exec, s[36:37]
                                        ; implicit-def: $vgpr0
.LBB6_19012:                            ;   in Loop: Header=BB6_16537 Depth=3
	s_andn2_saveexec_b64 s[28:29], s[34:35]
; %bb.19013:                            ;   in Loop: Header=BB6_16537 Depth=3
	v_or_b32_e32 v43, 0x7e, v0
; %bb.19014:                            ;   in Loop: Header=BB6_16537 Depth=3
	s_or_b64 exec, exec, s[28:29]
                                        ; implicit-def: $vgpr3
.LBB6_19015:                            ;   in Loop: Header=BB6_16537 Depth=3
	s_andn2_saveexec_b64 s[28:29], s[30:31]
; %bb.19016:                            ;   in Loop: Header=BB6_16537 Depth=3
	v_or_b32_sdwa v43, v3, s86 dst_sel:DWORD dst_unused:UNUSED_PAD src0_sel:BYTE_3 src1_sel:DWORD
; %bb.19017:                            ;   in Loop: Header=BB6_16537 Depth=3
	s_or_b64 exec, exec, s[28:29]
	v_lshrrev_b32_e32 v17, 16, v16
	v_cmp_ne_u16_sdwa vcc, v17, v51 src0_sel:BYTE_0 src1_sel:DWORD
	v_mov_b32_e32 v0, 0
	v_mov_b32_e32 v3, 0
	s_and_saveexec_b64 s[28:29], vcc
	s_cbranch_execz .LBB6_19023
; %bb.19018:                            ;   in Loop: Header=BB6_16537 Depth=3
	v_cmp_ne_u16_sdwa vcc, v17, s96 src0_sel:BYTE_0 src1_sel:DWORD
	v_bfrev_b32_e32 v3, 1
	s_and_saveexec_b64 s[30:31], vcc
	s_cbranch_execz .LBB6_19022
; %bb.19019:                            ;   in Loop: Header=BB6_16537 Depth=3
	v_bfe_u32 v5, v16, 16, 7
	v_cmp_ne_u32_e32 vcc, s86, v5
	v_mov_b32_e32 v3, 0x7f800001
	s_and_saveexec_b64 s[34:35], vcc
	s_cbranch_execz .LBB6_19021
; %bb.19020:                            ;   in Loop: Header=BB6_16537 Depth=3
	v_and_b32_e32 v3, 7, v17
	v_lshrrev_b32_e32 v24, 3, v5
	v_cmp_gt_u32_e32 vcc, 8, v5
	v_ffbh_u32_e32 v5, v3
	v_min_u32_e32 v5, 32, v5
	v_subrev_u32_e32 v18, 28, v5
	v_lshlrev_b64 v[18:19], v18, v[17:18]
	v_sub_u32_e32 v5, 29, v5
	v_and_b32_e32 v18, 7, v18
	v_cndmask_b32_e32 v5, v24, v5, vcc
	v_cndmask_b32_e32 v3, v3, v18, vcc
	v_lshlrev_b32_e32 v17, 24, v17
	v_bfrev_b32_e32 v18, 60
	v_lshlrev_b32_e32 v3, 20, v3
	v_and_b32_e32 v17, 0x80000000, v17
	v_lshl_add_u32 v5, v5, 23, v18
	v_or3_b32 v3, v17, v5, v3
.LBB6_19021:                            ;   in Loop: Header=BB6_16537 Depth=3
	s_or_b64 exec, exec, s[34:35]
.LBB6_19022:                            ;   in Loop: Header=BB6_16537 Depth=3
	s_or_b64 exec, exec, s[30:31]
.LBB6_19023:                            ;   in Loop: Header=BB6_16537 Depth=3
	s_or_b64 exec, exec, s[28:29]
	v_lshrrev_b32_e32 v17, 16, v13
	v_cmp_ne_u16_sdwa vcc, v17, v51 src0_sel:BYTE_0 src1_sel:DWORD
	s_and_saveexec_b64 s[28:29], vcc
	s_cbranch_execz .LBB6_19029
; %bb.19024:                            ;   in Loop: Header=BB6_16537 Depth=3
	v_cmp_ne_u16_sdwa vcc, v17, s96 src0_sel:BYTE_0 src1_sel:DWORD
	v_bfrev_b32_e32 v0, 1
	s_and_saveexec_b64 s[30:31], vcc
	s_cbranch_execz .LBB6_19028
; %bb.19025:                            ;   in Loop: Header=BB6_16537 Depth=3
	v_bfe_u32 v5, v13, 16, 7
	v_cmp_ne_u32_e32 vcc, s86, v5
	v_mov_b32_e32 v0, 0x7f800001
	s_and_saveexec_b64 s[34:35], vcc
	s_cbranch_execz .LBB6_19027
; %bb.19026:                            ;   in Loop: Header=BB6_16537 Depth=3
	v_and_b32_e32 v0, 7, v17
	v_lshrrev_b32_e32 v19, 3, v5
	v_cmp_gt_u32_e32 vcc, 8, v5
	v_ffbh_u32_e32 v5, v0
	v_min_u32_e32 v5, 32, v5
	v_subrev_u32_e32 v18, 28, v5
	v_lshlrev_b64 v[17:18], v18, v[17:18]
	v_sub_u32_e32 v5, 29, v5
	v_and_b32_e32 v17, 7, v17
	v_cndmask_b32_e32 v5, v19, v5, vcc
	v_cndmask_b32_e32 v0, v0, v17, vcc
	v_lshlrev_b32_e32 v17, 8, v13
	v_bfrev_b32_e32 v18, 60
	v_lshlrev_b32_e32 v0, 20, v0
	v_and_b32_e32 v17, 0x80000000, v17
	v_lshl_add_u32 v5, v5, 23, v18
	v_or3_b32 v0, v17, v5, v0
.LBB6_19027:                            ;   in Loop: Header=BB6_16537 Depth=3
	s_or_b64 exec, exec, s[34:35]
.LBB6_19028:                            ;   in Loop: Header=BB6_16537 Depth=3
	s_or_b64 exec, exec, s[30:31]
.LBB6_19029:                            ;   in Loop: Header=BB6_16537 Depth=3
	s_or_b64 exec, exec, s[28:29]
	v_add_f32_e32 v3, v3, v0
	v_and_b32_e32 v17, 0x7f800000, v3
	v_mov_b32_e32 v18, v51
	v_cmp_ne_u64_e32 vcc, s[76:77], v[17:18]
                                        ; implicit-def: $vgpr19
	s_and_saveexec_b64 s[28:29], vcc
	s_xor_b64 s[30:31], exec, s[28:29]
	s_cbranch_execz .LBB6_19043
; %bb.19030:                            ;   in Loop: Header=BB6_16537 Depth=3
	v_and_b32_e32 v17, 0x7fffffff, v3
	v_mov_b32_e32 v18, v51
	v_cmp_gt_u64_e32 vcc, s[78:79], v[17:18]
	v_and_b32_sdwa v0, v3, s96 dst_sel:DWORD dst_unused:UNUSED_PAD src0_sel:BYTE_3 src1_sel:DWORD
                                        ; implicit-def: $vgpr19
	s_and_saveexec_b64 s[28:29], vcc
	s_xor_b64 s[34:35], exec, s[28:29]
	s_cbranch_execz .LBB6_19040
; %bb.19031:                            ;   in Loop: Header=BB6_16537 Depth=3
	v_mov_b32_e32 v19, 0
	v_cmp_ne_u32_e32 vcc, 0, v3
	s_and_saveexec_b64 s[36:37], vcc
	s_cbranch_execz .LBB6_19039
; %bb.19032:                            ;   in Loop: Header=BB6_16537 Depth=3
	v_and_b32_e32 v17, 0x7fffff, v3
	v_bfe_u32 v3, v3, 23, 8
	v_cmp_gt_u32_e64 s[28:29], s97, v3
	v_sub_u32_e32 v5, 0x79, v3
	v_cmp_eq_u32_e32 vcc, 0, v3
	v_cndmask_b32_e64 v5, 0, v5, s[28:29]
	v_mov_b32_e32 v19, 0x78
	v_cndmask_b32_e32 v5, v5, v19, vcc
	v_add_u32_e32 v19, 20, v5
	v_or_b32_e32 v18, 0x800000, v17
	v_lshlrev_b64 v[24:25], v19, -1
	v_cndmask_b32_e32 v17, v18, v17, vcc
	v_mov_b32_e32 v18, v51
	v_add_u32_e32 v19, 19, v5
	v_bfi_b32 v24, v24, 0, v17
	v_lshlrev_b64 v[52:53], v19, 1
	v_lshrrev_b64 v[17:18], v5, v[17:18]
	v_bfi_b32 v25, v25, 0, 0
	v_cmp_eq_u64_e64 s[28:29], v[24:25], v[52:53]
	v_mov_b32_e32 v19, v18
	v_mov_b32_e32 v18, v17
	s_and_saveexec_b64 s[38:39], s[28:29]
; %bb.19033:                            ;   in Loop: Header=BB6_16537 Depth=3
	v_bfe_u32 v18, v17, 20, 1
	v_add_co_u32_e64 v18, s[28:29], v17, v18
	v_add_co_u32_e64 v18, s[28:29], -1, v18
; %bb.19034:                            ;   in Loop: Header=BB6_16537 Depth=3
	s_or_b64 exec, exec, s[38:39]
	v_add_u32_e32 v3, 0xffffff81, v3
	v_mov_b32_e32 v19, 0xffffff82
	v_cndmask_b32_e32 v3, v3, v19, vcc
	v_lshrrev_b32_e32 v19, 23, v17
	v_add3_u32 v19, v5, v3, v19
	v_add_u32_e32 v5, 6, v19
	v_and_b32_e32 v3, 0xfffff, v18
	v_add_u32_e32 v17, v3, v17
	v_mov_b32_e32 v18, v51
	v_cmp_ne_u32_e32 vcc, 0, v5
                                        ; implicit-def: $vgpr3
	s_and_saveexec_b64 s[28:29], vcc
	s_xor_b64 s[28:29], exec, s[28:29]
; %bb.19035:                            ;   in Loop: Header=BB6_16537 Depth=3
	v_cmp_lt_u64_e32 vcc, s[88:89], v[17:18]
	v_add_u32_e32 v3, 7, v19
	v_cndmask_b32_e32 v3, v5, v3, vcc
	v_cndmask_b32_e64 v5, 0, 1, vcc
	v_lshrrev_b64 v[17:18], v5, v[17:18]
; %bb.19036:                            ;   in Loop: Header=BB6_16537 Depth=3
	s_andn2_saveexec_b64 s[28:29], s[28:29]
; %bb.19037:                            ;   in Loop: Header=BB6_16537 Depth=3
	v_bfe_u32 v3, v17, 23, 1
; %bb.19038:                            ;   in Loop: Header=BB6_16537 Depth=3
	s_or_b64 exec, exec, s[28:29]
	v_lshrrev_b64 v[17:18], 20, v[17:18]
	v_cmp_gt_i32_e32 vcc, 16, v3
	v_cndmask_b32_e32 v18, 0, v18, vcc
	v_cndmask_b32_e32 v17, 7, v17, vcc
	v_cmp_eq_u32_e32 vcc, 0, v3
	v_min_i32_e32 v3, 15, v3
	v_cmp_eq_u64_e64 s[28:29], 0, v[17:18]
	v_lshlrev_b32_e32 v3, 3, v3
	v_and_b32_e32 v3, 0xf8, v3
	v_and_or_b32 v3, v17, 7, v3
	s_and_b64 s[28:29], vcc, s[28:29]
	v_cndmask_b32_e64 v3, v3, 0, s[28:29]
	v_or_b32_e32 v19, v3, v0
.LBB6_19039:                            ;   in Loop: Header=BB6_16537 Depth=3
	s_or_b64 exec, exec, s[36:37]
                                        ; implicit-def: $vgpr0
.LBB6_19040:                            ;   in Loop: Header=BB6_16537 Depth=3
	s_andn2_saveexec_b64 s[28:29], s[34:35]
; %bb.19041:                            ;   in Loop: Header=BB6_16537 Depth=3
	v_or_b32_e32 v19, 0x7e, v0
; %bb.19042:                            ;   in Loop: Header=BB6_16537 Depth=3
	s_or_b64 exec, exec, s[28:29]
                                        ; implicit-def: $vgpr3
.LBB6_19043:                            ;   in Loop: Header=BB6_16537 Depth=3
	s_andn2_saveexec_b64 s[28:29], s[30:31]
; %bb.19044:                            ;   in Loop: Header=BB6_16537 Depth=3
	v_or_b32_sdwa v19, v3, s86 dst_sel:DWORD dst_unused:UNUSED_PAD src0_sel:BYTE_3 src1_sel:DWORD
; %bb.19045:                            ;   in Loop: Header=BB6_16537 Depth=3
	s_or_b64 exec, exec, s[28:29]
	v_cmp_lt_u32_e32 vcc, s57, v16
	v_mov_b32_e32 v0, 0
	v_mov_b32_e32 v3, 0
	s_and_saveexec_b64 s[28:29], vcc
	s_cbranch_execz .LBB6_19051
; %bb.19046:                            ;   in Loop: Header=BB6_16537 Depth=3
	v_lshrrev_b32_e32 v17, 24, v16
	v_cmp_ne_u32_sdwa vcc, v16, s96 src0_sel:BYTE_3 src1_sel:DWORD
	v_bfrev_b32_e32 v3, 1
	s_and_saveexec_b64 s[30:31], vcc
	s_cbranch_execz .LBB6_19050
; %bb.19047:                            ;   in Loop: Header=BB6_16537 Depth=3
	v_bfe_u32 v5, v16, 24, 7
	v_cmp_ne_u32_e32 vcc, s86, v5
	v_mov_b32_e32 v3, 0x7f800001
	s_and_saveexec_b64 s[34:35], vcc
	s_cbranch_execz .LBB6_19049
; %bb.19048:                            ;   in Loop: Header=BB6_16537 Depth=3
	v_and_b32_e32 v3, 7, v17
	v_lshrrev_b32_e32 v24, 3, v5
	v_cmp_gt_u32_e32 vcc, 8, v5
	v_ffbh_u32_e32 v5, v3
	v_min_u32_e32 v5, 32, v5
	v_subrev_u32_e32 v18, 28, v5
	v_lshlrev_b64 v[17:18], v18, v[17:18]
	v_sub_u32_e32 v5, 29, v5
	v_and_b32_e32 v17, 7, v17
	v_cndmask_b32_e32 v3, v3, v17, vcc
	v_mov_b32_e32 v17, 24
	v_cndmask_b32_e32 v5, v24, v5, vcc
	v_lshlrev_b32_sdwa v16, v17, v16 dst_sel:DWORD dst_unused:UNUSED_PAD src0_sel:DWORD src1_sel:BYTE_3
	v_bfrev_b32_e32 v17, 60
	v_lshlrev_b32_e32 v3, 20, v3
	v_and_b32_e32 v16, 0x80000000, v16
	v_lshl_add_u32 v5, v5, 23, v17
	v_or3_b32 v3, v16, v5, v3
.LBB6_19049:                            ;   in Loop: Header=BB6_16537 Depth=3
	s_or_b64 exec, exec, s[34:35]
.LBB6_19050:                            ;   in Loop: Header=BB6_16537 Depth=3
	s_or_b64 exec, exec, s[30:31]
.LBB6_19051:                            ;   in Loop: Header=BB6_16537 Depth=3
	s_or_b64 exec, exec, s[28:29]
	v_cmp_lt_u64_e32 vcc, s[56:57], v[12:13]
	s_and_saveexec_b64 s[28:29], vcc
	s_cbranch_execz .LBB6_19057
; %bb.19052:                            ;   in Loop: Header=BB6_16537 Depth=3
	v_lshrrev_b32_e32 v12, 24, v13
	v_cmp_ne_u32_e32 vcc, s96, v12
	v_bfrev_b32_e32 v0, 1
	s_and_saveexec_b64 s[30:31], vcc
	s_cbranch_execz .LBB6_19056
; %bb.19053:                            ;   in Loop: Header=BB6_16537 Depth=3
	v_bfe_u32 v5, v13, 24, 7
	v_cmp_ne_u32_e32 vcc, s86, v5
	v_mov_b32_e32 v0, 0x7f800001
	s_and_saveexec_b64 s[34:35], vcc
	s_cbranch_execz .LBB6_19055
; %bb.19054:                            ;   in Loop: Header=BB6_16537 Depth=3
	v_and_b32_e32 v0, 7, v12
	v_lshrrev_b32_e32 v13, 3, v5
	v_cmp_gt_u32_e32 vcc, 8, v5
	v_ffbh_u32_e32 v5, v0
	v_min_u32_e32 v5, 32, v5
	v_subrev_u32_e32 v16, 28, v5
	v_lshlrev_b64 v[16:17], v16, v[12:13]
	v_sub_u32_e32 v5, 29, v5
	v_and_b32_e32 v16, 7, v16
	v_cndmask_b32_e32 v5, v13, v5, vcc
	v_cndmask_b32_e32 v0, v0, v16, vcc
	v_lshlrev_b32_e32 v12, 24, v12
	v_bfrev_b32_e32 v13, 60
	v_lshlrev_b32_e32 v0, 20, v0
	v_and_b32_e32 v12, 0x80000000, v12
	v_lshl_add_u32 v5, v5, 23, v13
	v_or3_b32 v0, v12, v5, v0
.LBB6_19055:                            ;   in Loop: Header=BB6_16537 Depth=3
	s_or_b64 exec, exec, s[34:35]
.LBB6_19056:                            ;   in Loop: Header=BB6_16537 Depth=3
	s_or_b64 exec, exec, s[30:31]
.LBB6_19057:                            ;   in Loop: Header=BB6_16537 Depth=3
	s_or_b64 exec, exec, s[28:29]
	v_add_f32_e32 v3, v3, v0
	v_and_b32_e32 v12, 0x7f800000, v3
	v_mov_b32_e32 v13, v51
	v_cmp_ne_u64_e32 vcc, s[76:77], v[12:13]
                                        ; implicit-def: $vgpr44
	s_and_saveexec_b64 s[28:29], vcc
	s_xor_b64 s[30:31], exec, s[28:29]
	s_cbranch_execz .LBB6_19071
; %bb.19058:                            ;   in Loop: Header=BB6_16537 Depth=3
	v_and_b32_e32 v12, 0x7fffffff, v3
	v_mov_b32_e32 v13, v51
	v_cmp_gt_u64_e32 vcc, s[78:79], v[12:13]
	v_and_b32_sdwa v0, v3, s96 dst_sel:DWORD dst_unused:UNUSED_PAD src0_sel:BYTE_3 src1_sel:DWORD
                                        ; implicit-def: $vgpr44
	s_and_saveexec_b64 s[28:29], vcc
	s_xor_b64 s[34:35], exec, s[28:29]
	s_cbranch_execz .LBB6_19068
; %bb.19059:                            ;   in Loop: Header=BB6_16537 Depth=3
	v_mov_b32_e32 v44, 0
	v_cmp_ne_u32_e32 vcc, 0, v3
	s_and_saveexec_b64 s[36:37], vcc
	s_cbranch_execz .LBB6_19067
; %bb.19060:                            ;   in Loop: Header=BB6_16537 Depth=3
	v_and_b32_e32 v12, 0x7fffff, v3
	v_bfe_u32 v3, v3, 23, 8
	v_cmp_gt_u32_e64 s[28:29], s97, v3
	v_sub_u32_e32 v5, 0x79, v3
	v_cmp_eq_u32_e32 vcc, 0, v3
	v_cndmask_b32_e64 v5, 0, v5, s[28:29]
	v_mov_b32_e32 v16, 0x78
	v_cndmask_b32_e32 v5, v5, v16, vcc
	v_add_u32_e32 v16, 20, v5
	v_or_b32_e32 v13, 0x800000, v12
	v_lshlrev_b64 v[16:17], v16, -1
	v_cndmask_b32_e32 v12, v13, v12, vcc
	v_mov_b32_e32 v13, v51
	v_add_u32_e32 v18, 19, v5
	v_bfi_b32 v16, v16, 0, v12
	v_lshlrev_b64 v[24:25], v18, 1
	v_lshrrev_b64 v[12:13], v5, v[12:13]
	v_bfi_b32 v17, v17, 0, 0
	v_cmp_eq_u64_e64 s[28:29], v[16:17], v[24:25]
	v_mov_b32_e32 v17, v13
	v_mov_b32_e32 v16, v12
	s_and_saveexec_b64 s[38:39], s[28:29]
; %bb.19061:                            ;   in Loop: Header=BB6_16537 Depth=3
	v_bfe_u32 v13, v12, 20, 1
	v_add_co_u32_e64 v13, s[28:29], v12, v13
	v_add_co_u32_e64 v16, s[28:29], -1, v13
; %bb.19062:                            ;   in Loop: Header=BB6_16537 Depth=3
	s_or_b64 exec, exec, s[38:39]
	v_add_u32_e32 v3, 0xffffff81, v3
	v_mov_b32_e32 v13, 0xffffff82
	v_cndmask_b32_e32 v3, v3, v13, vcc
	v_lshrrev_b32_e32 v13, 23, v12
	v_add3_u32 v17, v5, v3, v13
	v_add_u32_e32 v5, 6, v17
	v_and_b32_e32 v3, 0xfffff, v16
	v_add_u32_e32 v12, v3, v12
	v_mov_b32_e32 v13, v51
	v_cmp_ne_u32_e32 vcc, 0, v5
                                        ; implicit-def: $vgpr3
	s_and_saveexec_b64 s[28:29], vcc
	s_xor_b64 s[28:29], exec, s[28:29]
; %bb.19063:                            ;   in Loop: Header=BB6_16537 Depth=3
	v_cmp_lt_u64_e32 vcc, s[88:89], v[12:13]
	v_add_u32_e32 v3, 7, v17
	v_cndmask_b32_e32 v3, v5, v3, vcc
	v_cndmask_b32_e64 v5, 0, 1, vcc
	v_lshrrev_b64 v[12:13], v5, v[12:13]
; %bb.19064:                            ;   in Loop: Header=BB6_16537 Depth=3
	s_andn2_saveexec_b64 s[28:29], s[28:29]
; %bb.19065:                            ;   in Loop: Header=BB6_16537 Depth=3
	v_bfe_u32 v3, v12, 23, 1
; %bb.19066:                            ;   in Loop: Header=BB6_16537 Depth=3
	s_or_b64 exec, exec, s[28:29]
	v_lshrrev_b64 v[12:13], 20, v[12:13]
	v_cmp_gt_i32_e32 vcc, 16, v3
	v_cndmask_b32_e32 v13, 0, v13, vcc
	v_cndmask_b32_e32 v12, 7, v12, vcc
	v_cmp_eq_u32_e32 vcc, 0, v3
	v_min_i32_e32 v3, 15, v3
	v_cmp_eq_u64_e64 s[28:29], 0, v[12:13]
	v_lshlrev_b32_e32 v3, 3, v3
	v_and_b32_e32 v3, 0xf8, v3
	v_and_or_b32 v3, v12, 7, v3
	s_and_b64 s[28:29], vcc, s[28:29]
	v_cndmask_b32_e64 v3, v3, 0, s[28:29]
	v_or_b32_e32 v44, v3, v0
.LBB6_19067:                            ;   in Loop: Header=BB6_16537 Depth=3
	s_or_b64 exec, exec, s[36:37]
                                        ; implicit-def: $vgpr0
.LBB6_19068:                            ;   in Loop: Header=BB6_16537 Depth=3
	s_andn2_saveexec_b64 s[28:29], s[34:35]
; %bb.19069:                            ;   in Loop: Header=BB6_16537 Depth=3
	v_or_b32_e32 v44, 0x7e, v0
; %bb.19070:                            ;   in Loop: Header=BB6_16537 Depth=3
	s_or_b64 exec, exec, s[28:29]
                                        ; implicit-def: $vgpr3
.LBB6_19071:                            ;   in Loop: Header=BB6_16537 Depth=3
	s_andn2_saveexec_b64 s[28:29], s[30:31]
; %bb.19072:                            ;   in Loop: Header=BB6_16537 Depth=3
	v_or_b32_sdwa v44, v3, s86 dst_sel:DWORD dst_unused:UNUSED_PAD src0_sel:BYTE_3 src1_sel:DWORD
; %bb.19073:                            ;   in Loop: Header=BB6_16537 Depth=3
	s_or_b64 exec, exec, s[28:29]
	buffer_load_dword v0, off, s[0:3], s33 offset:168 ; 4-byte Folded Reload
	buffer_load_dword v3, off, s[0:3], s33 offset:188 ; 4-byte Folded Reload
	;; [unrolled: 1-line block ×3, first 2 shown]
	v_mov_b32_e32 v13, v51
	v_cmp_ne_u32_e32 vcc, 0, v6
	s_waitcnt vmcnt(2)
	v_lshl_or_b32 v0, v0, 8, v6
	s_waitcnt vmcnt(1)
	v_lshlrev_b32_e32 v3, 16, v3
	s_waitcnt vmcnt(0)
	v_lshlrev_b32_e32 v5, 24, v5
	v_or3_b32 v12, v3, v5, v0
	v_mov_b32_e32 v3, 0
	v_mov_b32_e32 v5, 0
	s_and_saveexec_b64 s[28:29], vcc
	s_cbranch_execz .LBB6_19079
; %bb.19074:                            ;   in Loop: Header=BB6_16537 Depth=3
	v_cmp_ne_u32_e32 vcc, s96, v6
	v_bfrev_b32_e32 v5, 1
	s_and_saveexec_b64 s[30:31], vcc
	s_cbranch_execz .LBB6_19078
; %bb.19075:                            ;   in Loop: Header=BB6_16537 Depth=3
	v_and_b32_e32 v16, 0x7f, v6
	v_cmp_ne_u32_e32 vcc, s86, v16
	v_mov_b32_e32 v5, 0x7f800001
	s_and_saveexec_b64 s[34:35], vcc
	s_cbranch_execz .LBB6_19077
; %bb.19076:                            ;   in Loop: Header=BB6_16537 Depth=3
	v_and_b32_e32 v5, 7, v6
	v_ffbh_u32_e32 v5, v5
	v_min_u32_e32 v5, 32, v5
	v_lshrrev_b32_e32 v6, 3, v16
	v_cmp_gt_u32_e32 vcc, 8, v16
	v_subrev_u32_e32 v16, 28, v5
	v_sub_u32_e32 v5, 29, v5
	v_cndmask_b32_e32 v17, v6, v5, vcc
	v_cndmask_b32_e32 v5, 0, v16, vcc
	v_lshlrev_b64 v[5:6], v5, v[12:13]
	v_lshlrev_b32_e32 v6, 24, v12
	v_lshlrev_b32_e32 v5, 20, v5
	v_bfrev_b32_e32 v13, 60
	v_and_b32_e32 v5, 0x700000, v5
	v_and_b32_e32 v6, 0x80000000, v6
	v_lshl_add_u32 v13, v17, 23, v13
	v_or3_b32 v5, v6, v13, v5
.LBB6_19077:                            ;   in Loop: Header=BB6_16537 Depth=3
	s_or_b64 exec, exec, s[34:35]
.LBB6_19078:                            ;   in Loop: Header=BB6_16537 Depth=3
	s_or_b64 exec, exec, s[30:31]
.LBB6_19079:                            ;   in Loop: Header=BB6_16537 Depth=3
	s_or_b64 exec, exec, s[28:29]
	v_cmp_ne_u16_sdwa vcc, v14, v51 src0_sel:BYTE_0 src1_sel:DWORD
	s_and_saveexec_b64 s[28:29], vcc
	s_cbranch_execz .LBB6_19085
; %bb.19080:                            ;   in Loop: Header=BB6_16537 Depth=3
	v_cmp_ne_u16_sdwa vcc, v14, s96 src0_sel:BYTE_0 src1_sel:DWORD
	v_bfrev_b32_e32 v3, 1
	s_and_saveexec_b64 s[30:31], vcc
	s_cbranch_execz .LBB6_19084
; %bb.19081:                            ;   in Loop: Header=BB6_16537 Depth=3
	v_and_b32_e32 v6, 0x7f, v14
	v_cmp_ne_u32_e32 vcc, s86, v6
	v_mov_b32_e32 v3, 0x7f800001
	s_and_saveexec_b64 s[34:35], vcc
	s_cbranch_execz .LBB6_19083
; %bb.19082:                            ;   in Loop: Header=BB6_16537 Depth=3
	v_and_b32_e32 v3, 7, v14
	v_ffbh_u32_e32 v3, v3
	v_min_u32_e32 v3, 32, v3
	v_lshrrev_b32_e32 v13, 3, v6
	v_cmp_gt_u32_e32 vcc, 8, v6
	v_subrev_u32_e32 v6, 28, v3
	v_cndmask_b32_e32 v6, 0, v6, vcc
	v_lshlrev_b64 v[16:17], v6, v[14:15]
	v_sub_u32_e32 v3, 29, v3
	v_cndmask_b32_e32 v3, v13, v3, vcc
	v_lshlrev_b32_e32 v6, 20, v16
	v_lshlrev_b32_e32 v13, 24, v14
	v_bfrev_b32_e32 v16, 60
	v_and_b32_e32 v6, 0x700000, v6
	v_and_b32_e32 v13, 0x80000000, v13
	v_lshl_add_u32 v3, v3, 23, v16
	v_or3_b32 v3, v13, v3, v6
.LBB6_19083:                            ;   in Loop: Header=BB6_16537 Depth=3
	s_or_b64 exec, exec, s[34:35]
.LBB6_19084:                            ;   in Loop: Header=BB6_16537 Depth=3
	s_or_b64 exec, exec, s[30:31]
.LBB6_19085:                            ;   in Loop: Header=BB6_16537 Depth=3
	s_or_b64 exec, exec, s[28:29]
	v_add_f32_e32 v5, v5, v3
	v_and_b32_e32 v16, 0x7f800000, v5
	v_mov_b32_e32 v17, v51
	v_cmp_ne_u64_e32 vcc, s[76:77], v[16:17]
                                        ; implicit-def: $vgpr6
	s_and_saveexec_b64 s[28:29], vcc
	s_xor_b64 s[30:31], exec, s[28:29]
	s_cbranch_execz .LBB6_19099
; %bb.19086:                            ;   in Loop: Header=BB6_16537 Depth=3
	v_and_b32_e32 v16, 0x7fffffff, v5
	v_mov_b32_e32 v17, v51
	v_cmp_gt_u64_e32 vcc, s[78:79], v[16:17]
	v_and_b32_sdwa v3, v5, s96 dst_sel:DWORD dst_unused:UNUSED_PAD src0_sel:BYTE_3 src1_sel:DWORD
                                        ; implicit-def: $vgpr6
	s_and_saveexec_b64 s[28:29], vcc
	s_xor_b64 s[34:35], exec, s[28:29]
	s_cbranch_execz .LBB6_19096
; %bb.19087:                            ;   in Loop: Header=BB6_16537 Depth=3
	v_mov_b32_e32 v6, 0
	v_cmp_ne_u32_e32 vcc, 0, v5
	s_and_saveexec_b64 s[36:37], vcc
	s_cbranch_execz .LBB6_19095
; %bb.19088:                            ;   in Loop: Header=BB6_16537 Depth=3
	v_and_b32_e32 v13, 0x7fffff, v5
	v_bfe_u32 v5, v5, 23, 8
	v_cmp_gt_u32_e64 s[28:29], s97, v5
	v_sub_u32_e32 v6, 0x79, v5
	v_cmp_eq_u32_e32 vcc, 0, v5
	v_cndmask_b32_e64 v6, 0, v6, s[28:29]
	v_mov_b32_e32 v17, 0x78
	v_or_b32_e32 v16, 0x800000, v13
	v_cndmask_b32_e32 v6, v6, v17, vcc
	v_cndmask_b32_e32 v16, v16, v13, vcc
	v_add_u32_e32 v13, 20, v6
	v_lshlrev_b64 v[24:25], v13, -1
	v_mov_b32_e32 v17, v51
	v_add_u32_e32 v13, 19, v6
	v_bfi_b32 v24, v24, 0, v16
	v_lshlrev_b64 v[52:53], v13, 1
	v_lshrrev_b64 v[16:17], v6, v[16:17]
	v_bfi_b32 v25, v25, 0, 0
	v_cmp_eq_u64_e64 s[28:29], v[24:25], v[52:53]
	v_mov_b32_e32 v18, v17
	v_mov_b32_e32 v17, v16
	s_and_saveexec_b64 s[38:39], s[28:29]
; %bb.19089:                            ;   in Loop: Header=BB6_16537 Depth=3
	v_bfe_u32 v13, v16, 20, 1
	v_add_co_u32_e64 v13, s[28:29], v16, v13
	v_add_co_u32_e64 v17, s[28:29], -1, v13
; %bb.19090:                            ;   in Loop: Header=BB6_16537 Depth=3
	s_or_b64 exec, exec, s[38:39]
	v_add_u32_e32 v5, 0xffffff81, v5
	v_mov_b32_e32 v13, 0xffffff82
	v_cndmask_b32_e32 v5, v5, v13, vcc
	v_lshrrev_b32_e32 v13, 23, v16
	v_add3_u32 v13, v6, v5, v13
	v_add_u32_e32 v6, 6, v13
	v_and_b32_e32 v5, 0xfffff, v17
	v_add_u32_e32 v16, v5, v16
	v_mov_b32_e32 v17, v51
	v_cmp_ne_u32_e32 vcc, 0, v6
                                        ; implicit-def: $vgpr5
	s_and_saveexec_b64 s[28:29], vcc
	s_xor_b64 s[28:29], exec, s[28:29]
; %bb.19091:                            ;   in Loop: Header=BB6_16537 Depth=3
	v_cmp_lt_u64_e32 vcc, s[88:89], v[16:17]
	v_add_u32_e32 v5, 7, v13
	v_cndmask_b32_e32 v5, v6, v5, vcc
	v_cndmask_b32_e64 v6, 0, 1, vcc
	v_lshrrev_b64 v[16:17], v6, v[16:17]
; %bb.19092:                            ;   in Loop: Header=BB6_16537 Depth=3
	s_andn2_saveexec_b64 s[28:29], s[28:29]
; %bb.19093:                            ;   in Loop: Header=BB6_16537 Depth=3
	v_bfe_u32 v5, v16, 23, 1
; %bb.19094:                            ;   in Loop: Header=BB6_16537 Depth=3
	s_or_b64 exec, exec, s[28:29]
	v_lshrrev_b64 v[16:17], 20, v[16:17]
	v_cmp_gt_i32_e32 vcc, 16, v5
	v_cndmask_b32_e32 v17, 0, v17, vcc
	v_cndmask_b32_e32 v16, 7, v16, vcc
	v_cmp_eq_u32_e32 vcc, 0, v5
	v_min_i32_e32 v5, 15, v5
	v_cmp_eq_u64_e64 s[28:29], 0, v[16:17]
	v_lshlrev_b32_e32 v5, 3, v5
	v_and_b32_e32 v5, 0xf8, v5
	v_and_or_b32 v5, v16, 7, v5
	s_and_b64 s[28:29], vcc, s[28:29]
	v_cndmask_b32_e64 v5, v5, 0, s[28:29]
	v_or_b32_e32 v6, v5, v3
.LBB6_19095:                            ;   in Loop: Header=BB6_16537 Depth=3
	s_or_b64 exec, exec, s[36:37]
                                        ; implicit-def: $vgpr3
.LBB6_19096:                            ;   in Loop: Header=BB6_16537 Depth=3
	s_andn2_saveexec_b64 s[28:29], s[34:35]
; %bb.19097:                            ;   in Loop: Header=BB6_16537 Depth=3
	v_or_b32_e32 v6, 0x7e, v3
; %bb.19098:                            ;   in Loop: Header=BB6_16537 Depth=3
	s_or_b64 exec, exec, s[28:29]
                                        ; implicit-def: $vgpr5
.LBB6_19099:                            ;   in Loop: Header=BB6_16537 Depth=3
	s_andn2_saveexec_b64 s[28:29], s[30:31]
; %bb.19100:                            ;   in Loop: Header=BB6_16537 Depth=3
	v_or_b32_sdwa v6, v5, s86 dst_sel:DWORD dst_unused:UNUSED_PAD src0_sel:BYTE_3 src1_sel:DWORD
; %bb.19101:                            ;   in Loop: Header=BB6_16537 Depth=3
	s_or_b64 exec, exec, s[28:29]
	v_lshrrev_b16_e32 v13, 8, v0
	v_cmp_ne_u16_e32 vcc, 0, v13
	v_mov_b32_e32 v3, 0
	v_mov_b32_e32 v5, 0
	s_and_saveexec_b64 s[28:29], vcc
	s_cbranch_execz .LBB6_19107
; %bb.19102:                            ;   in Loop: Header=BB6_16537 Depth=3
	v_cmp_ne_u16_e32 vcc, s96, v13
	v_bfrev_b32_e32 v5, 1
	s_and_saveexec_b64 s[30:31], vcc
	s_cbranch_execz .LBB6_19106
; %bb.19103:                            ;   in Loop: Header=BB6_16537 Depth=3
	v_and_b32_e32 v16, 0x7f, v13
	v_cmp_ne_u32_e32 vcc, s86, v16
	v_mov_b32_e32 v5, 0x7f800001
	s_and_saveexec_b64 s[34:35], vcc
	s_cbranch_execz .LBB6_19105
; %bb.19104:                            ;   in Loop: Header=BB6_16537 Depth=3
	v_and_b32_e32 v5, 7, v13
	v_lshrrev_b32_e32 v18, 3, v16
	v_cmp_gt_u32_e32 vcc, 8, v16
	v_ffbh_u32_e32 v16, v5
	v_min_u32_e32 v24, 32, v16
	v_subrev_u32_e32 v16, 28, v24
	v_lshlrev_b64 v[16:17], v16, v[13:14]
	v_sub_u32_e32 v13, 29, v24
	v_and_b32_e32 v16, 7, v16
	v_cndmask_b32_e32 v13, v18, v13, vcc
	v_cndmask_b32_e32 v5, v5, v16, vcc
	v_lshlrev_b32_e32 v0, 16, v0
	v_bfrev_b32_e32 v16, 60
	v_lshlrev_b32_e32 v5, 20, v5
	v_and_b32_e32 v0, 0x80000000, v0
	v_lshl_add_u32 v13, v13, 23, v16
	v_or3_b32 v5, v0, v13, v5
.LBB6_19105:                            ;   in Loop: Header=BB6_16537 Depth=3
	s_or_b64 exec, exec, s[34:35]
.LBB6_19106:                            ;   in Loop: Header=BB6_16537 Depth=3
	s_or_b64 exec, exec, s[30:31]
.LBB6_19107:                            ;   in Loop: Header=BB6_16537 Depth=3
	s_or_b64 exec, exec, s[28:29]
	v_lshrrev_b16_e32 v13, 8, v14
	v_cmp_ne_u16_e32 vcc, 0, v13
	s_and_saveexec_b64 s[28:29], vcc
	s_cbranch_execz .LBB6_19113
; %bb.19108:                            ;   in Loop: Header=BB6_16537 Depth=3
	v_cmp_ne_u16_e32 vcc, s96, v13
	v_bfrev_b32_e32 v3, 1
	s_and_saveexec_b64 s[30:31], vcc
	s_cbranch_execz .LBB6_19112
; %bb.19109:                            ;   in Loop: Header=BB6_16537 Depth=3
	v_and_b32_e32 v0, 0x7f, v13
	v_cmp_ne_u32_e32 vcc, s86, v0
	v_mov_b32_e32 v3, 0x7f800001
	s_and_saveexec_b64 s[34:35], vcc
	s_cbranch_execz .LBB6_19111
; %bb.19110:                            ;   in Loop: Header=BB6_16537 Depth=3
	v_and_b32_e32 v3, 7, v13
	v_lshrrev_b32_e32 v18, 3, v0
	v_cmp_gt_u32_e32 vcc, 8, v0
	v_ffbh_u32_e32 v0, v3
	v_min_u32_e32 v0, 32, v0
	v_subrev_u32_e32 v16, 28, v0
	v_lshlrev_b64 v[16:17], v16, v[13:14]
	v_sub_u32_e32 v0, 29, v0
	v_and_b32_e32 v13, 7, v16
	v_cndmask_b32_e32 v0, v18, v0, vcc
	v_cndmask_b32_e32 v3, v3, v13, vcc
	v_lshlrev_b32_e32 v13, 16, v14
	v_bfrev_b32_e32 v16, 60
	v_lshlrev_b32_e32 v3, 20, v3
	v_and_b32_e32 v13, 0x80000000, v13
	v_lshl_add_u32 v0, v0, 23, v16
	v_or3_b32 v3, v13, v0, v3
.LBB6_19111:                            ;   in Loop: Header=BB6_16537 Depth=3
	s_or_b64 exec, exec, s[34:35]
.LBB6_19112:                            ;   in Loop: Header=BB6_16537 Depth=3
	s_or_b64 exec, exec, s[30:31]
.LBB6_19113:                            ;   in Loop: Header=BB6_16537 Depth=3
	s_or_b64 exec, exec, s[28:29]
	v_add_f32_e32 v3, v5, v3
	v_and_b32_e32 v16, 0x7f800000, v3
	v_mov_b32_e32 v17, v51
	v_cmp_ne_u64_e32 vcc, s[76:77], v[16:17]
                                        ; implicit-def: $vgpr45
	s_and_saveexec_b64 s[28:29], vcc
	s_xor_b64 s[30:31], exec, s[28:29]
	s_cbranch_execz .LBB6_19127
; %bb.19114:                            ;   in Loop: Header=BB6_16537 Depth=3
	v_and_b32_e32 v16, 0x7fffffff, v3
	v_mov_b32_e32 v17, v51
	v_cmp_gt_u64_e32 vcc, s[78:79], v[16:17]
	v_and_b32_sdwa v0, v3, s96 dst_sel:DWORD dst_unused:UNUSED_PAD src0_sel:BYTE_3 src1_sel:DWORD
                                        ; implicit-def: $vgpr45
	s_and_saveexec_b64 s[28:29], vcc
	s_xor_b64 s[34:35], exec, s[28:29]
	s_cbranch_execz .LBB6_19124
; %bb.19115:                            ;   in Loop: Header=BB6_16537 Depth=3
	v_mov_b32_e32 v45, 0
	v_cmp_ne_u32_e32 vcc, 0, v3
	s_and_saveexec_b64 s[36:37], vcc
	s_cbranch_execz .LBB6_19123
; %bb.19116:                            ;   in Loop: Header=BB6_16537 Depth=3
	v_and_b32_e32 v13, 0x7fffff, v3
	v_bfe_u32 v3, v3, 23, 8
	v_cmp_gt_u32_e64 s[28:29], s97, v3
	v_sub_u32_e32 v5, 0x79, v3
	v_cmp_eq_u32_e32 vcc, 0, v3
	v_cndmask_b32_e64 v5, 0, v5, s[28:29]
	v_mov_b32_e32 v17, 0x78
	v_or_b32_e32 v16, 0x800000, v13
	v_cndmask_b32_e32 v5, v5, v17, vcc
	v_cndmask_b32_e32 v16, v16, v13, vcc
	v_add_u32_e32 v13, 20, v5
	v_lshlrev_b64 v[24:25], v13, -1
	v_mov_b32_e32 v17, v51
	v_add_u32_e32 v13, 19, v5
	v_bfi_b32 v24, v24, 0, v16
	v_lshlrev_b64 v[52:53], v13, 1
	v_lshrrev_b64 v[16:17], v5, v[16:17]
	v_bfi_b32 v25, v25, 0, 0
	v_cmp_eq_u64_e64 s[28:29], v[24:25], v[52:53]
	v_mov_b32_e32 v18, v17
	v_mov_b32_e32 v17, v16
	s_and_saveexec_b64 s[38:39], s[28:29]
; %bb.19117:                            ;   in Loop: Header=BB6_16537 Depth=3
	v_bfe_u32 v13, v16, 20, 1
	v_add_co_u32_e64 v13, s[28:29], v16, v13
	v_add_co_u32_e64 v17, s[28:29], -1, v13
; %bb.19118:                            ;   in Loop: Header=BB6_16537 Depth=3
	s_or_b64 exec, exec, s[38:39]
	v_add_u32_e32 v3, 0xffffff81, v3
	v_mov_b32_e32 v13, 0xffffff82
	v_cndmask_b32_e32 v3, v3, v13, vcc
	v_lshrrev_b32_e32 v13, 23, v16
	v_add3_u32 v13, v5, v3, v13
	v_add_u32_e32 v5, 6, v13
	v_and_b32_e32 v3, 0xfffff, v17
	v_add_u32_e32 v16, v3, v16
	v_mov_b32_e32 v17, v51
	v_cmp_ne_u32_e32 vcc, 0, v5
                                        ; implicit-def: $vgpr3
	s_and_saveexec_b64 s[28:29], vcc
	s_xor_b64 s[28:29], exec, s[28:29]
; %bb.19119:                            ;   in Loop: Header=BB6_16537 Depth=3
	v_cmp_lt_u64_e32 vcc, s[88:89], v[16:17]
	v_add_u32_e32 v3, 7, v13
	v_cndmask_b32_e32 v3, v5, v3, vcc
	v_cndmask_b32_e64 v5, 0, 1, vcc
	v_lshrrev_b64 v[16:17], v5, v[16:17]
; %bb.19120:                            ;   in Loop: Header=BB6_16537 Depth=3
	s_andn2_saveexec_b64 s[28:29], s[28:29]
; %bb.19121:                            ;   in Loop: Header=BB6_16537 Depth=3
	v_bfe_u32 v3, v16, 23, 1
; %bb.19122:                            ;   in Loop: Header=BB6_16537 Depth=3
	s_or_b64 exec, exec, s[28:29]
	v_lshrrev_b64 v[16:17], 20, v[16:17]
	v_cmp_gt_i32_e32 vcc, 16, v3
	v_cndmask_b32_e32 v17, 0, v17, vcc
	v_cndmask_b32_e32 v16, 7, v16, vcc
	v_cmp_eq_u32_e32 vcc, 0, v3
	v_min_i32_e32 v3, 15, v3
	v_cmp_eq_u64_e64 s[28:29], 0, v[16:17]
	v_lshlrev_b32_e32 v3, 3, v3
	v_and_b32_e32 v3, 0xf8, v3
	v_and_or_b32 v3, v16, 7, v3
	s_and_b64 s[28:29], vcc, s[28:29]
	v_cndmask_b32_e64 v3, v3, 0, s[28:29]
	v_or_b32_e32 v45, v3, v0
.LBB6_19123:                            ;   in Loop: Header=BB6_16537 Depth=3
	s_or_b64 exec, exec, s[36:37]
                                        ; implicit-def: $vgpr0
.LBB6_19124:                            ;   in Loop: Header=BB6_16537 Depth=3
	s_andn2_saveexec_b64 s[28:29], s[34:35]
; %bb.19125:                            ;   in Loop: Header=BB6_16537 Depth=3
	v_or_b32_e32 v45, 0x7e, v0
; %bb.19126:                            ;   in Loop: Header=BB6_16537 Depth=3
	s_or_b64 exec, exec, s[28:29]
                                        ; implicit-def: $vgpr3
.LBB6_19127:                            ;   in Loop: Header=BB6_16537 Depth=3
	s_andn2_saveexec_b64 s[28:29], s[30:31]
; %bb.19128:                            ;   in Loop: Header=BB6_16537 Depth=3
	v_or_b32_sdwa v45, v3, s86 dst_sel:DWORD dst_unused:UNUSED_PAD src0_sel:BYTE_3 src1_sel:DWORD
; %bb.19129:                            ;   in Loop: Header=BB6_16537 Depth=3
	s_or_b64 exec, exec, s[28:29]
	v_lshrrev_b32_e32 v13, 16, v12
	v_cmp_ne_u16_sdwa vcc, v13, v51 src0_sel:BYTE_0 src1_sel:DWORD
	v_mov_b32_e32 v0, 0
	v_mov_b32_e32 v3, 0
	s_and_saveexec_b64 s[28:29], vcc
	s_cbranch_execz .LBB6_19135
; %bb.19130:                            ;   in Loop: Header=BB6_16537 Depth=3
	v_cmp_ne_u16_sdwa vcc, v13, s96 src0_sel:BYTE_0 src1_sel:DWORD
	v_bfrev_b32_e32 v3, 1
	s_and_saveexec_b64 s[30:31], vcc
	s_cbranch_execz .LBB6_19134
; %bb.19131:                            ;   in Loop: Header=BB6_16537 Depth=3
	v_bfe_u32 v5, v12, 16, 7
	v_cmp_ne_u32_e32 vcc, s86, v5
	v_mov_b32_e32 v3, 0x7f800001
	s_and_saveexec_b64 s[34:35], vcc
	s_cbranch_execz .LBB6_19133
; %bb.19132:                            ;   in Loop: Header=BB6_16537 Depth=3
	v_and_b32_e32 v3, 7, v13
	v_lshrrev_b32_e32 v18, 3, v5
	v_cmp_gt_u32_e32 vcc, 8, v5
	v_ffbh_u32_e32 v5, v3
	v_min_u32_e32 v5, 32, v5
	v_subrev_u32_e32 v16, 28, v5
	v_lshlrev_b64 v[16:17], v16, v[13:14]
	v_sub_u32_e32 v5, 29, v5
	v_and_b32_e32 v16, 7, v16
	v_cndmask_b32_e32 v5, v18, v5, vcc
	v_cndmask_b32_e32 v3, v3, v16, vcc
	v_lshlrev_b32_e32 v13, 24, v13
	v_bfrev_b32_e32 v16, 60
	v_lshlrev_b32_e32 v3, 20, v3
	v_and_b32_e32 v13, 0x80000000, v13
	v_lshl_add_u32 v5, v5, 23, v16
	v_or3_b32 v3, v13, v5, v3
.LBB6_19133:                            ;   in Loop: Header=BB6_16537 Depth=3
	s_or_b64 exec, exec, s[34:35]
.LBB6_19134:                            ;   in Loop: Header=BB6_16537 Depth=3
	s_or_b64 exec, exec, s[30:31]
.LBB6_19135:                            ;   in Loop: Header=BB6_16537 Depth=3
	s_or_b64 exec, exec, s[28:29]
	v_lshrrev_b32_e32 v13, 16, v14
	v_cmp_ne_u16_sdwa vcc, v13, v51 src0_sel:BYTE_0 src1_sel:DWORD
	s_and_saveexec_b64 s[28:29], vcc
	s_cbranch_execz .LBB6_19141
; %bb.19136:                            ;   in Loop: Header=BB6_16537 Depth=3
	v_cmp_ne_u16_sdwa vcc, v13, s96 src0_sel:BYTE_0 src1_sel:DWORD
	v_bfrev_b32_e32 v0, 1
	s_and_saveexec_b64 s[30:31], vcc
	s_cbranch_execz .LBB6_19140
; %bb.19137:                            ;   in Loop: Header=BB6_16537 Depth=3
	v_bfe_u32 v5, v14, 16, 7
	v_cmp_ne_u32_e32 vcc, s86, v5
	v_mov_b32_e32 v0, 0x7f800001
	s_and_saveexec_b64 s[34:35], vcc
	s_cbranch_execz .LBB6_19139
; %bb.19138:                            ;   in Loop: Header=BB6_16537 Depth=3
	v_and_b32_e32 v0, 7, v13
	v_lshrrev_b32_e32 v18, 3, v5
	v_cmp_gt_u32_e32 vcc, 8, v5
	v_ffbh_u32_e32 v5, v0
	v_min_u32_e32 v5, 32, v5
	v_subrev_u32_e32 v16, 28, v5
	v_lshlrev_b64 v[16:17], v16, v[13:14]
	v_sub_u32_e32 v5, 29, v5
	v_and_b32_e32 v13, 7, v16
	v_cndmask_b32_e32 v5, v18, v5, vcc
	v_cndmask_b32_e32 v0, v0, v13, vcc
	v_lshlrev_b32_e32 v13, 8, v14
	v_bfrev_b32_e32 v16, 60
	v_lshlrev_b32_e32 v0, 20, v0
	v_and_b32_e32 v13, 0x80000000, v13
	v_lshl_add_u32 v5, v5, 23, v16
	v_or3_b32 v0, v13, v5, v0
.LBB6_19139:                            ;   in Loop: Header=BB6_16537 Depth=3
	s_or_b64 exec, exec, s[34:35]
.LBB6_19140:                            ;   in Loop: Header=BB6_16537 Depth=3
	s_or_b64 exec, exec, s[30:31]
.LBB6_19141:                            ;   in Loop: Header=BB6_16537 Depth=3
	s_or_b64 exec, exec, s[28:29]
	v_add_f32_e32 v3, v3, v0
	v_and_b32_e32 v16, 0x7f800000, v3
	v_mov_b32_e32 v17, v51
	v_cmp_ne_u64_e32 vcc, s[76:77], v[16:17]
                                        ; implicit-def: $vgpr46
	s_and_saveexec_b64 s[28:29], vcc
	s_xor_b64 s[30:31], exec, s[28:29]
	s_cbranch_execz .LBB6_19155
; %bb.19142:                            ;   in Loop: Header=BB6_16537 Depth=3
	v_and_b32_e32 v16, 0x7fffffff, v3
	v_mov_b32_e32 v17, v51
	v_cmp_gt_u64_e32 vcc, s[78:79], v[16:17]
	v_and_b32_sdwa v0, v3, s96 dst_sel:DWORD dst_unused:UNUSED_PAD src0_sel:BYTE_3 src1_sel:DWORD
                                        ; implicit-def: $vgpr46
	s_and_saveexec_b64 s[28:29], vcc
	s_xor_b64 s[34:35], exec, s[28:29]
	s_cbranch_execz .LBB6_19152
; %bb.19143:                            ;   in Loop: Header=BB6_16537 Depth=3
	v_mov_b32_e32 v46, 0
	v_cmp_ne_u32_e32 vcc, 0, v3
	s_and_saveexec_b64 s[36:37], vcc
	s_cbranch_execz .LBB6_19151
; %bb.19144:                            ;   in Loop: Header=BB6_16537 Depth=3
	v_and_b32_e32 v13, 0x7fffff, v3
	v_bfe_u32 v3, v3, 23, 8
	v_cmp_gt_u32_e64 s[28:29], s97, v3
	v_sub_u32_e32 v5, 0x79, v3
	v_cmp_eq_u32_e32 vcc, 0, v3
	v_cndmask_b32_e64 v5, 0, v5, s[28:29]
	v_mov_b32_e32 v17, 0x78
	v_or_b32_e32 v16, 0x800000, v13
	v_cndmask_b32_e32 v5, v5, v17, vcc
	v_cndmask_b32_e32 v16, v16, v13, vcc
	v_add_u32_e32 v13, 20, v5
	v_lshlrev_b64 v[24:25], v13, -1
	v_mov_b32_e32 v17, v51
	v_add_u32_e32 v13, 19, v5
	v_bfi_b32 v24, v24, 0, v16
	v_lshlrev_b64 v[52:53], v13, 1
	v_lshrrev_b64 v[16:17], v5, v[16:17]
	v_bfi_b32 v25, v25, 0, 0
	v_cmp_eq_u64_e64 s[28:29], v[24:25], v[52:53]
	v_mov_b32_e32 v18, v17
	v_mov_b32_e32 v17, v16
	s_and_saveexec_b64 s[38:39], s[28:29]
; %bb.19145:                            ;   in Loop: Header=BB6_16537 Depth=3
	v_bfe_u32 v13, v16, 20, 1
	v_add_co_u32_e64 v13, s[28:29], v16, v13
	v_add_co_u32_e64 v17, s[28:29], -1, v13
; %bb.19146:                            ;   in Loop: Header=BB6_16537 Depth=3
	s_or_b64 exec, exec, s[38:39]
	v_add_u32_e32 v3, 0xffffff81, v3
	v_mov_b32_e32 v13, 0xffffff82
	v_cndmask_b32_e32 v3, v3, v13, vcc
	v_lshrrev_b32_e32 v13, 23, v16
	v_add3_u32 v13, v5, v3, v13
	v_add_u32_e32 v5, 6, v13
	v_and_b32_e32 v3, 0xfffff, v17
	v_add_u32_e32 v16, v3, v16
	v_mov_b32_e32 v17, v51
	v_cmp_ne_u32_e32 vcc, 0, v5
                                        ; implicit-def: $vgpr3
	s_and_saveexec_b64 s[28:29], vcc
	s_xor_b64 s[28:29], exec, s[28:29]
; %bb.19147:                            ;   in Loop: Header=BB6_16537 Depth=3
	v_cmp_lt_u64_e32 vcc, s[88:89], v[16:17]
	v_add_u32_e32 v3, 7, v13
	v_cndmask_b32_e32 v3, v5, v3, vcc
	v_cndmask_b32_e64 v5, 0, 1, vcc
	v_lshrrev_b64 v[16:17], v5, v[16:17]
; %bb.19148:                            ;   in Loop: Header=BB6_16537 Depth=3
	s_andn2_saveexec_b64 s[28:29], s[28:29]
; %bb.19149:                            ;   in Loop: Header=BB6_16537 Depth=3
	v_bfe_u32 v3, v16, 23, 1
; %bb.19150:                            ;   in Loop: Header=BB6_16537 Depth=3
	s_or_b64 exec, exec, s[28:29]
	v_lshrrev_b64 v[16:17], 20, v[16:17]
	v_cmp_gt_i32_e32 vcc, 16, v3
	v_cndmask_b32_e32 v17, 0, v17, vcc
	v_cndmask_b32_e32 v16, 7, v16, vcc
	v_cmp_eq_u32_e32 vcc, 0, v3
	v_min_i32_e32 v3, 15, v3
	v_cmp_eq_u64_e64 s[28:29], 0, v[16:17]
	v_lshlrev_b32_e32 v3, 3, v3
	v_and_b32_e32 v3, 0xf8, v3
	v_and_or_b32 v3, v16, 7, v3
	s_and_b64 s[28:29], vcc, s[28:29]
	v_cndmask_b32_e64 v3, v3, 0, s[28:29]
	v_or_b32_e32 v46, v3, v0
.LBB6_19151:                            ;   in Loop: Header=BB6_16537 Depth=3
	s_or_b64 exec, exec, s[36:37]
                                        ; implicit-def: $vgpr0
.LBB6_19152:                            ;   in Loop: Header=BB6_16537 Depth=3
	s_andn2_saveexec_b64 s[28:29], s[34:35]
; %bb.19153:                            ;   in Loop: Header=BB6_16537 Depth=3
	v_or_b32_e32 v46, 0x7e, v0
; %bb.19154:                            ;   in Loop: Header=BB6_16537 Depth=3
	s_or_b64 exec, exec, s[28:29]
                                        ; implicit-def: $vgpr3
.LBB6_19155:                            ;   in Loop: Header=BB6_16537 Depth=3
	s_andn2_saveexec_b64 s[28:29], s[30:31]
; %bb.19156:                            ;   in Loop: Header=BB6_16537 Depth=3
	v_or_b32_sdwa v46, v3, s86 dst_sel:DWORD dst_unused:UNUSED_PAD src0_sel:BYTE_3 src1_sel:DWORD
; %bb.19157:                            ;   in Loop: Header=BB6_16537 Depth=3
	s_or_b64 exec, exec, s[28:29]
	v_cmp_lt_u32_e32 vcc, s57, v12
	v_mov_b32_e32 v0, 0
	v_mov_b32_e32 v3, 0
	s_and_saveexec_b64 s[28:29], vcc
	s_cbranch_execz .LBB6_19163
; %bb.19158:                            ;   in Loop: Header=BB6_16537 Depth=3
	v_lshrrev_b32_e32 v13, 24, v12
	v_cmp_ne_u32_sdwa vcc, v12, s96 src0_sel:BYTE_3 src1_sel:DWORD
	v_bfrev_b32_e32 v3, 1
	s_and_saveexec_b64 s[30:31], vcc
	s_cbranch_execz .LBB6_19162
; %bb.19159:                            ;   in Loop: Header=BB6_16537 Depth=3
	v_bfe_u32 v5, v12, 24, 7
	v_cmp_ne_u32_e32 vcc, s86, v5
	v_mov_b32_e32 v3, 0x7f800001
	s_and_saveexec_b64 s[34:35], vcc
	s_cbranch_execz .LBB6_19161
; %bb.19160:                            ;   in Loop: Header=BB6_16537 Depth=3
	v_and_b32_e32 v3, 7, v13
	v_lshrrev_b32_e32 v18, 3, v5
	v_cmp_gt_u32_e32 vcc, 8, v5
	v_ffbh_u32_e32 v5, v3
	v_min_u32_e32 v5, 32, v5
	v_subrev_u32_e32 v16, 28, v5
	v_lshlrev_b64 v[16:17], v16, v[13:14]
	v_sub_u32_e32 v5, 29, v5
	v_and_b32_e32 v13, 7, v16
	v_cndmask_b32_e32 v3, v3, v13, vcc
	v_mov_b32_e32 v13, 24
	v_cndmask_b32_e32 v5, v18, v5, vcc
	v_lshlrev_b32_sdwa v12, v13, v12 dst_sel:DWORD dst_unused:UNUSED_PAD src0_sel:DWORD src1_sel:BYTE_3
	v_bfrev_b32_e32 v13, 60
	v_lshlrev_b32_e32 v3, 20, v3
	v_and_b32_e32 v12, 0x80000000, v12
	v_lshl_add_u32 v5, v5, 23, v13
	v_or3_b32 v3, v12, v5, v3
.LBB6_19161:                            ;   in Loop: Header=BB6_16537 Depth=3
	s_or_b64 exec, exec, s[34:35]
.LBB6_19162:                            ;   in Loop: Header=BB6_16537 Depth=3
	s_or_b64 exec, exec, s[30:31]
.LBB6_19163:                            ;   in Loop: Header=BB6_16537 Depth=3
	s_or_b64 exec, exec, s[28:29]
	v_cmp_lt_u32_e32 vcc, s57, v14
	s_and_saveexec_b64 s[28:29], vcc
	s_cbranch_execz .LBB6_19169
; %bb.19164:                            ;   in Loop: Header=BB6_16537 Depth=3
	v_lshrrev_b32_e32 v12, 24, v14
	v_cmp_ne_u32_e32 vcc, s96, v12
	v_bfrev_b32_e32 v0, 1
	s_and_saveexec_b64 s[30:31], vcc
	s_cbranch_execz .LBB6_19168
; %bb.19165:                            ;   in Loop: Header=BB6_16537 Depth=3
	v_bfe_u32 v5, v14, 24, 7
	v_cmp_ne_u32_e32 vcc, s86, v5
	v_mov_b32_e32 v0, 0x7f800001
	s_and_saveexec_b64 s[34:35], vcc
	s_cbranch_execz .LBB6_19167
; %bb.19166:                            ;   in Loop: Header=BB6_16537 Depth=3
	v_and_b32_e32 v0, 7, v12
	v_lshrrev_b32_e32 v13, 3, v5
	v_cmp_gt_u32_e32 vcc, 8, v5
	v_ffbh_u32_e32 v5, v0
	v_min_u32_e32 v5, 32, v5
	v_subrev_u32_e32 v16, 28, v5
	v_lshlrev_b64 v[16:17], v16, v[12:13]
	v_sub_u32_e32 v5, 29, v5
	v_and_b32_e32 v16, 7, v16
	v_cndmask_b32_e32 v5, v13, v5, vcc
	v_cndmask_b32_e32 v0, v0, v16, vcc
	v_lshlrev_b32_e32 v12, 24, v12
	v_bfrev_b32_e32 v13, 60
	v_lshlrev_b32_e32 v0, 20, v0
	v_and_b32_e32 v12, 0x80000000, v12
	v_lshl_add_u32 v5, v5, 23, v13
	v_or3_b32 v0, v12, v5, v0
.LBB6_19167:                            ;   in Loop: Header=BB6_16537 Depth=3
	s_or_b64 exec, exec, s[34:35]
.LBB6_19168:                            ;   in Loop: Header=BB6_16537 Depth=3
	s_or_b64 exec, exec, s[30:31]
.LBB6_19169:                            ;   in Loop: Header=BB6_16537 Depth=3
	s_or_b64 exec, exec, s[28:29]
	v_add_f32_e32 v3, v3, v0
	v_and_b32_e32 v12, 0x7f800000, v3
	v_mov_b32_e32 v13, v51
	v_cmp_ne_u64_e32 vcc, s[76:77], v[12:13]
                                        ; implicit-def: $vgpr47
	s_and_saveexec_b64 s[28:29], vcc
	s_xor_b64 s[30:31], exec, s[28:29]
	s_cbranch_execz .LBB6_19183
; %bb.19170:                            ;   in Loop: Header=BB6_16537 Depth=3
	v_and_b32_e32 v12, 0x7fffffff, v3
	v_mov_b32_e32 v13, v51
	v_cmp_gt_u64_e32 vcc, s[78:79], v[12:13]
	v_and_b32_sdwa v0, v3, s96 dst_sel:DWORD dst_unused:UNUSED_PAD src0_sel:BYTE_3 src1_sel:DWORD
                                        ; implicit-def: $vgpr47
	s_and_saveexec_b64 s[28:29], vcc
	s_xor_b64 s[34:35], exec, s[28:29]
	s_cbranch_execz .LBB6_19180
; %bb.19171:                            ;   in Loop: Header=BB6_16537 Depth=3
	v_mov_b32_e32 v47, 0
	v_cmp_ne_u32_e32 vcc, 0, v3
	s_and_saveexec_b64 s[36:37], vcc
	s_cbranch_execz .LBB6_19179
; %bb.19172:                            ;   in Loop: Header=BB6_16537 Depth=3
	v_and_b32_e32 v12, 0x7fffff, v3
	v_bfe_u32 v3, v3, 23, 8
	v_cmp_gt_u32_e64 s[28:29], s97, v3
	v_sub_u32_e32 v5, 0x79, v3
	v_cmp_eq_u32_e32 vcc, 0, v3
	v_cndmask_b32_e64 v5, 0, v5, s[28:29]
	v_mov_b32_e32 v16, 0x78
	v_cndmask_b32_e32 v5, v5, v16, vcc
	v_add_u32_e32 v16, 20, v5
	v_or_b32_e32 v13, 0x800000, v12
	v_lshlrev_b64 v[16:17], v16, -1
	v_cndmask_b32_e32 v12, v13, v12, vcc
	v_mov_b32_e32 v13, v51
	v_add_u32_e32 v18, 19, v5
	v_bfi_b32 v16, v16, 0, v12
	v_lshlrev_b64 v[24:25], v18, 1
	v_lshrrev_b64 v[12:13], v5, v[12:13]
	v_bfi_b32 v17, v17, 0, 0
	v_cmp_eq_u64_e64 s[28:29], v[16:17], v[24:25]
	v_mov_b32_e32 v17, v13
	v_mov_b32_e32 v16, v12
	s_and_saveexec_b64 s[38:39], s[28:29]
; %bb.19173:                            ;   in Loop: Header=BB6_16537 Depth=3
	v_bfe_u32 v13, v12, 20, 1
	v_add_co_u32_e64 v13, s[28:29], v12, v13
	v_add_co_u32_e64 v16, s[28:29], -1, v13
; %bb.19174:                            ;   in Loop: Header=BB6_16537 Depth=3
	s_or_b64 exec, exec, s[38:39]
	v_add_u32_e32 v3, 0xffffff81, v3
	v_mov_b32_e32 v13, 0xffffff82
	v_cndmask_b32_e32 v3, v3, v13, vcc
	v_lshrrev_b32_e32 v13, 23, v12
	v_add3_u32 v17, v5, v3, v13
	v_add_u32_e32 v5, 6, v17
	v_and_b32_e32 v3, 0xfffff, v16
	v_add_u32_e32 v12, v3, v12
	v_mov_b32_e32 v13, v51
	v_cmp_ne_u32_e32 vcc, 0, v5
                                        ; implicit-def: $vgpr3
	s_and_saveexec_b64 s[28:29], vcc
	s_xor_b64 s[28:29], exec, s[28:29]
; %bb.19175:                            ;   in Loop: Header=BB6_16537 Depth=3
	v_cmp_lt_u64_e32 vcc, s[88:89], v[12:13]
	v_add_u32_e32 v3, 7, v17
	v_cndmask_b32_e32 v3, v5, v3, vcc
	v_cndmask_b32_e64 v5, 0, 1, vcc
	v_lshrrev_b64 v[12:13], v5, v[12:13]
; %bb.19176:                            ;   in Loop: Header=BB6_16537 Depth=3
	s_andn2_saveexec_b64 s[28:29], s[28:29]
; %bb.19177:                            ;   in Loop: Header=BB6_16537 Depth=3
	v_bfe_u32 v3, v12, 23, 1
; %bb.19178:                            ;   in Loop: Header=BB6_16537 Depth=3
	s_or_b64 exec, exec, s[28:29]
	v_lshrrev_b64 v[12:13], 20, v[12:13]
	v_cmp_gt_i32_e32 vcc, 16, v3
	v_cndmask_b32_e32 v13, 0, v13, vcc
	v_cndmask_b32_e32 v12, 7, v12, vcc
	v_cmp_eq_u32_e32 vcc, 0, v3
	v_min_i32_e32 v3, 15, v3
	v_cmp_eq_u64_e64 s[28:29], 0, v[12:13]
	v_lshlrev_b32_e32 v3, 3, v3
	v_and_b32_e32 v3, 0xf8, v3
	v_and_or_b32 v3, v12, 7, v3
	s_and_b64 s[28:29], vcc, s[28:29]
	v_cndmask_b32_e64 v3, v3, 0, s[28:29]
	v_or_b32_e32 v47, v3, v0
.LBB6_19179:                            ;   in Loop: Header=BB6_16537 Depth=3
	s_or_b64 exec, exec, s[36:37]
                                        ; implicit-def: $vgpr0
.LBB6_19180:                            ;   in Loop: Header=BB6_16537 Depth=3
	s_andn2_saveexec_b64 s[28:29], s[34:35]
; %bb.19181:                            ;   in Loop: Header=BB6_16537 Depth=3
	v_or_b32_e32 v47, 0x7e, v0
; %bb.19182:                            ;   in Loop: Header=BB6_16537 Depth=3
	s_or_b64 exec, exec, s[28:29]
                                        ; implicit-def: $vgpr3
.LBB6_19183:                            ;   in Loop: Header=BB6_16537 Depth=3
	s_andn2_saveexec_b64 s[28:29], s[30:31]
; %bb.19184:                            ;   in Loop: Header=BB6_16537 Depth=3
	v_or_b32_sdwa v47, v3, s86 dst_sel:DWORD dst_unused:UNUSED_PAD src0_sel:BYTE_3 src1_sel:DWORD
; %bb.19185:                            ;   in Loop: Header=BB6_16537 Depth=3
	s_or_b64 exec, exec, s[28:29]
	buffer_load_dword v0, off, s[0:3], s33 offset:192 ; 4-byte Folded Reload
	v_mov_b32_e32 v13, v51
	v_cmp_ne_u32_e32 vcc, 0, v57
	s_waitcnt vmcnt(0)
	v_lshlrev_b32_e32 v3, 24, v0
	buffer_load_dword v0, off, s[0:3], s33 offset:176 ; 4-byte Folded Reload
	s_waitcnt vmcnt(0)
	v_lshlrev_b32_e32 v5, 16, v0
	buffer_load_dword v0, off, s[0:3], s33 offset:152 ; 4-byte Folded Reload
	s_waitcnt vmcnt(0)
	v_lshl_or_b32 v0, v0, 8, v57
	v_or3_b32 v12, v5, v3, v0
	v_mov_b32_e32 v5, 0
	v_mov_b32_e32 v3, 0
	s_and_saveexec_b64 s[28:29], vcc
	s_cbranch_execz .LBB6_19191
; %bb.19186:                            ;   in Loop: Header=BB6_16537 Depth=3
	v_cmp_ne_u32_e32 vcc, s96, v57
	v_bfrev_b32_e32 v3, 1
	s_and_saveexec_b64 s[30:31], vcc
	s_cbranch_execz .LBB6_19190
; %bb.19187:                            ;   in Loop: Header=BB6_16537 Depth=3
	v_and_b32_e32 v16, 0x7f, v57
	v_cmp_ne_u32_e32 vcc, s86, v16
	v_mov_b32_e32 v3, 0x7f800001
	s_and_saveexec_b64 s[34:35], vcc
	s_cbranch_execz .LBB6_19189
; %bb.19188:                            ;   in Loop: Header=BB6_16537 Depth=3
	v_and_b32_e32 v3, 7, v57
	v_ffbh_u32_e32 v3, v3
	v_min_u32_e32 v3, 32, v3
	v_lshrrev_b32_e32 v17, 3, v16
	v_cmp_gt_u32_e32 vcc, 8, v16
	v_subrev_u32_e32 v16, 28, v3
	v_sub_u32_e32 v3, 29, v3
	v_cndmask_b32_e32 v16, 0, v16, vcc
	v_cndmask_b32_e32 v3, v17, v3, vcc
	v_lshlrev_b64 v[16:17], v16, v[12:13]
	v_bfrev_b32_e32 v17, 60
	v_lshlrev_b32_e32 v13, 20, v16
	v_lshlrev_b32_e32 v16, 24, v12
	v_and_b32_e32 v13, 0x700000, v13
	v_and_b32_e32 v16, 0x80000000, v16
	v_lshl_add_u32 v3, v3, 23, v17
	v_or3_b32 v3, v16, v3, v13
.LBB6_19189:                            ;   in Loop: Header=BB6_16537 Depth=3
	s_or_b64 exec, exec, s[34:35]
.LBB6_19190:                            ;   in Loop: Header=BB6_16537 Depth=3
	s_or_b64 exec, exec, s[30:31]
.LBB6_19191:                            ;   in Loop: Header=BB6_16537 Depth=3
	s_or_b64 exec, exec, s[28:29]
	v_cmp_ne_u16_sdwa vcc, v15, v51 src0_sel:BYTE_0 src1_sel:DWORD
	s_and_saveexec_b64 s[28:29], vcc
	s_cbranch_execz .LBB6_19197
; %bb.19192:                            ;   in Loop: Header=BB6_16537 Depth=3
	v_cmp_ne_u16_sdwa vcc, v15, s96 src0_sel:BYTE_0 src1_sel:DWORD
	v_bfrev_b32_e32 v5, 1
	s_and_saveexec_b64 s[30:31], vcc
	s_cbranch_execz .LBB6_19196
; %bb.19193:                            ;   in Loop: Header=BB6_16537 Depth=3
	v_and_b32_e32 v13, 0x7f, v15
	v_cmp_ne_u32_e32 vcc, s86, v13
	v_mov_b32_e32 v5, 0x7f800001
	s_and_saveexec_b64 s[34:35], vcc
	s_cbranch_execz .LBB6_19195
; %bb.19194:                            ;   in Loop: Header=BB6_16537 Depth=3
	v_and_b32_e32 v5, 7, v15
	v_ffbh_u32_e32 v5, v5
	v_min_u32_e32 v5, 32, v5
	v_lshrrev_b32_e32 v18, 3, v13
	v_cmp_gt_u32_e32 vcc, 8, v13
	v_subrev_u32_e32 v13, 28, v5
	v_mov_b32_e32 v16, v15
	v_mov_b32_e32 v17, v51
	v_sub_u32_e32 v5, 29, v5
	v_cndmask_b32_e32 v13, 0, v13, vcc
	v_cndmask_b32_e32 v5, v18, v5, vcc
	v_lshlrev_b64 v[17:18], v13, v[16:17]
	v_lshlrev_b32_e32 v16, 24, v16
	v_lshlrev_b32_e32 v13, 20, v17
	v_bfrev_b32_e32 v17, 60
	v_and_b32_e32 v13, 0x700000, v13
	v_and_b32_e32 v16, 0x80000000, v16
	v_lshl_add_u32 v5, v5, 23, v17
	v_or3_b32 v5, v16, v5, v13
.LBB6_19195:                            ;   in Loop: Header=BB6_16537 Depth=3
	s_or_b64 exec, exec, s[34:35]
.LBB6_19196:                            ;   in Loop: Header=BB6_16537 Depth=3
	s_or_b64 exec, exec, s[30:31]
.LBB6_19197:                            ;   in Loop: Header=BB6_16537 Depth=3
	s_or_b64 exec, exec, s[28:29]
	v_add_f32_e32 v5, v3, v5
	v_and_b32_e32 v16, 0x7f800000, v5
	v_mov_b32_e32 v17, v51
	v_cmp_ne_u64_e32 vcc, s[76:77], v[16:17]
                                        ; implicit-def: $vgpr56
	s_and_saveexec_b64 s[28:29], vcc
	s_xor_b64 s[30:31], exec, s[28:29]
	s_cbranch_execz .LBB6_19211
; %bb.19198:                            ;   in Loop: Header=BB6_16537 Depth=3
	v_and_b32_e32 v16, 0x7fffffff, v5
	v_mov_b32_e32 v17, v51
	v_cmp_gt_u64_e32 vcc, s[78:79], v[16:17]
	v_and_b32_sdwa v3, v5, s96 dst_sel:DWORD dst_unused:UNUSED_PAD src0_sel:BYTE_3 src1_sel:DWORD
                                        ; implicit-def: $vgpr56
	s_and_saveexec_b64 s[28:29], vcc
	s_xor_b64 s[34:35], exec, s[28:29]
	s_cbranch_execz .LBB6_19208
; %bb.19199:                            ;   in Loop: Header=BB6_16537 Depth=3
	v_mov_b32_e32 v56, 0
	v_cmp_ne_u32_e32 vcc, 0, v5
	s_and_saveexec_b64 s[36:37], vcc
	s_cbranch_execz .LBB6_19207
; %bb.19200:                            ;   in Loop: Header=BB6_16537 Depth=3
	v_and_b32_e32 v16, 0x7fffff, v5
	v_bfe_u32 v5, v5, 23, 8
	v_cmp_gt_u32_e64 s[28:29], s97, v5
	v_sub_u32_e32 v13, 0x79, v5
	v_cmp_eq_u32_e32 vcc, 0, v5
	v_cndmask_b32_e64 v13, 0, v13, s[28:29]
	v_mov_b32_e32 v18, 0x78
	v_cndmask_b32_e32 v13, v13, v18, vcc
	v_add_u32_e32 v18, 20, v13
	v_or_b32_e32 v17, 0x800000, v16
	v_lshlrev_b64 v[24:25], v18, -1
	v_cndmask_b32_e32 v16, v17, v16, vcc
	v_mov_b32_e32 v17, v51
	v_add_u32_e32 v18, 19, v13
	v_bfi_b32 v24, v24, 0, v16
	v_lshlrev_b64 v[52:53], v18, 1
	v_lshrrev_b64 v[16:17], v13, v[16:17]
	v_bfi_b32 v25, v25, 0, 0
	v_cmp_eq_u64_e64 s[28:29], v[24:25], v[52:53]
	v_mov_b32_e32 v18, v17
	v_mov_b32_e32 v17, v16
	s_and_saveexec_b64 s[38:39], s[28:29]
; %bb.19201:                            ;   in Loop: Header=BB6_16537 Depth=3
	v_bfe_u32 v17, v16, 20, 1
	v_add_co_u32_e64 v17, s[28:29], v16, v17
	v_add_co_u32_e64 v17, s[28:29], -1, v17
; %bb.19202:                            ;   in Loop: Header=BB6_16537 Depth=3
	s_or_b64 exec, exec, s[38:39]
	v_add_u32_e32 v5, 0xffffff81, v5
	v_mov_b32_e32 v18, 0xffffff82
	v_cndmask_b32_e32 v5, v5, v18, vcc
	v_lshrrev_b32_e32 v18, 23, v16
	v_add3_u32 v18, v13, v5, v18
	v_add_u32_e32 v13, 6, v18
	v_and_b32_e32 v5, 0xfffff, v17
	v_add_u32_e32 v16, v5, v16
	v_mov_b32_e32 v17, v51
	v_cmp_ne_u32_e32 vcc, 0, v13
                                        ; implicit-def: $vgpr5
	s_and_saveexec_b64 s[28:29], vcc
	s_xor_b64 s[28:29], exec, s[28:29]
; %bb.19203:                            ;   in Loop: Header=BB6_16537 Depth=3
	v_cmp_lt_u64_e32 vcc, s[88:89], v[16:17]
	v_add_u32_e32 v5, 7, v18
	v_cndmask_b32_e32 v5, v13, v5, vcc
	v_cndmask_b32_e64 v13, 0, 1, vcc
	v_lshrrev_b64 v[16:17], v13, v[16:17]
; %bb.19204:                            ;   in Loop: Header=BB6_16537 Depth=3
	s_andn2_saveexec_b64 s[28:29], s[28:29]
; %bb.19205:                            ;   in Loop: Header=BB6_16537 Depth=3
	v_bfe_u32 v5, v16, 23, 1
; %bb.19206:                            ;   in Loop: Header=BB6_16537 Depth=3
	s_or_b64 exec, exec, s[28:29]
	v_lshrrev_b64 v[16:17], 20, v[16:17]
	v_cmp_gt_i32_e32 vcc, 16, v5
	v_cndmask_b32_e32 v17, 0, v17, vcc
	v_cndmask_b32_e32 v16, 7, v16, vcc
	v_cmp_eq_u32_e32 vcc, 0, v5
	v_min_i32_e32 v5, 15, v5
	v_cmp_eq_u64_e64 s[28:29], 0, v[16:17]
	v_lshlrev_b32_e32 v5, 3, v5
	v_and_b32_e32 v5, 0xf8, v5
	v_and_or_b32 v5, v16, 7, v5
	s_and_b64 s[28:29], vcc, s[28:29]
	v_cndmask_b32_e64 v5, v5, 0, s[28:29]
	v_or_b32_e32 v56, v5, v3
.LBB6_19207:                            ;   in Loop: Header=BB6_16537 Depth=3
	s_or_b64 exec, exec, s[36:37]
                                        ; implicit-def: $vgpr3
.LBB6_19208:                            ;   in Loop: Header=BB6_16537 Depth=3
	s_andn2_saveexec_b64 s[28:29], s[34:35]
; %bb.19209:                            ;   in Loop: Header=BB6_16537 Depth=3
	v_or_b32_e32 v56, 0x7e, v3
; %bb.19210:                            ;   in Loop: Header=BB6_16537 Depth=3
	s_or_b64 exec, exec, s[28:29]
                                        ; implicit-def: $vgpr5
.LBB6_19211:                            ;   in Loop: Header=BB6_16537 Depth=3
	s_andn2_saveexec_b64 s[28:29], s[30:31]
; %bb.19212:                            ;   in Loop: Header=BB6_16537 Depth=3
	v_or_b32_sdwa v56, v5, s86 dst_sel:DWORD dst_unused:UNUSED_PAD src0_sel:BYTE_3 src1_sel:DWORD
; %bb.19213:                            ;   in Loop: Header=BB6_16537 Depth=3
	s_or_b64 exec, exec, s[28:29]
	v_lshrrev_b16_e32 v13, 8, v0
	v_cmp_ne_u16_e32 vcc, 0, v13
	v_mov_b32_e32 v3, 0
	v_mov_b32_e32 v5, 0
	s_and_saveexec_b64 s[28:29], vcc
	s_cbranch_execz .LBB6_19219
; %bb.19214:                            ;   in Loop: Header=BB6_16537 Depth=3
	v_cmp_ne_u16_e32 vcc, s96, v13
	v_bfrev_b32_e32 v5, 1
	s_and_saveexec_b64 s[30:31], vcc
	s_cbranch_execz .LBB6_19218
; %bb.19215:                            ;   in Loop: Header=BB6_16537 Depth=3
	v_and_b32_e32 v16, 0x7f, v13
	v_cmp_ne_u32_e32 vcc, s86, v16
	v_mov_b32_e32 v5, 0x7f800001
	s_and_saveexec_b64 s[34:35], vcc
	s_cbranch_execz .LBB6_19217
; %bb.19216:                            ;   in Loop: Header=BB6_16537 Depth=3
	v_and_b32_e32 v5, 7, v13
	v_lshrrev_b32_e32 v18, 3, v16
	v_cmp_gt_u32_e32 vcc, 8, v16
	v_ffbh_u32_e32 v16, v5
	v_min_u32_e32 v24, 32, v16
	v_subrev_u32_e32 v16, 28, v24
	v_lshlrev_b64 v[16:17], v16, v[13:14]
	v_sub_u32_e32 v13, 29, v24
	v_and_b32_e32 v16, 7, v16
	v_cndmask_b32_e32 v13, v18, v13, vcc
	v_cndmask_b32_e32 v5, v5, v16, vcc
	v_lshlrev_b32_e32 v0, 16, v0
	v_bfrev_b32_e32 v16, 60
	v_lshlrev_b32_e32 v5, 20, v5
	v_and_b32_e32 v0, 0x80000000, v0
	v_lshl_add_u32 v13, v13, 23, v16
	v_or3_b32 v5, v0, v13, v5
.LBB6_19217:                            ;   in Loop: Header=BB6_16537 Depth=3
	s_or_b64 exec, exec, s[34:35]
.LBB6_19218:                            ;   in Loop: Header=BB6_16537 Depth=3
	s_or_b64 exec, exec, s[30:31]
.LBB6_19219:                            ;   in Loop: Header=BB6_16537 Depth=3
	s_or_b64 exec, exec, s[28:29]
	v_lshrrev_b16_e32 v13, 8, v15
	v_cmp_ne_u16_e32 vcc, 0, v13
	s_and_saveexec_b64 s[28:29], vcc
	s_cbranch_execz .LBB6_19225
; %bb.19220:                            ;   in Loop: Header=BB6_16537 Depth=3
	v_cmp_ne_u16_e32 vcc, s96, v13
	v_bfrev_b32_e32 v3, 1
	s_and_saveexec_b64 s[30:31], vcc
	s_cbranch_execz .LBB6_19224
; %bb.19221:                            ;   in Loop: Header=BB6_16537 Depth=3
	v_and_b32_e32 v0, 0x7f, v13
	v_cmp_ne_u32_e32 vcc, s86, v0
	v_mov_b32_e32 v3, 0x7f800001
	s_and_saveexec_b64 s[34:35], vcc
	s_cbranch_execz .LBB6_19223
; %bb.19222:                            ;   in Loop: Header=BB6_16537 Depth=3
	v_and_b32_e32 v3, 7, v13
	v_lshrrev_b32_e32 v18, 3, v0
	v_cmp_gt_u32_e32 vcc, 8, v0
	v_ffbh_u32_e32 v0, v3
	v_min_u32_e32 v0, 32, v0
	v_subrev_u32_e32 v16, 28, v0
	v_lshlrev_b64 v[16:17], v16, v[13:14]
	v_sub_u32_e32 v0, 29, v0
	v_and_b32_e32 v13, 7, v16
	v_cndmask_b32_e32 v0, v18, v0, vcc
	v_cndmask_b32_e32 v3, v3, v13, vcc
	v_lshlrev_b32_e32 v13, 16, v15
	v_bfrev_b32_e32 v16, 60
	v_lshlrev_b32_e32 v3, 20, v3
	v_and_b32_e32 v13, 0x80000000, v13
	v_lshl_add_u32 v0, v0, 23, v16
	v_or3_b32 v3, v13, v0, v3
.LBB6_19223:                            ;   in Loop: Header=BB6_16537 Depth=3
	s_or_b64 exec, exec, s[34:35]
.LBB6_19224:                            ;   in Loop: Header=BB6_16537 Depth=3
	s_or_b64 exec, exec, s[30:31]
.LBB6_19225:                            ;   in Loop: Header=BB6_16537 Depth=3
	s_or_b64 exec, exec, s[28:29]
	v_add_f32_e32 v3, v5, v3
	v_and_b32_e32 v16, 0x7f800000, v3
	v_mov_b32_e32 v17, v51
	v_cmp_ne_u64_e32 vcc, s[76:77], v[16:17]
                                        ; implicit-def: $vgpr57
	s_and_saveexec_b64 s[28:29], vcc
	s_xor_b64 s[30:31], exec, s[28:29]
	s_cbranch_execz .LBB6_19239
; %bb.19226:                            ;   in Loop: Header=BB6_16537 Depth=3
	v_and_b32_e32 v16, 0x7fffffff, v3
	v_mov_b32_e32 v17, v51
	v_cmp_gt_u64_e32 vcc, s[78:79], v[16:17]
	v_and_b32_sdwa v0, v3, s96 dst_sel:DWORD dst_unused:UNUSED_PAD src0_sel:BYTE_3 src1_sel:DWORD
                                        ; implicit-def: $vgpr57
	s_and_saveexec_b64 s[28:29], vcc
	s_xor_b64 s[34:35], exec, s[28:29]
	s_cbranch_execz .LBB6_19236
; %bb.19227:                            ;   in Loop: Header=BB6_16537 Depth=3
	v_mov_b32_e32 v57, 0
	v_cmp_ne_u32_e32 vcc, 0, v3
	s_and_saveexec_b64 s[36:37], vcc
	s_cbranch_execz .LBB6_19235
; %bb.19228:                            ;   in Loop: Header=BB6_16537 Depth=3
	v_and_b32_e32 v13, 0x7fffff, v3
	v_bfe_u32 v3, v3, 23, 8
	v_cmp_gt_u32_e64 s[28:29], s97, v3
	v_sub_u32_e32 v5, 0x79, v3
	v_cmp_eq_u32_e32 vcc, 0, v3
	v_cndmask_b32_e64 v5, 0, v5, s[28:29]
	v_mov_b32_e32 v17, 0x78
	v_or_b32_e32 v16, 0x800000, v13
	v_cndmask_b32_e32 v5, v5, v17, vcc
	v_cndmask_b32_e32 v16, v16, v13, vcc
	v_add_u32_e32 v13, 20, v5
	v_lshlrev_b64 v[24:25], v13, -1
	v_mov_b32_e32 v17, v51
	v_add_u32_e32 v13, 19, v5
	v_bfi_b32 v24, v24, 0, v16
	v_lshlrev_b64 v[52:53], v13, 1
	v_lshrrev_b64 v[16:17], v5, v[16:17]
	v_bfi_b32 v25, v25, 0, 0
	v_cmp_eq_u64_e64 s[28:29], v[24:25], v[52:53]
	v_mov_b32_e32 v18, v17
	v_mov_b32_e32 v17, v16
	s_and_saveexec_b64 s[38:39], s[28:29]
; %bb.19229:                            ;   in Loop: Header=BB6_16537 Depth=3
	v_bfe_u32 v13, v16, 20, 1
	v_add_co_u32_e64 v13, s[28:29], v16, v13
	v_add_co_u32_e64 v17, s[28:29], -1, v13
; %bb.19230:                            ;   in Loop: Header=BB6_16537 Depth=3
	s_or_b64 exec, exec, s[38:39]
	v_add_u32_e32 v3, 0xffffff81, v3
	v_mov_b32_e32 v13, 0xffffff82
	v_cndmask_b32_e32 v3, v3, v13, vcc
	v_lshrrev_b32_e32 v13, 23, v16
	v_add3_u32 v13, v5, v3, v13
	v_add_u32_e32 v5, 6, v13
	v_and_b32_e32 v3, 0xfffff, v17
	v_add_u32_e32 v16, v3, v16
	v_mov_b32_e32 v17, v51
	v_cmp_ne_u32_e32 vcc, 0, v5
                                        ; implicit-def: $vgpr3
	s_and_saveexec_b64 s[28:29], vcc
	s_xor_b64 s[28:29], exec, s[28:29]
; %bb.19231:                            ;   in Loop: Header=BB6_16537 Depth=3
	v_cmp_lt_u64_e32 vcc, s[88:89], v[16:17]
	v_add_u32_e32 v3, 7, v13
	v_cndmask_b32_e32 v3, v5, v3, vcc
	v_cndmask_b32_e64 v5, 0, 1, vcc
	v_lshrrev_b64 v[16:17], v5, v[16:17]
; %bb.19232:                            ;   in Loop: Header=BB6_16537 Depth=3
	s_andn2_saveexec_b64 s[28:29], s[28:29]
; %bb.19233:                            ;   in Loop: Header=BB6_16537 Depth=3
	v_bfe_u32 v3, v16, 23, 1
; %bb.19234:                            ;   in Loop: Header=BB6_16537 Depth=3
	s_or_b64 exec, exec, s[28:29]
	v_lshrrev_b64 v[16:17], 20, v[16:17]
	v_cmp_gt_i32_e32 vcc, 16, v3
	v_cndmask_b32_e32 v17, 0, v17, vcc
	v_cndmask_b32_e32 v16, 7, v16, vcc
	v_cmp_eq_u32_e32 vcc, 0, v3
	v_min_i32_e32 v3, 15, v3
	v_cmp_eq_u64_e64 s[28:29], 0, v[16:17]
	v_lshlrev_b32_e32 v3, 3, v3
	v_and_b32_e32 v3, 0xf8, v3
	v_and_or_b32 v3, v16, 7, v3
	s_and_b64 s[28:29], vcc, s[28:29]
	v_cndmask_b32_e64 v3, v3, 0, s[28:29]
	v_or_b32_e32 v57, v3, v0
.LBB6_19235:                            ;   in Loop: Header=BB6_16537 Depth=3
	s_or_b64 exec, exec, s[36:37]
                                        ; implicit-def: $vgpr0
.LBB6_19236:                            ;   in Loop: Header=BB6_16537 Depth=3
	s_andn2_saveexec_b64 s[28:29], s[34:35]
; %bb.19237:                            ;   in Loop: Header=BB6_16537 Depth=3
	v_or_b32_e32 v57, 0x7e, v0
; %bb.19238:                            ;   in Loop: Header=BB6_16537 Depth=3
	s_or_b64 exec, exec, s[28:29]
                                        ; implicit-def: $vgpr3
.LBB6_19239:                            ;   in Loop: Header=BB6_16537 Depth=3
	s_andn2_saveexec_b64 s[28:29], s[30:31]
; %bb.19240:                            ;   in Loop: Header=BB6_16537 Depth=3
	v_or_b32_sdwa v57, v3, s86 dst_sel:DWORD dst_unused:UNUSED_PAD src0_sel:BYTE_3 src1_sel:DWORD
; %bb.19241:                            ;   in Loop: Header=BB6_16537 Depth=3
	s_or_b64 exec, exec, s[28:29]
	v_lshrrev_b32_e32 v13, 16, v12
	v_cmp_ne_u16_sdwa vcc, v13, v51 src0_sel:BYTE_0 src1_sel:DWORD
	v_mov_b32_e32 v0, 0
	v_mov_b32_e32 v3, 0
	s_and_saveexec_b64 s[28:29], vcc
	s_cbranch_execz .LBB6_19247
; %bb.19242:                            ;   in Loop: Header=BB6_16537 Depth=3
	v_cmp_ne_u16_sdwa vcc, v13, s96 src0_sel:BYTE_0 src1_sel:DWORD
	v_bfrev_b32_e32 v3, 1
	s_and_saveexec_b64 s[30:31], vcc
	s_cbranch_execz .LBB6_19246
; %bb.19243:                            ;   in Loop: Header=BB6_16537 Depth=3
	v_bfe_u32 v5, v12, 16, 7
	v_cmp_ne_u32_e32 vcc, s86, v5
	v_mov_b32_e32 v3, 0x7f800001
	s_and_saveexec_b64 s[34:35], vcc
	s_cbranch_execz .LBB6_19245
; %bb.19244:                            ;   in Loop: Header=BB6_16537 Depth=3
	v_and_b32_e32 v3, 7, v13
	v_lshrrev_b32_e32 v18, 3, v5
	v_cmp_gt_u32_e32 vcc, 8, v5
	v_ffbh_u32_e32 v5, v3
	v_min_u32_e32 v5, 32, v5
	v_subrev_u32_e32 v16, 28, v5
	v_lshlrev_b64 v[16:17], v16, v[13:14]
	v_sub_u32_e32 v5, 29, v5
	v_and_b32_e32 v16, 7, v16
	v_cndmask_b32_e32 v5, v18, v5, vcc
	v_cndmask_b32_e32 v3, v3, v16, vcc
	v_lshlrev_b32_e32 v13, 24, v13
	v_bfrev_b32_e32 v16, 60
	v_lshlrev_b32_e32 v3, 20, v3
	v_and_b32_e32 v13, 0x80000000, v13
	v_lshl_add_u32 v5, v5, 23, v16
	v_or3_b32 v3, v13, v5, v3
.LBB6_19245:                            ;   in Loop: Header=BB6_16537 Depth=3
	s_or_b64 exec, exec, s[34:35]
.LBB6_19246:                            ;   in Loop: Header=BB6_16537 Depth=3
	s_or_b64 exec, exec, s[30:31]
.LBB6_19247:                            ;   in Loop: Header=BB6_16537 Depth=3
	s_or_b64 exec, exec, s[28:29]
	v_lshrrev_b32_e32 v13, 16, v15
	v_cmp_ne_u16_sdwa vcc, v13, v51 src0_sel:BYTE_0 src1_sel:DWORD
	s_and_saveexec_b64 s[28:29], vcc
	s_cbranch_execz .LBB6_19253
; %bb.19248:                            ;   in Loop: Header=BB6_16537 Depth=3
	v_cmp_ne_u16_sdwa vcc, v13, s96 src0_sel:BYTE_0 src1_sel:DWORD
	v_bfrev_b32_e32 v0, 1
	s_and_saveexec_b64 s[30:31], vcc
	s_cbranch_execz .LBB6_19252
; %bb.19249:                            ;   in Loop: Header=BB6_16537 Depth=3
	v_bfe_u32 v5, v15, 16, 7
	v_cmp_ne_u32_e32 vcc, s86, v5
	v_mov_b32_e32 v0, 0x7f800001
	s_and_saveexec_b64 s[34:35], vcc
	s_cbranch_execz .LBB6_19251
; %bb.19250:                            ;   in Loop: Header=BB6_16537 Depth=3
	v_and_b32_e32 v0, 7, v13
	v_lshrrev_b32_e32 v18, 3, v5
	v_cmp_gt_u32_e32 vcc, 8, v5
	v_ffbh_u32_e32 v5, v0
	v_min_u32_e32 v5, 32, v5
	v_subrev_u32_e32 v16, 28, v5
	v_lshlrev_b64 v[16:17], v16, v[13:14]
	v_sub_u32_e32 v5, 29, v5
	v_and_b32_e32 v13, 7, v16
	v_cndmask_b32_e32 v5, v18, v5, vcc
	v_cndmask_b32_e32 v0, v0, v13, vcc
	v_lshlrev_b32_e32 v13, 8, v15
	v_bfrev_b32_e32 v16, 60
	v_lshlrev_b32_e32 v0, 20, v0
	v_and_b32_e32 v13, 0x80000000, v13
	v_lshl_add_u32 v5, v5, 23, v16
	v_or3_b32 v0, v13, v5, v0
.LBB6_19251:                            ;   in Loop: Header=BB6_16537 Depth=3
	s_or_b64 exec, exec, s[34:35]
.LBB6_19252:                            ;   in Loop: Header=BB6_16537 Depth=3
	s_or_b64 exec, exec, s[30:31]
.LBB6_19253:                            ;   in Loop: Header=BB6_16537 Depth=3
	s_or_b64 exec, exec, s[28:29]
	v_add_f32_e32 v3, v3, v0
	v_and_b32_e32 v16, 0x7f800000, v3
	v_mov_b32_e32 v17, v51
	v_cmp_ne_u64_e32 vcc, s[76:77], v[16:17]
                                        ; implicit-def: $vgpr16
	s_and_saveexec_b64 s[28:29], vcc
	s_xor_b64 s[30:31], exec, s[28:29]
	s_cbranch_execz .LBB6_19267
; %bb.19254:                            ;   in Loop: Header=BB6_16537 Depth=3
	v_and_b32_e32 v16, 0x7fffffff, v3
	v_mov_b32_e32 v17, v51
	v_cmp_gt_u64_e32 vcc, s[78:79], v[16:17]
	v_and_b32_sdwa v0, v3, s96 dst_sel:DWORD dst_unused:UNUSED_PAD src0_sel:BYTE_3 src1_sel:DWORD
                                        ; implicit-def: $vgpr16
	s_and_saveexec_b64 s[28:29], vcc
	s_xor_b64 s[34:35], exec, s[28:29]
	s_cbranch_execz .LBB6_19264
; %bb.19255:                            ;   in Loop: Header=BB6_16537 Depth=3
	v_mov_b32_e32 v16, 0
	v_cmp_ne_u32_e32 vcc, 0, v3
	s_and_saveexec_b64 s[36:37], vcc
	s_cbranch_execz .LBB6_19263
; %bb.19256:                            ;   in Loop: Header=BB6_16537 Depth=3
	v_and_b32_e32 v13, 0x7fffff, v3
	v_bfe_u32 v3, v3, 23, 8
	v_cmp_gt_u32_e64 s[28:29], s97, v3
	v_sub_u32_e32 v5, 0x79, v3
	v_cmp_eq_u32_e32 vcc, 0, v3
	v_cndmask_b32_e64 v5, 0, v5, s[28:29]
	v_mov_b32_e32 v17, 0x78
	v_or_b32_e32 v16, 0x800000, v13
	v_cndmask_b32_e32 v5, v5, v17, vcc
	v_cndmask_b32_e32 v16, v16, v13, vcc
	v_add_u32_e32 v13, 20, v5
	v_lshlrev_b64 v[24:25], v13, -1
	v_mov_b32_e32 v17, v51
	v_add_u32_e32 v13, 19, v5
	v_bfi_b32 v24, v24, 0, v16
	v_lshlrev_b64 v[52:53], v13, 1
	v_lshrrev_b64 v[16:17], v5, v[16:17]
	v_bfi_b32 v25, v25, 0, 0
	v_cmp_eq_u64_e64 s[28:29], v[24:25], v[52:53]
	v_mov_b32_e32 v18, v17
	v_mov_b32_e32 v17, v16
	s_and_saveexec_b64 s[38:39], s[28:29]
; %bb.19257:                            ;   in Loop: Header=BB6_16537 Depth=3
	v_bfe_u32 v13, v16, 20, 1
	v_add_co_u32_e64 v13, s[28:29], v16, v13
	v_add_co_u32_e64 v17, s[28:29], -1, v13
; %bb.19258:                            ;   in Loop: Header=BB6_16537 Depth=3
	s_or_b64 exec, exec, s[38:39]
	v_add_u32_e32 v3, 0xffffff81, v3
	v_mov_b32_e32 v13, 0xffffff82
	v_cndmask_b32_e32 v3, v3, v13, vcc
	v_lshrrev_b32_e32 v13, 23, v16
	v_add3_u32 v13, v5, v3, v13
	v_add_u32_e32 v5, 6, v13
	v_and_b32_e32 v3, 0xfffff, v17
	v_add_u32_e32 v16, v3, v16
	v_mov_b32_e32 v17, v51
	v_cmp_ne_u32_e32 vcc, 0, v5
                                        ; implicit-def: $vgpr3
	s_and_saveexec_b64 s[28:29], vcc
	s_xor_b64 s[28:29], exec, s[28:29]
; %bb.19259:                            ;   in Loop: Header=BB6_16537 Depth=3
	v_cmp_lt_u64_e32 vcc, s[88:89], v[16:17]
	v_add_u32_e32 v3, 7, v13
	v_cndmask_b32_e32 v3, v5, v3, vcc
	v_cndmask_b32_e64 v5, 0, 1, vcc
	v_lshrrev_b64 v[16:17], v5, v[16:17]
; %bb.19260:                            ;   in Loop: Header=BB6_16537 Depth=3
	s_andn2_saveexec_b64 s[28:29], s[28:29]
; %bb.19261:                            ;   in Loop: Header=BB6_16537 Depth=3
	v_bfe_u32 v3, v16, 23, 1
; %bb.19262:                            ;   in Loop: Header=BB6_16537 Depth=3
	s_or_b64 exec, exec, s[28:29]
	v_lshrrev_b64 v[16:17], 20, v[16:17]
	v_cmp_gt_i32_e32 vcc, 16, v3
	v_cndmask_b32_e32 v17, 0, v17, vcc
	v_cndmask_b32_e32 v16, 7, v16, vcc
	v_cmp_eq_u32_e32 vcc, 0, v3
	v_min_i32_e32 v3, 15, v3
	v_cmp_eq_u64_e64 s[28:29], 0, v[16:17]
	v_lshlrev_b32_e32 v3, 3, v3
	v_and_b32_e32 v3, 0xf8, v3
	v_and_or_b32 v3, v16, 7, v3
	s_and_b64 s[28:29], vcc, s[28:29]
	v_cndmask_b32_e64 v3, v3, 0, s[28:29]
	v_or_b32_e32 v16, v3, v0
.LBB6_19263:                            ;   in Loop: Header=BB6_16537 Depth=3
	s_or_b64 exec, exec, s[36:37]
                                        ; implicit-def: $vgpr0
.LBB6_19264:                            ;   in Loop: Header=BB6_16537 Depth=3
	s_andn2_saveexec_b64 s[28:29], s[34:35]
; %bb.19265:                            ;   in Loop: Header=BB6_16537 Depth=3
	v_or_b32_e32 v16, 0x7e, v0
; %bb.19266:                            ;   in Loop: Header=BB6_16537 Depth=3
	s_or_b64 exec, exec, s[28:29]
                                        ; implicit-def: $vgpr3
.LBB6_19267:                            ;   in Loop: Header=BB6_16537 Depth=3
	s_andn2_saveexec_b64 s[28:29], s[30:31]
; %bb.19268:                            ;   in Loop: Header=BB6_16537 Depth=3
	v_or_b32_sdwa v16, v3, s86 dst_sel:DWORD dst_unused:UNUSED_PAD src0_sel:BYTE_3 src1_sel:DWORD
; %bb.19269:                            ;   in Loop: Header=BB6_16537 Depth=3
	s_or_b64 exec, exec, s[28:29]
	v_cmp_lt_u32_e32 vcc, s57, v12
	v_mov_b32_e32 v0, 0
	v_mov_b32_e32 v3, 0
	s_and_saveexec_b64 s[28:29], vcc
	s_cbranch_execz .LBB6_19275
; %bb.19270:                            ;   in Loop: Header=BB6_16537 Depth=3
	v_lshrrev_b32_e32 v13, 24, v12
	v_cmp_ne_u32_sdwa vcc, v12, s96 src0_sel:BYTE_3 src1_sel:DWORD
	v_bfrev_b32_e32 v3, 1
	s_and_saveexec_b64 s[30:31], vcc
	s_cbranch_execz .LBB6_19274
; %bb.19271:                            ;   in Loop: Header=BB6_16537 Depth=3
	v_bfe_u32 v5, v12, 24, 7
	v_cmp_ne_u32_e32 vcc, s86, v5
	v_mov_b32_e32 v3, 0x7f800001
	s_and_saveexec_b64 s[34:35], vcc
	s_cbranch_execz .LBB6_19273
; %bb.19272:                            ;   in Loop: Header=BB6_16537 Depth=3
	v_and_b32_e32 v3, 7, v13
	v_lshrrev_b32_e32 v24, 3, v5
	v_cmp_gt_u32_e32 vcc, 8, v5
	v_ffbh_u32_e32 v5, v3
	v_min_u32_e32 v5, 32, v5
	v_subrev_u32_e32 v17, 28, v5
	v_lshlrev_b64 v[17:18], v17, v[13:14]
	v_sub_u32_e32 v5, 29, v5
	v_and_b32_e32 v13, 7, v17
	v_cndmask_b32_e32 v3, v3, v13, vcc
	v_mov_b32_e32 v13, 24
	v_cndmask_b32_e32 v5, v24, v5, vcc
	v_lshlrev_b32_sdwa v12, v13, v12 dst_sel:DWORD dst_unused:UNUSED_PAD src0_sel:DWORD src1_sel:BYTE_3
	v_bfrev_b32_e32 v13, 60
	v_lshlrev_b32_e32 v3, 20, v3
	v_and_b32_e32 v12, 0x80000000, v12
	v_lshl_add_u32 v5, v5, 23, v13
	v_or3_b32 v3, v12, v5, v3
.LBB6_19273:                            ;   in Loop: Header=BB6_16537 Depth=3
	s_or_b64 exec, exec, s[34:35]
.LBB6_19274:                            ;   in Loop: Header=BB6_16537 Depth=3
	s_or_b64 exec, exec, s[30:31]
.LBB6_19275:                            ;   in Loop: Header=BB6_16537 Depth=3
	s_or_b64 exec, exec, s[28:29]
	v_cmp_lt_u64_e32 vcc, s[56:57], v[14:15]
	s_and_saveexec_b64 s[28:29], vcc
	s_cbranch_execz .LBB6_19281
; %bb.19276:                            ;   in Loop: Header=BB6_16537 Depth=3
	v_lshrrev_b32_e32 v12, 24, v15
	v_cmp_ne_u32_e32 vcc, s96, v12
	v_bfrev_b32_e32 v0, 1
	s_and_saveexec_b64 s[30:31], vcc
	s_cbranch_execz .LBB6_19280
; %bb.19277:                            ;   in Loop: Header=BB6_16537 Depth=3
	v_bfe_u32 v5, v15, 24, 7
	v_cmp_ne_u32_e32 vcc, s86, v5
	v_mov_b32_e32 v0, 0x7f800001
	s_and_saveexec_b64 s[34:35], vcc
	s_cbranch_execz .LBB6_19279
; %bb.19278:                            ;   in Loop: Header=BB6_16537 Depth=3
	v_and_b32_e32 v0, 7, v12
	v_lshrrev_b32_e32 v15, 3, v5
	v_cmp_gt_u32_e32 vcc, 8, v5
	v_ffbh_u32_e32 v5, v0
	v_min_u32_e32 v5, 32, v5
	v_subrev_u32_e32 v13, 28, v5
	v_lshlrev_b64 v[13:14], v13, v[12:13]
	v_sub_u32_e32 v5, 29, v5
	v_and_b32_e32 v13, 7, v13
	v_cndmask_b32_e32 v5, v15, v5, vcc
	v_cndmask_b32_e32 v0, v0, v13, vcc
	v_lshlrev_b32_e32 v12, 24, v12
	v_bfrev_b32_e32 v13, 60
	v_lshlrev_b32_e32 v0, 20, v0
	v_and_b32_e32 v12, 0x80000000, v12
	v_lshl_add_u32 v5, v5, 23, v13
	v_or3_b32 v0, v12, v5, v0
.LBB6_19279:                            ;   in Loop: Header=BB6_16537 Depth=3
	s_or_b64 exec, exec, s[34:35]
.LBB6_19280:                            ;   in Loop: Header=BB6_16537 Depth=3
	s_or_b64 exec, exec, s[30:31]
.LBB6_19281:                            ;   in Loop: Header=BB6_16537 Depth=3
	s_or_b64 exec, exec, s[28:29]
	v_add_f32_e32 v3, v3, v0
	v_and_b32_e32 v12, 0x7f800000, v3
	v_mov_b32_e32 v13, v51
	v_cmp_ne_u64_e32 vcc, s[76:77], v[12:13]
                                        ; implicit-def: $vgpr17
	s_and_saveexec_b64 s[28:29], vcc
	s_xor_b64 s[30:31], exec, s[28:29]
	s_cbranch_execz .LBB6_19295
; %bb.19282:                            ;   in Loop: Header=BB6_16537 Depth=3
	v_and_b32_e32 v12, 0x7fffffff, v3
	v_mov_b32_e32 v13, v51
	v_cmp_gt_u64_e32 vcc, s[78:79], v[12:13]
	v_and_b32_sdwa v0, v3, s96 dst_sel:DWORD dst_unused:UNUSED_PAD src0_sel:BYTE_3 src1_sel:DWORD
                                        ; implicit-def: $vgpr17
	s_and_saveexec_b64 s[28:29], vcc
	s_xor_b64 s[34:35], exec, s[28:29]
	s_cbranch_execz .LBB6_19292
; %bb.19283:                            ;   in Loop: Header=BB6_16537 Depth=3
	v_mov_b32_e32 v17, 0
	v_cmp_ne_u32_e32 vcc, 0, v3
	s_and_saveexec_b64 s[36:37], vcc
	s_cbranch_execz .LBB6_19291
; %bb.19284:                            ;   in Loop: Header=BB6_16537 Depth=3
	v_and_b32_e32 v12, 0x7fffff, v3
	v_bfe_u32 v3, v3, 23, 8
	v_cmp_gt_u32_e64 s[28:29], s97, v3
	v_sub_u32_e32 v5, 0x79, v3
	v_cmp_eq_u32_e32 vcc, 0, v3
	v_cndmask_b32_e64 v5, 0, v5, s[28:29]
	v_mov_b32_e32 v14, 0x78
	v_cndmask_b32_e32 v5, v5, v14, vcc
	v_add_u32_e32 v14, 20, v5
	v_or_b32_e32 v13, 0x800000, v12
	v_lshlrev_b64 v[14:15], v14, -1
	v_cndmask_b32_e32 v12, v13, v12, vcc
	v_mov_b32_e32 v13, v51
	v_add_u32_e32 v17, 19, v5
	v_bfi_b32 v14, v14, 0, v12
	v_lshlrev_b64 v[17:18], v17, 1
	v_lshrrev_b64 v[12:13], v5, v[12:13]
	v_bfi_b32 v15, v15, 0, 0
	v_cmp_eq_u64_e64 s[28:29], v[14:15], v[17:18]
	v_mov_b32_e32 v14, v13
	v_mov_b32_e32 v13, v12
	s_and_saveexec_b64 s[38:39], s[28:29]
; %bb.19285:                            ;   in Loop: Header=BB6_16537 Depth=3
	v_bfe_u32 v13, v12, 20, 1
	v_add_co_u32_e64 v13, s[28:29], v12, v13
	v_add_co_u32_e64 v13, s[28:29], -1, v13
; %bb.19286:                            ;   in Loop: Header=BB6_16537 Depth=3
	s_or_b64 exec, exec, s[38:39]
	v_add_u32_e32 v3, 0xffffff81, v3
	v_mov_b32_e32 v14, 0xffffff82
	v_cndmask_b32_e32 v3, v3, v14, vcc
	v_lshrrev_b32_e32 v14, 23, v12
	v_add3_u32 v14, v5, v3, v14
	v_add_u32_e32 v5, 6, v14
	v_and_b32_e32 v3, 0xfffff, v13
	v_add_u32_e32 v12, v3, v12
	v_mov_b32_e32 v13, v51
	v_cmp_ne_u32_e32 vcc, 0, v5
                                        ; implicit-def: $vgpr3
	s_and_saveexec_b64 s[28:29], vcc
	s_xor_b64 s[28:29], exec, s[28:29]
; %bb.19287:                            ;   in Loop: Header=BB6_16537 Depth=3
	v_cmp_lt_u64_e32 vcc, s[88:89], v[12:13]
	v_add_u32_e32 v3, 7, v14
	v_cndmask_b32_e32 v3, v5, v3, vcc
	v_cndmask_b32_e64 v5, 0, 1, vcc
	v_lshrrev_b64 v[12:13], v5, v[12:13]
; %bb.19288:                            ;   in Loop: Header=BB6_16537 Depth=3
	s_andn2_saveexec_b64 s[28:29], s[28:29]
; %bb.19289:                            ;   in Loop: Header=BB6_16537 Depth=3
	v_bfe_u32 v3, v12, 23, 1
; %bb.19290:                            ;   in Loop: Header=BB6_16537 Depth=3
	s_or_b64 exec, exec, s[28:29]
	v_lshrrev_b64 v[12:13], 20, v[12:13]
	v_cmp_gt_i32_e32 vcc, 16, v3
	v_cndmask_b32_e32 v13, 0, v13, vcc
	v_cndmask_b32_e32 v12, 7, v12, vcc
	v_cmp_eq_u32_e32 vcc, 0, v3
	v_min_i32_e32 v3, 15, v3
	v_cmp_eq_u64_e64 s[28:29], 0, v[12:13]
	v_lshlrev_b32_e32 v3, 3, v3
	v_and_b32_e32 v3, 0xf8, v3
	v_and_or_b32 v3, v12, 7, v3
	s_and_b64 s[28:29], vcc, s[28:29]
	v_cndmask_b32_e64 v3, v3, 0, s[28:29]
	v_or_b32_e32 v17, v3, v0
.LBB6_19291:                            ;   in Loop: Header=BB6_16537 Depth=3
	s_or_b64 exec, exec, s[36:37]
                                        ; implicit-def: $vgpr0
.LBB6_19292:                            ;   in Loop: Header=BB6_16537 Depth=3
	s_andn2_saveexec_b64 s[28:29], s[34:35]
; %bb.19293:                            ;   in Loop: Header=BB6_16537 Depth=3
	v_or_b32_e32 v17, 0x7e, v0
; %bb.19294:                            ;   in Loop: Header=BB6_16537 Depth=3
	s_or_b64 exec, exec, s[28:29]
                                        ; implicit-def: $vgpr3
.LBB6_19295:                            ;   in Loop: Header=BB6_16537 Depth=3
	s_andn2_saveexec_b64 s[28:29], s[30:31]
; %bb.19296:                            ;   in Loop: Header=BB6_16537 Depth=3
	v_or_b32_sdwa v17, v3, s86 dst_sel:DWORD dst_unused:UNUSED_PAD src0_sel:BYTE_3 src1_sel:DWORD
; %bb.19297:                            ;   in Loop: Header=BB6_16537 Depth=3
	s_or_b64 exec, exec, s[28:29]
	buffer_load_dword v0, off, s[0:3], s33 offset:136 ; 4-byte Folded Reload
	buffer_load_dword v3, off, s[0:3], s33 offset:156 ; 4-byte Folded Reload
	;; [unrolled: 1-line block ×3, first 2 shown]
	v_mov_b32_e32 v13, v51
	v_cmp_ne_u32_e32 vcc, 0, v54
	s_waitcnt vmcnt(2)
	v_lshl_or_b32 v0, v0, 8, v54
	s_waitcnt vmcnt(1)
	v_lshlrev_b32_e32 v3, 16, v3
	s_waitcnt vmcnt(0)
	v_lshlrev_b32_e32 v5, 24, v5
	v_or3_b32 v12, v3, v5, v0
	v_mov_b32_e32 v3, 0
	v_mov_b32_e32 v5, 0
	s_and_saveexec_b64 s[28:29], vcc
	s_cbranch_execz .LBB6_19303
; %bb.19298:                            ;   in Loop: Header=BB6_16537 Depth=3
	v_cmp_ne_u32_e32 vcc, s96, v54
	v_bfrev_b32_e32 v5, 1
	s_and_saveexec_b64 s[30:31], vcc
	s_cbranch_execz .LBB6_19302
; %bb.19299:                            ;   in Loop: Header=BB6_16537 Depth=3
	v_and_b32_e32 v14, 0x7f, v54
	v_cmp_ne_u32_e32 vcc, s86, v14
	v_mov_b32_e32 v5, 0x7f800001
	s_and_saveexec_b64 s[34:35], vcc
	s_cbranch_execz .LBB6_19301
; %bb.19300:                            ;   in Loop: Header=BB6_16537 Depth=3
	v_and_b32_e32 v5, 7, v54
	v_ffbh_u32_e32 v5, v5
	v_min_u32_e32 v5, 32, v5
	v_lshrrev_b32_e32 v15, 3, v14
	v_cmp_gt_u32_e32 vcc, 8, v14
	v_subrev_u32_e32 v14, 28, v5
	v_cndmask_b32_e32 v14, 0, v14, vcc
	v_lshlrev_b64 v[13:14], v14, v[12:13]
	v_sub_u32_e32 v5, 29, v5
	v_cndmask_b32_e32 v5, v15, v5, vcc
	v_lshlrev_b32_e32 v13, 20, v13
	v_lshlrev_b32_e32 v14, 24, v12
	v_bfrev_b32_e32 v15, 60
	v_and_b32_e32 v13, 0x700000, v13
	v_and_b32_e32 v14, 0x80000000, v14
	v_lshl_add_u32 v5, v5, 23, v15
	v_or3_b32 v5, v14, v5, v13
.LBB6_19301:                            ;   in Loop: Header=BB6_16537 Depth=3
	s_or_b64 exec, exec, s[34:35]
.LBB6_19302:                            ;   in Loop: Header=BB6_16537 Depth=3
	s_or_b64 exec, exec, s[30:31]
.LBB6_19303:                            ;   in Loop: Header=BB6_16537 Depth=3
	s_or_b64 exec, exec, s[28:29]
	v_cmp_ne_u16_sdwa vcc, v8, v51 src0_sel:BYTE_0 src1_sel:DWORD
	s_and_saveexec_b64 s[28:29], vcc
	s_cbranch_execz .LBB6_19309
; %bb.19304:                            ;   in Loop: Header=BB6_16537 Depth=3
	v_cmp_ne_u16_sdwa vcc, v8, s96 src0_sel:BYTE_0 src1_sel:DWORD
	v_bfrev_b32_e32 v3, 1
	s_and_saveexec_b64 s[30:31], vcc
	s_cbranch_execz .LBB6_19308
; %bb.19305:                            ;   in Loop: Header=BB6_16537 Depth=3
	v_and_b32_e32 v13, 0x7f, v8
	v_cmp_ne_u32_e32 vcc, s86, v13
	v_mov_b32_e32 v3, 0x7f800001
	s_and_saveexec_b64 s[34:35], vcc
	s_cbranch_execz .LBB6_19307
; %bb.19306:                            ;   in Loop: Header=BB6_16537 Depth=3
	v_and_b32_e32 v3, 7, v8
	v_ffbh_u32_e32 v3, v3
	v_min_u32_e32 v3, 32, v3
	v_lshrrev_b32_e32 v14, 3, v13
	v_cmp_gt_u32_e32 vcc, 8, v13
	v_subrev_u32_e32 v13, 28, v3
	v_sub_u32_e32 v3, 29, v3
	v_cndmask_b32_e32 v13, 0, v13, vcc
	v_cndmask_b32_e32 v3, v14, v3, vcc
	v_lshlrev_b64 v[13:14], v13, v[8:9]
	v_lshlrev_b32_e32 v14, 24, v8
	v_lshlrev_b32_e32 v13, 20, v13
	v_bfrev_b32_e32 v15, 60
	v_and_b32_e32 v13, 0x700000, v13
	v_and_b32_e32 v14, 0x80000000, v14
	v_lshl_add_u32 v3, v3, 23, v15
	v_or3_b32 v3, v14, v3, v13
.LBB6_19307:                            ;   in Loop: Header=BB6_16537 Depth=3
	s_or_b64 exec, exec, s[34:35]
.LBB6_19308:                            ;   in Loop: Header=BB6_16537 Depth=3
	s_or_b64 exec, exec, s[30:31]
.LBB6_19309:                            ;   in Loop: Header=BB6_16537 Depth=3
	s_or_b64 exec, exec, s[28:29]
	v_add_f32_e32 v5, v5, v3
	v_and_b32_e32 v13, 0x7f800000, v5
	v_mov_b32_e32 v14, v51
	v_cmp_ne_u64_e32 vcc, s[76:77], v[13:14]
                                        ; implicit-def: $vgpr18
	s_and_saveexec_b64 s[28:29], vcc
	s_xor_b64 s[30:31], exec, s[28:29]
	s_cbranch_execz .LBB6_19323
; %bb.19310:                            ;   in Loop: Header=BB6_16537 Depth=3
	v_and_b32_e32 v13, 0x7fffffff, v5
	v_mov_b32_e32 v14, v51
	v_cmp_gt_u64_e32 vcc, s[78:79], v[13:14]
	v_and_b32_sdwa v3, v5, s96 dst_sel:DWORD dst_unused:UNUSED_PAD src0_sel:BYTE_3 src1_sel:DWORD
                                        ; implicit-def: $vgpr18
	s_and_saveexec_b64 s[28:29], vcc
	s_xor_b64 s[34:35], exec, s[28:29]
	s_cbranch_execz .LBB6_19320
; %bb.19311:                            ;   in Loop: Header=BB6_16537 Depth=3
	v_mov_b32_e32 v18, 0
	v_cmp_ne_u32_e32 vcc, 0, v5
	s_and_saveexec_b64 s[36:37], vcc
	s_cbranch_execz .LBB6_19319
; %bb.19312:                            ;   in Loop: Header=BB6_16537 Depth=3
	v_and_b32_e32 v13, 0x7fffff, v5
	v_bfe_u32 v5, v5, 23, 8
	v_cmp_gt_u32_e64 s[28:29], s97, v5
	v_sub_u32_e32 v14, 0x79, v5
	v_cmp_eq_u32_e32 vcc, 0, v5
	v_cndmask_b32_e64 v14, 0, v14, s[28:29]
	v_mov_b32_e32 v18, 0x78
	v_or_b32_e32 v15, 0x800000, v13
	v_cndmask_b32_e32 v18, v14, v18, vcc
	v_cndmask_b32_e32 v13, v15, v13, vcc
	v_add_u32_e32 v15, 20, v18
	v_lshlrev_b64 v[24:25], v15, -1
	v_mov_b32_e32 v14, v51
	v_add_u32_e32 v15, 19, v18
	v_bfi_b32 v24, v24, 0, v13
	v_lshlrev_b64 v[52:53], v15, 1
	v_lshrrev_b64 v[13:14], v18, v[13:14]
	v_bfi_b32 v25, v25, 0, 0
	v_cmp_eq_u64_e64 s[28:29], v[24:25], v[52:53]
	v_mov_b32_e32 v15, v14
	v_mov_b32_e32 v14, v13
	s_and_saveexec_b64 s[38:39], s[28:29]
; %bb.19313:                            ;   in Loop: Header=BB6_16537 Depth=3
	v_bfe_u32 v14, v13, 20, 1
	v_add_co_u32_e64 v14, s[28:29], v13, v14
	v_add_co_u32_e64 v14, s[28:29], -1, v14
; %bb.19314:                            ;   in Loop: Header=BB6_16537 Depth=3
	s_or_b64 exec, exec, s[38:39]
	v_add_u32_e32 v5, 0xffffff81, v5
	v_mov_b32_e32 v15, 0xffffff82
	v_cndmask_b32_e32 v5, v5, v15, vcc
	v_lshrrev_b32_e32 v15, 23, v13
	v_add3_u32 v18, v18, v5, v15
	v_add_u32_e32 v15, 6, v18
	v_and_b32_e32 v5, 0xfffff, v14
	v_add_u32_e32 v13, v5, v13
	v_mov_b32_e32 v14, v51
	v_cmp_ne_u32_e32 vcc, 0, v15
                                        ; implicit-def: $vgpr5
	s_and_saveexec_b64 s[28:29], vcc
	s_xor_b64 s[28:29], exec, s[28:29]
; %bb.19315:                            ;   in Loop: Header=BB6_16537 Depth=3
	v_cmp_lt_u64_e32 vcc, s[88:89], v[13:14]
	v_add_u32_e32 v5, 7, v18
	v_cndmask_b32_e32 v5, v15, v5, vcc
	v_cndmask_b32_e64 v15, 0, 1, vcc
	v_lshrrev_b64 v[13:14], v15, v[13:14]
; %bb.19316:                            ;   in Loop: Header=BB6_16537 Depth=3
	s_andn2_saveexec_b64 s[28:29], s[28:29]
; %bb.19317:                            ;   in Loop: Header=BB6_16537 Depth=3
	v_bfe_u32 v5, v13, 23, 1
; %bb.19318:                            ;   in Loop: Header=BB6_16537 Depth=3
	s_or_b64 exec, exec, s[28:29]
	v_lshrrev_b64 v[13:14], 20, v[13:14]
	v_cmp_gt_i32_e32 vcc, 16, v5
	v_cndmask_b32_e32 v14, 0, v14, vcc
	v_cndmask_b32_e32 v13, 7, v13, vcc
	v_cmp_eq_u32_e32 vcc, 0, v5
	v_min_i32_e32 v5, 15, v5
	v_cmp_eq_u64_e64 s[28:29], 0, v[13:14]
	v_lshlrev_b32_e32 v5, 3, v5
	v_and_b32_e32 v5, 0xf8, v5
	v_and_or_b32 v5, v13, 7, v5
	s_and_b64 s[28:29], vcc, s[28:29]
	v_cndmask_b32_e64 v5, v5, 0, s[28:29]
	v_or_b32_e32 v18, v5, v3
.LBB6_19319:                            ;   in Loop: Header=BB6_16537 Depth=3
	s_or_b64 exec, exec, s[36:37]
                                        ; implicit-def: $vgpr3
.LBB6_19320:                            ;   in Loop: Header=BB6_16537 Depth=3
	s_andn2_saveexec_b64 s[28:29], s[34:35]
; %bb.19321:                            ;   in Loop: Header=BB6_16537 Depth=3
	v_or_b32_e32 v18, 0x7e, v3
; %bb.19322:                            ;   in Loop: Header=BB6_16537 Depth=3
	s_or_b64 exec, exec, s[28:29]
                                        ; implicit-def: $vgpr5
.LBB6_19323:                            ;   in Loop: Header=BB6_16537 Depth=3
	s_andn2_saveexec_b64 s[28:29], s[30:31]
; %bb.19324:                            ;   in Loop: Header=BB6_16537 Depth=3
	v_or_b32_sdwa v18, v5, s86 dst_sel:DWORD dst_unused:UNUSED_PAD src0_sel:BYTE_3 src1_sel:DWORD
; %bb.19325:                            ;   in Loop: Header=BB6_16537 Depth=3
	s_or_b64 exec, exec, s[28:29]
	v_lshrrev_b16_e32 v13, 8, v0
	v_cmp_ne_u16_e32 vcc, 0, v13
	v_mov_b32_e32 v3, 0
	v_mov_b32_e32 v5, 0
	s_and_saveexec_b64 s[28:29], vcc
	s_cbranch_execz .LBB6_19331
; %bb.19326:                            ;   in Loop: Header=BB6_16537 Depth=3
	v_cmp_ne_u16_e32 vcc, s96, v13
	v_bfrev_b32_e32 v5, 1
	s_and_saveexec_b64 s[30:31], vcc
	s_cbranch_execz .LBB6_19330
; %bb.19327:                            ;   in Loop: Header=BB6_16537 Depth=3
	v_and_b32_e32 v14, 0x7f, v13
	v_cmp_ne_u32_e32 vcc, s86, v14
	v_mov_b32_e32 v5, 0x7f800001
	s_and_saveexec_b64 s[34:35], vcc
	s_cbranch_execz .LBB6_19329
; %bb.19328:                            ;   in Loop: Header=BB6_16537 Depth=3
	v_and_b32_e32 v5, 7, v13
	v_lshrrev_b32_e32 v15, 3, v14
	v_cmp_gt_u32_e32 vcc, 8, v14
	v_ffbh_u32_e32 v14, v5
	v_min_u32_e32 v24, 32, v14
	v_subrev_u32_e32 v14, 28, v24
	v_lshlrev_b64 v[13:14], v14, v[13:14]
	v_sub_u32_e32 v14, 29, v24
	v_and_b32_e32 v13, 7, v13
	v_cndmask_b32_e32 v14, v15, v14, vcc
	v_cndmask_b32_e32 v5, v5, v13, vcc
	v_lshlrev_b32_e32 v0, 16, v0
	v_bfrev_b32_e32 v13, 60
	v_lshlrev_b32_e32 v5, 20, v5
	v_and_b32_e32 v0, 0x80000000, v0
	v_lshl_add_u32 v13, v14, 23, v13
	v_or3_b32 v5, v0, v13, v5
.LBB6_19329:                            ;   in Loop: Header=BB6_16537 Depth=3
	s_or_b64 exec, exec, s[34:35]
.LBB6_19330:                            ;   in Loop: Header=BB6_16537 Depth=3
	s_or_b64 exec, exec, s[30:31]
.LBB6_19331:                            ;   in Loop: Header=BB6_16537 Depth=3
	s_or_b64 exec, exec, s[28:29]
	v_lshrrev_b16_e32 v13, 8, v8
	v_cmp_ne_u16_e32 vcc, 0, v13
	s_and_saveexec_b64 s[28:29], vcc
	s_cbranch_execz .LBB6_19337
; %bb.19332:                            ;   in Loop: Header=BB6_16537 Depth=3
	v_cmp_ne_u16_e32 vcc, s96, v13
	v_bfrev_b32_e32 v3, 1
	s_and_saveexec_b64 s[30:31], vcc
	s_cbranch_execz .LBB6_19336
; %bb.19333:                            ;   in Loop: Header=BB6_16537 Depth=3
	v_and_b32_e32 v0, 0x7f, v13
	v_cmp_ne_u32_e32 vcc, s86, v0
	v_mov_b32_e32 v3, 0x7f800001
	s_and_saveexec_b64 s[34:35], vcc
	s_cbranch_execz .LBB6_19335
; %bb.19334:                            ;   in Loop: Header=BB6_16537 Depth=3
	v_and_b32_e32 v3, 7, v13
	v_lshrrev_b32_e32 v15, 3, v0
	v_cmp_gt_u32_e32 vcc, 8, v0
	v_ffbh_u32_e32 v0, v3
	v_min_u32_e32 v0, 32, v0
	v_subrev_u32_e32 v14, 28, v0
	v_lshlrev_b64 v[13:14], v14, v[13:14]
	v_sub_u32_e32 v0, 29, v0
	v_and_b32_e32 v13, 7, v13
	v_cndmask_b32_e32 v0, v15, v0, vcc
	v_cndmask_b32_e32 v3, v3, v13, vcc
	v_lshlrev_b32_e32 v13, 16, v8
	v_bfrev_b32_e32 v14, 60
	v_lshlrev_b32_e32 v3, 20, v3
	v_and_b32_e32 v13, 0x80000000, v13
	v_lshl_add_u32 v0, v0, 23, v14
	v_or3_b32 v3, v13, v0, v3
.LBB6_19335:                            ;   in Loop: Header=BB6_16537 Depth=3
	s_or_b64 exec, exec, s[34:35]
.LBB6_19336:                            ;   in Loop: Header=BB6_16537 Depth=3
	s_or_b64 exec, exec, s[30:31]
.LBB6_19337:                            ;   in Loop: Header=BB6_16537 Depth=3
	s_or_b64 exec, exec, s[28:29]
	v_add_f32_e32 v3, v5, v3
	v_and_b32_e32 v13, 0x7f800000, v3
	v_mov_b32_e32 v14, v51
	v_cmp_ne_u64_e32 vcc, s[76:77], v[13:14]
                                        ; implicit-def: $vgpr54
	s_and_saveexec_b64 s[28:29], vcc
	s_xor_b64 s[30:31], exec, s[28:29]
	s_cbranch_execz .LBB6_19351
; %bb.19338:                            ;   in Loop: Header=BB6_16537 Depth=3
	v_and_b32_e32 v13, 0x7fffffff, v3
	v_mov_b32_e32 v14, v51
	v_cmp_gt_u64_e32 vcc, s[78:79], v[13:14]
	v_and_b32_sdwa v0, v3, s96 dst_sel:DWORD dst_unused:UNUSED_PAD src0_sel:BYTE_3 src1_sel:DWORD
                                        ; implicit-def: $vgpr54
	s_and_saveexec_b64 s[28:29], vcc
	s_xor_b64 s[34:35], exec, s[28:29]
	s_cbranch_execz .LBB6_19348
; %bb.19339:                            ;   in Loop: Header=BB6_16537 Depth=3
	v_mov_b32_e32 v54, 0
	v_cmp_ne_u32_e32 vcc, 0, v3
	s_and_saveexec_b64 s[36:37], vcc
	s_cbranch_execz .LBB6_19347
; %bb.19340:                            ;   in Loop: Header=BB6_16537 Depth=3
	v_and_b32_e32 v13, 0x7fffff, v3
	v_bfe_u32 v3, v3, 23, 8
	v_cmp_gt_u32_e64 s[28:29], s97, v3
	v_sub_u32_e32 v5, 0x79, v3
	v_cmp_eq_u32_e32 vcc, 0, v3
	v_cndmask_b32_e64 v5, 0, v5, s[28:29]
	v_mov_b32_e32 v15, 0x78
	v_cndmask_b32_e32 v5, v5, v15, vcc
	v_add_u32_e32 v15, 20, v5
	v_or_b32_e32 v14, 0x800000, v13
	v_lshlrev_b64 v[24:25], v15, -1
	v_cndmask_b32_e32 v13, v14, v13, vcc
	v_mov_b32_e32 v14, v51
	v_add_u32_e32 v15, 19, v5
	v_bfi_b32 v24, v24, 0, v13
	v_lshlrev_b64 v[52:53], v15, 1
	v_lshrrev_b64 v[13:14], v5, v[13:14]
	v_bfi_b32 v25, v25, 0, 0
	v_cmp_eq_u64_e64 s[28:29], v[24:25], v[52:53]
	v_mov_b32_e32 v15, v14
	v_mov_b32_e32 v14, v13
	s_and_saveexec_b64 s[38:39], s[28:29]
; %bb.19341:                            ;   in Loop: Header=BB6_16537 Depth=3
	v_bfe_u32 v14, v13, 20, 1
	v_add_co_u32_e64 v14, s[28:29], v13, v14
	v_add_co_u32_e64 v14, s[28:29], -1, v14
; %bb.19342:                            ;   in Loop: Header=BB6_16537 Depth=3
	s_or_b64 exec, exec, s[38:39]
	v_add_u32_e32 v3, 0xffffff81, v3
	v_mov_b32_e32 v15, 0xffffff82
	v_cndmask_b32_e32 v3, v3, v15, vcc
	v_lshrrev_b32_e32 v15, 23, v13
	v_add3_u32 v15, v5, v3, v15
	v_add_u32_e32 v5, 6, v15
	v_and_b32_e32 v3, 0xfffff, v14
	v_add_u32_e32 v13, v3, v13
	v_mov_b32_e32 v14, v51
	v_cmp_ne_u32_e32 vcc, 0, v5
                                        ; implicit-def: $vgpr3
	s_and_saveexec_b64 s[28:29], vcc
	s_xor_b64 s[28:29], exec, s[28:29]
; %bb.19343:                            ;   in Loop: Header=BB6_16537 Depth=3
	v_cmp_lt_u64_e32 vcc, s[88:89], v[13:14]
	v_add_u32_e32 v3, 7, v15
	v_cndmask_b32_e32 v3, v5, v3, vcc
	v_cndmask_b32_e64 v5, 0, 1, vcc
	v_lshrrev_b64 v[13:14], v5, v[13:14]
; %bb.19344:                            ;   in Loop: Header=BB6_16537 Depth=3
	s_andn2_saveexec_b64 s[28:29], s[28:29]
; %bb.19345:                            ;   in Loop: Header=BB6_16537 Depth=3
	v_bfe_u32 v3, v13, 23, 1
; %bb.19346:                            ;   in Loop: Header=BB6_16537 Depth=3
	s_or_b64 exec, exec, s[28:29]
	v_lshrrev_b64 v[13:14], 20, v[13:14]
	v_cmp_gt_i32_e32 vcc, 16, v3
	v_cndmask_b32_e32 v14, 0, v14, vcc
	v_cndmask_b32_e32 v13, 7, v13, vcc
	v_cmp_eq_u32_e32 vcc, 0, v3
	v_min_i32_e32 v3, 15, v3
	v_cmp_eq_u64_e64 s[28:29], 0, v[13:14]
	v_lshlrev_b32_e32 v3, 3, v3
	v_and_b32_e32 v3, 0xf8, v3
	v_and_or_b32 v3, v13, 7, v3
	s_and_b64 s[28:29], vcc, s[28:29]
	v_cndmask_b32_e64 v3, v3, 0, s[28:29]
	v_or_b32_e32 v54, v3, v0
.LBB6_19347:                            ;   in Loop: Header=BB6_16537 Depth=3
	s_or_b64 exec, exec, s[36:37]
                                        ; implicit-def: $vgpr0
.LBB6_19348:                            ;   in Loop: Header=BB6_16537 Depth=3
	s_andn2_saveexec_b64 s[28:29], s[34:35]
; %bb.19349:                            ;   in Loop: Header=BB6_16537 Depth=3
	v_or_b32_e32 v54, 0x7e, v0
; %bb.19350:                            ;   in Loop: Header=BB6_16537 Depth=3
	s_or_b64 exec, exec, s[28:29]
                                        ; implicit-def: $vgpr3
.LBB6_19351:                            ;   in Loop: Header=BB6_16537 Depth=3
	s_andn2_saveexec_b64 s[28:29], s[30:31]
; %bb.19352:                            ;   in Loop: Header=BB6_16537 Depth=3
	v_or_b32_sdwa v54, v3, s86 dst_sel:DWORD dst_unused:UNUSED_PAD src0_sel:BYTE_3 src1_sel:DWORD
; %bb.19353:                            ;   in Loop: Header=BB6_16537 Depth=3
	s_or_b64 exec, exec, s[28:29]
	v_lshrrev_b32_e32 v13, 16, v12
	v_cmp_ne_u16_sdwa vcc, v13, v51 src0_sel:BYTE_0 src1_sel:DWORD
	v_mov_b32_e32 v0, 0
	v_mov_b32_e32 v3, 0
	s_and_saveexec_b64 s[28:29], vcc
	s_cbranch_execz .LBB6_19359
; %bb.19354:                            ;   in Loop: Header=BB6_16537 Depth=3
	v_cmp_ne_u16_sdwa vcc, v13, s96 src0_sel:BYTE_0 src1_sel:DWORD
	v_bfrev_b32_e32 v3, 1
	s_and_saveexec_b64 s[30:31], vcc
	s_cbranch_execz .LBB6_19358
; %bb.19355:                            ;   in Loop: Header=BB6_16537 Depth=3
	v_bfe_u32 v5, v12, 16, 7
	v_cmp_ne_u32_e32 vcc, s86, v5
	v_mov_b32_e32 v3, 0x7f800001
	s_and_saveexec_b64 s[34:35], vcc
	s_cbranch_execz .LBB6_19357
; %bb.19356:                            ;   in Loop: Header=BB6_16537 Depth=3
	v_and_b32_e32 v3, 7, v13
	v_lshrrev_b32_e32 v24, 3, v5
	v_cmp_gt_u32_e32 vcc, 8, v5
	v_ffbh_u32_e32 v5, v3
	v_min_u32_e32 v5, 32, v5
	v_subrev_u32_e32 v14, 28, v5
	v_lshlrev_b64 v[14:15], v14, v[13:14]
	v_sub_u32_e32 v5, 29, v5
	v_and_b32_e32 v14, 7, v14
	v_cndmask_b32_e32 v5, v24, v5, vcc
	v_cndmask_b32_e32 v3, v3, v14, vcc
	v_lshlrev_b32_e32 v13, 24, v13
	v_bfrev_b32_e32 v14, 60
	v_lshlrev_b32_e32 v3, 20, v3
	v_and_b32_e32 v13, 0x80000000, v13
	v_lshl_add_u32 v5, v5, 23, v14
	v_or3_b32 v3, v13, v5, v3
.LBB6_19357:                            ;   in Loop: Header=BB6_16537 Depth=3
	s_or_b64 exec, exec, s[34:35]
.LBB6_19358:                            ;   in Loop: Header=BB6_16537 Depth=3
	s_or_b64 exec, exec, s[30:31]
.LBB6_19359:                            ;   in Loop: Header=BB6_16537 Depth=3
	s_or_b64 exec, exec, s[28:29]
	v_lshrrev_b32_e32 v13, 16, v8
	v_cmp_ne_u16_sdwa vcc, v13, v51 src0_sel:BYTE_0 src1_sel:DWORD
	s_and_saveexec_b64 s[28:29], vcc
	s_cbranch_execz .LBB6_19365
; %bb.19360:                            ;   in Loop: Header=BB6_16537 Depth=3
	v_cmp_ne_u16_sdwa vcc, v13, s96 src0_sel:BYTE_0 src1_sel:DWORD
	v_bfrev_b32_e32 v0, 1
	s_and_saveexec_b64 s[30:31], vcc
	s_cbranch_execz .LBB6_19364
; %bb.19361:                            ;   in Loop: Header=BB6_16537 Depth=3
	v_bfe_u32 v5, v8, 16, 7
	v_cmp_ne_u32_e32 vcc, s86, v5
	v_mov_b32_e32 v0, 0x7f800001
	s_and_saveexec_b64 s[34:35], vcc
	s_cbranch_execz .LBB6_19363
; %bb.19362:                            ;   in Loop: Header=BB6_16537 Depth=3
	v_and_b32_e32 v0, 7, v13
	v_lshrrev_b32_e32 v15, 3, v5
	v_cmp_gt_u32_e32 vcc, 8, v5
	v_ffbh_u32_e32 v5, v0
	v_min_u32_e32 v5, 32, v5
	v_subrev_u32_e32 v14, 28, v5
	v_lshlrev_b64 v[13:14], v14, v[13:14]
	v_sub_u32_e32 v5, 29, v5
	v_and_b32_e32 v13, 7, v13
	v_cndmask_b32_e32 v5, v15, v5, vcc
	v_cndmask_b32_e32 v0, v0, v13, vcc
	v_lshlrev_b32_e32 v13, 8, v8
	v_bfrev_b32_e32 v14, 60
	v_lshlrev_b32_e32 v0, 20, v0
	v_and_b32_e32 v13, 0x80000000, v13
	v_lshl_add_u32 v5, v5, 23, v14
	v_or3_b32 v0, v13, v5, v0
.LBB6_19363:                            ;   in Loop: Header=BB6_16537 Depth=3
	s_or_b64 exec, exec, s[34:35]
.LBB6_19364:                            ;   in Loop: Header=BB6_16537 Depth=3
	s_or_b64 exec, exec, s[30:31]
.LBB6_19365:                            ;   in Loop: Header=BB6_16537 Depth=3
	s_or_b64 exec, exec, s[28:29]
	v_add_f32_e32 v3, v3, v0
	v_and_b32_e32 v13, 0x7f800000, v3
	v_mov_b32_e32 v14, v51
	v_cmp_ne_u64_e32 vcc, s[76:77], v[13:14]
                                        ; implicit-def: $vgpr52
	s_and_saveexec_b64 s[28:29], vcc
	s_xor_b64 s[30:31], exec, s[28:29]
	s_cbranch_execz .LBB6_19379
; %bb.19366:                            ;   in Loop: Header=BB6_16537 Depth=3
	v_and_b32_e32 v13, 0x7fffffff, v3
	v_mov_b32_e32 v14, v51
	v_cmp_gt_u64_e32 vcc, s[78:79], v[13:14]
	v_and_b32_sdwa v0, v3, s96 dst_sel:DWORD dst_unused:UNUSED_PAD src0_sel:BYTE_3 src1_sel:DWORD
                                        ; implicit-def: $vgpr52
	s_and_saveexec_b64 s[28:29], vcc
	s_xor_b64 s[34:35], exec, s[28:29]
	s_cbranch_execz .LBB6_19376
; %bb.19367:                            ;   in Loop: Header=BB6_16537 Depth=3
	v_mov_b32_e32 v52, 0
	v_cmp_ne_u32_e32 vcc, 0, v3
	s_and_saveexec_b64 s[36:37], vcc
	s_cbranch_execz .LBB6_19375
; %bb.19368:                            ;   in Loop: Header=BB6_16537 Depth=3
	v_and_b32_e32 v13, 0x7fffff, v3
	v_bfe_u32 v3, v3, 23, 8
	v_cmp_gt_u32_e64 s[28:29], s97, v3
	v_sub_u32_e32 v5, 0x79, v3
	v_cmp_eq_u32_e32 vcc, 0, v3
	v_cndmask_b32_e64 v5, 0, v5, s[28:29]
	v_mov_b32_e32 v15, 0x78
	v_cndmask_b32_e32 v5, v5, v15, vcc
	v_add_u32_e32 v15, 20, v5
	v_or_b32_e32 v14, 0x800000, v13
	v_lshlrev_b64 v[24:25], v15, -1
	v_cndmask_b32_e32 v13, v14, v13, vcc
	v_mov_b32_e32 v14, v51
	v_add_u32_e32 v15, 19, v5
	v_bfi_b32 v24, v24, 0, v13
	v_lshlrev_b64 v[52:53], v15, 1
	v_lshrrev_b64 v[13:14], v5, v[13:14]
	v_bfi_b32 v25, v25, 0, 0
	v_cmp_eq_u64_e64 s[28:29], v[24:25], v[52:53]
	v_mov_b32_e32 v15, v14
	v_mov_b32_e32 v14, v13
	s_and_saveexec_b64 s[38:39], s[28:29]
; %bb.19369:                            ;   in Loop: Header=BB6_16537 Depth=3
	v_bfe_u32 v14, v13, 20, 1
	v_add_co_u32_e64 v14, s[28:29], v13, v14
	v_add_co_u32_e64 v14, s[28:29], -1, v14
; %bb.19370:                            ;   in Loop: Header=BB6_16537 Depth=3
	s_or_b64 exec, exec, s[38:39]
	v_add_u32_e32 v3, 0xffffff81, v3
	v_mov_b32_e32 v15, 0xffffff82
	v_cndmask_b32_e32 v3, v3, v15, vcc
	v_lshrrev_b32_e32 v15, 23, v13
	v_add3_u32 v15, v5, v3, v15
	v_add_u32_e32 v5, 6, v15
	v_and_b32_e32 v3, 0xfffff, v14
	v_add_u32_e32 v13, v3, v13
	v_mov_b32_e32 v14, v51
	v_cmp_ne_u32_e32 vcc, 0, v5
                                        ; implicit-def: $vgpr3
	s_and_saveexec_b64 s[28:29], vcc
	s_xor_b64 s[28:29], exec, s[28:29]
; %bb.19371:                            ;   in Loop: Header=BB6_16537 Depth=3
	v_cmp_lt_u64_e32 vcc, s[88:89], v[13:14]
	v_add_u32_e32 v3, 7, v15
	v_cndmask_b32_e32 v3, v5, v3, vcc
	v_cndmask_b32_e64 v5, 0, 1, vcc
	v_lshrrev_b64 v[13:14], v5, v[13:14]
; %bb.19372:                            ;   in Loop: Header=BB6_16537 Depth=3
	s_andn2_saveexec_b64 s[28:29], s[28:29]
; %bb.19373:                            ;   in Loop: Header=BB6_16537 Depth=3
	v_bfe_u32 v3, v13, 23, 1
; %bb.19374:                            ;   in Loop: Header=BB6_16537 Depth=3
	s_or_b64 exec, exec, s[28:29]
	v_lshrrev_b64 v[13:14], 20, v[13:14]
	v_cmp_gt_i32_e32 vcc, 16, v3
	v_cndmask_b32_e32 v14, 0, v14, vcc
	v_cndmask_b32_e32 v13, 7, v13, vcc
	v_cmp_eq_u32_e32 vcc, 0, v3
	v_min_i32_e32 v3, 15, v3
	v_cmp_eq_u64_e64 s[28:29], 0, v[13:14]
	v_lshlrev_b32_e32 v3, 3, v3
	v_and_b32_e32 v3, 0xf8, v3
	v_and_or_b32 v3, v13, 7, v3
	s_and_b64 s[28:29], vcc, s[28:29]
	v_cndmask_b32_e64 v3, v3, 0, s[28:29]
	v_or_b32_e32 v52, v3, v0
.LBB6_19375:                            ;   in Loop: Header=BB6_16537 Depth=3
	s_or_b64 exec, exec, s[36:37]
                                        ; implicit-def: $vgpr0
.LBB6_19376:                            ;   in Loop: Header=BB6_16537 Depth=3
	s_andn2_saveexec_b64 s[28:29], s[34:35]
; %bb.19377:                            ;   in Loop: Header=BB6_16537 Depth=3
	v_or_b32_e32 v52, 0x7e, v0
; %bb.19378:                            ;   in Loop: Header=BB6_16537 Depth=3
	s_or_b64 exec, exec, s[28:29]
                                        ; implicit-def: $vgpr3
.LBB6_19379:                            ;   in Loop: Header=BB6_16537 Depth=3
	s_andn2_saveexec_b64 s[28:29], s[30:31]
; %bb.19380:                            ;   in Loop: Header=BB6_16537 Depth=3
	v_or_b32_sdwa v52, v3, s86 dst_sel:DWORD dst_unused:UNUSED_PAD src0_sel:BYTE_3 src1_sel:DWORD
; %bb.19381:                            ;   in Loop: Header=BB6_16537 Depth=3
	s_or_b64 exec, exec, s[28:29]
	v_cmp_lt_u32_e32 vcc, s57, v12
	v_mov_b32_e32 v0, 0
	v_mov_b32_e32 v3, 0
	s_and_saveexec_b64 s[28:29], vcc
	s_cbranch_execz .LBB6_19387
; %bb.19382:                            ;   in Loop: Header=BB6_16537 Depth=3
	v_lshrrev_b32_e32 v13, 24, v12
	v_cmp_ne_u32_sdwa vcc, v12, s96 src0_sel:BYTE_3 src1_sel:DWORD
	v_bfrev_b32_e32 v3, 1
	s_and_saveexec_b64 s[30:31], vcc
	s_cbranch_execz .LBB6_19386
; %bb.19383:                            ;   in Loop: Header=BB6_16537 Depth=3
	v_bfe_u32 v5, v12, 24, 7
	v_cmp_ne_u32_e32 vcc, s86, v5
	v_mov_b32_e32 v3, 0x7f800001
	s_and_saveexec_b64 s[34:35], vcc
	s_cbranch_execz .LBB6_19385
; %bb.19384:                            ;   in Loop: Header=BB6_16537 Depth=3
	v_and_b32_e32 v3, 7, v13
	v_lshrrev_b32_e32 v15, 3, v5
	v_cmp_gt_u32_e32 vcc, 8, v5
	v_ffbh_u32_e32 v5, v3
	v_min_u32_e32 v5, 32, v5
	v_subrev_u32_e32 v14, 28, v5
	v_lshlrev_b64 v[13:14], v14, v[13:14]
	v_sub_u32_e32 v5, 29, v5
	v_and_b32_e32 v13, 7, v13
	v_cndmask_b32_e32 v3, v3, v13, vcc
	v_mov_b32_e32 v13, 24
	v_cndmask_b32_e32 v5, v15, v5, vcc
	v_lshlrev_b32_sdwa v12, v13, v12 dst_sel:DWORD dst_unused:UNUSED_PAD src0_sel:DWORD src1_sel:BYTE_3
	v_bfrev_b32_e32 v13, 60
	v_lshlrev_b32_e32 v3, 20, v3
	v_and_b32_e32 v12, 0x80000000, v12
	v_lshl_add_u32 v5, v5, 23, v13
	v_or3_b32 v3, v12, v5, v3
.LBB6_19385:                            ;   in Loop: Header=BB6_16537 Depth=3
	s_or_b64 exec, exec, s[34:35]
.LBB6_19386:                            ;   in Loop: Header=BB6_16537 Depth=3
	s_or_b64 exec, exec, s[30:31]
.LBB6_19387:                            ;   in Loop: Header=BB6_16537 Depth=3
	s_or_b64 exec, exec, s[28:29]
	v_cmp_lt_u32_e32 vcc, s57, v8
	s_and_saveexec_b64 s[28:29], vcc
	s_cbranch_execz .LBB6_19393
; %bb.19388:                            ;   in Loop: Header=BB6_16537 Depth=3
	v_lshrrev_b32_e32 v12, 24, v8
	v_cmp_ne_u32_e32 vcc, s96, v12
	v_bfrev_b32_e32 v0, 1
	s_and_saveexec_b64 s[30:31], vcc
	s_cbranch_execz .LBB6_19392
; %bb.19389:                            ;   in Loop: Header=BB6_16537 Depth=3
	v_bfe_u32 v5, v8, 24, 7
	v_cmp_ne_u32_e32 vcc, s86, v5
	v_mov_b32_e32 v0, 0x7f800001
	s_and_saveexec_b64 s[34:35], vcc
	s_cbranch_execz .LBB6_19391
; %bb.19390:                            ;   in Loop: Header=BB6_16537 Depth=3
	v_and_b32_e32 v0, 7, v12
	v_lshrrev_b32_e32 v15, 3, v5
	v_cmp_gt_u32_e32 vcc, 8, v5
	v_ffbh_u32_e32 v5, v0
	v_min_u32_e32 v5, 32, v5
	v_subrev_u32_e32 v13, 28, v5
	v_lshlrev_b64 v[13:14], v13, v[12:13]
	v_sub_u32_e32 v5, 29, v5
	v_and_b32_e32 v13, 7, v13
	v_cndmask_b32_e32 v5, v15, v5, vcc
	v_cndmask_b32_e32 v0, v0, v13, vcc
	v_lshlrev_b32_e32 v12, 24, v12
	v_bfrev_b32_e32 v13, 60
	v_lshlrev_b32_e32 v0, 20, v0
	v_and_b32_e32 v12, 0x80000000, v12
	v_lshl_add_u32 v5, v5, 23, v13
	v_or3_b32 v0, v12, v5, v0
.LBB6_19391:                            ;   in Loop: Header=BB6_16537 Depth=3
	s_or_b64 exec, exec, s[34:35]
.LBB6_19392:                            ;   in Loop: Header=BB6_16537 Depth=3
	s_or_b64 exec, exec, s[30:31]
.LBB6_19393:                            ;   in Loop: Header=BB6_16537 Depth=3
	s_or_b64 exec, exec, s[28:29]
	v_add_f32_e32 v3, v3, v0
	v_and_b32_e32 v12, 0x7f800000, v3
	v_mov_b32_e32 v13, v51
	v_cmp_ne_u64_e32 vcc, s[76:77], v[12:13]
                                        ; implicit-def: $vgpr53
	s_and_saveexec_b64 s[28:29], vcc
	s_xor_b64 s[30:31], exec, s[28:29]
	s_cbranch_execz .LBB6_19407
; %bb.19394:                            ;   in Loop: Header=BB6_16537 Depth=3
	v_and_b32_e32 v12, 0x7fffffff, v3
	v_mov_b32_e32 v13, v51
	v_cmp_gt_u64_e32 vcc, s[78:79], v[12:13]
	v_and_b32_sdwa v0, v3, s96 dst_sel:DWORD dst_unused:UNUSED_PAD src0_sel:BYTE_3 src1_sel:DWORD
                                        ; implicit-def: $vgpr53
	s_and_saveexec_b64 s[28:29], vcc
	s_xor_b64 s[34:35], exec, s[28:29]
	s_cbranch_execz .LBB6_19404
; %bb.19395:                            ;   in Loop: Header=BB6_16537 Depth=3
	v_mov_b32_e32 v53, 0
	v_cmp_ne_u32_e32 vcc, 0, v3
	s_and_saveexec_b64 s[36:37], vcc
	s_cbranch_execz .LBB6_19403
; %bb.19396:                            ;   in Loop: Header=BB6_16537 Depth=3
	v_and_b32_e32 v12, 0x7fffff, v3
	v_bfe_u32 v3, v3, 23, 8
	v_cmp_gt_u32_e64 s[28:29], s97, v3
	v_sub_u32_e32 v5, 0x79, v3
	v_cmp_eq_u32_e32 vcc, 0, v3
	v_cndmask_b32_e64 v5, 0, v5, s[28:29]
	v_mov_b32_e32 v14, 0x78
	v_cndmask_b32_e32 v5, v5, v14, vcc
	v_add_u32_e32 v14, 20, v5
	v_or_b32_e32 v13, 0x800000, v12
	v_lshlrev_b64 v[14:15], v14, -1
	v_cndmask_b32_e32 v12, v13, v12, vcc
	v_mov_b32_e32 v13, v51
	v_add_u32_e32 v24, 19, v5
	v_bfi_b32 v14, v14, 0, v12
	v_lshlrev_b64 v[24:25], v24, 1
	v_lshrrev_b64 v[12:13], v5, v[12:13]
	v_bfi_b32 v15, v15, 0, 0
	v_cmp_eq_u64_e64 s[28:29], v[14:15], v[24:25]
	v_mov_b32_e32 v14, v13
	v_mov_b32_e32 v13, v12
	s_and_saveexec_b64 s[38:39], s[28:29]
; %bb.19397:                            ;   in Loop: Header=BB6_16537 Depth=3
	v_bfe_u32 v13, v12, 20, 1
	v_add_co_u32_e64 v13, s[28:29], v12, v13
	v_add_co_u32_e64 v13, s[28:29], -1, v13
; %bb.19398:                            ;   in Loop: Header=BB6_16537 Depth=3
	s_or_b64 exec, exec, s[38:39]
	v_add_u32_e32 v3, 0xffffff81, v3
	v_mov_b32_e32 v14, 0xffffff82
	v_cndmask_b32_e32 v3, v3, v14, vcc
	v_lshrrev_b32_e32 v14, 23, v12
	v_add3_u32 v14, v5, v3, v14
	v_add_u32_e32 v5, 6, v14
	v_and_b32_e32 v3, 0xfffff, v13
	v_add_u32_e32 v12, v3, v12
	v_mov_b32_e32 v13, v51
	v_cmp_ne_u32_e32 vcc, 0, v5
                                        ; implicit-def: $vgpr3
	s_and_saveexec_b64 s[28:29], vcc
	s_xor_b64 s[28:29], exec, s[28:29]
; %bb.19399:                            ;   in Loop: Header=BB6_16537 Depth=3
	v_cmp_lt_u64_e32 vcc, s[88:89], v[12:13]
	v_add_u32_e32 v3, 7, v14
	v_cndmask_b32_e32 v3, v5, v3, vcc
	v_cndmask_b32_e64 v5, 0, 1, vcc
	v_lshrrev_b64 v[12:13], v5, v[12:13]
; %bb.19400:                            ;   in Loop: Header=BB6_16537 Depth=3
	s_andn2_saveexec_b64 s[28:29], s[28:29]
; %bb.19401:                            ;   in Loop: Header=BB6_16537 Depth=3
	v_bfe_u32 v3, v12, 23, 1
; %bb.19402:                            ;   in Loop: Header=BB6_16537 Depth=3
	s_or_b64 exec, exec, s[28:29]
	v_lshrrev_b64 v[12:13], 20, v[12:13]
	v_cmp_gt_i32_e32 vcc, 16, v3
	v_cndmask_b32_e32 v13, 0, v13, vcc
	v_cndmask_b32_e32 v12, 7, v12, vcc
	v_cmp_eq_u32_e32 vcc, 0, v3
	v_min_i32_e32 v3, 15, v3
	v_cmp_eq_u64_e64 s[28:29], 0, v[12:13]
	v_lshlrev_b32_e32 v3, 3, v3
	v_and_b32_e32 v3, 0xf8, v3
	v_and_or_b32 v3, v12, 7, v3
	s_and_b64 s[28:29], vcc, s[28:29]
	v_cndmask_b32_e64 v3, v3, 0, s[28:29]
	v_or_b32_e32 v53, v3, v0
.LBB6_19403:                            ;   in Loop: Header=BB6_16537 Depth=3
	s_or_b64 exec, exec, s[36:37]
                                        ; implicit-def: $vgpr0
.LBB6_19404:                            ;   in Loop: Header=BB6_16537 Depth=3
	s_andn2_saveexec_b64 s[28:29], s[34:35]
; %bb.19405:                            ;   in Loop: Header=BB6_16537 Depth=3
	v_or_b32_e32 v53, 0x7e, v0
; %bb.19406:                            ;   in Loop: Header=BB6_16537 Depth=3
	s_or_b64 exec, exec, s[28:29]
                                        ; implicit-def: $vgpr3
.LBB6_19407:                            ;   in Loop: Header=BB6_16537 Depth=3
	s_andn2_saveexec_b64 s[28:29], s[30:31]
; %bb.19408:                            ;   in Loop: Header=BB6_16537 Depth=3
	v_or_b32_sdwa v53, v3, s86 dst_sel:DWORD dst_unused:UNUSED_PAD src0_sel:BYTE_3 src1_sel:DWORD
; %bb.19409:                            ;   in Loop: Header=BB6_16537 Depth=3
	s_or_b64 exec, exec, s[28:29]
	buffer_load_dword v0, off, s[0:3], s33 offset:120 ; 4-byte Folded Reload
	buffer_load_dword v3, off, s[0:3], s33 offset:140 ; 4-byte Folded Reload
	;; [unrolled: 1-line block ×3, first 2 shown]
	v_mov_b32_e32 v13, v51
	v_cmp_ne_u32_e32 vcc, 0, v2
	s_waitcnt vmcnt(2)
	v_lshl_or_b32 v0, v0, 8, v2
	s_waitcnt vmcnt(1)
	v_lshlrev_b32_e32 v3, 16, v3
	s_waitcnt vmcnt(0)
	v_lshlrev_b32_e32 v5, 24, v5
	v_or3_b32 v12, v3, v5, v0
	v_mov_b32_e32 v5, 0
	v_mov_b32_e32 v3, 0
	s_and_saveexec_b64 s[28:29], vcc
	s_cbranch_execz .LBB6_19415
; %bb.19410:                            ;   in Loop: Header=BB6_16537 Depth=3
	v_cmp_ne_u32_e32 vcc, s96, v2
	v_bfrev_b32_e32 v3, 1
	s_and_saveexec_b64 s[30:31], vcc
	s_cbranch_execz .LBB6_19414
; %bb.19411:                            ;   in Loop: Header=BB6_16537 Depth=3
	v_and_b32_e32 v14, 0x7f, v2
	v_cmp_ne_u32_e32 vcc, s86, v14
	v_mov_b32_e32 v3, 0x7f800001
	s_and_saveexec_b64 s[34:35], vcc
	s_cbranch_execz .LBB6_19413
; %bb.19412:                            ;   in Loop: Header=BB6_16537 Depth=3
	v_and_b32_e32 v2, 7, v2
	v_ffbh_u32_e32 v2, v2
	v_min_u32_e32 v2, 32, v2
	v_lshrrev_b32_e32 v3, 3, v14
	v_cmp_gt_u32_e32 vcc, 8, v14
	v_subrev_u32_e32 v14, 28, v2
	v_sub_u32_e32 v2, 29, v2
	v_cndmask_b32_e32 v15, v3, v2, vcc
	v_cndmask_b32_e32 v2, 0, v14, vcc
	v_lshlrev_b64 v[2:3], v2, v[12:13]
	v_lshlrev_b32_e32 v3, 24, v12
	v_lshlrev_b32_e32 v2, 20, v2
	v_bfrev_b32_e32 v13, 60
	v_and_b32_e32 v2, 0x700000, v2
	v_and_b32_e32 v3, 0x80000000, v3
	v_lshl_add_u32 v13, v15, 23, v13
	v_or3_b32 v3, v3, v13, v2
.LBB6_19413:                            ;   in Loop: Header=BB6_16537 Depth=3
	s_or_b64 exec, exec, s[34:35]
.LBB6_19414:                            ;   in Loop: Header=BB6_16537 Depth=3
	s_or_b64 exec, exec, s[30:31]
.LBB6_19415:                            ;   in Loop: Header=BB6_16537 Depth=3
	s_or_b64 exec, exec, s[28:29]
	v_cmp_ne_u16_sdwa vcc, v9, v51 src0_sel:BYTE_0 src1_sel:DWORD
	s_and_saveexec_b64 s[28:29], vcc
	s_cbranch_execz .LBB6_19421
; %bb.19416:                            ;   in Loop: Header=BB6_16537 Depth=3
	v_cmp_ne_u16_sdwa vcc, v9, s96 src0_sel:BYTE_0 src1_sel:DWORD
	v_bfrev_b32_e32 v5, 1
	s_and_saveexec_b64 s[30:31], vcc
	s_cbranch_execz .LBB6_19420
; %bb.19417:                            ;   in Loop: Header=BB6_16537 Depth=3
	v_and_b32_e32 v2, 0x7f, v9
	v_cmp_ne_u32_e32 vcc, s86, v2
	v_mov_b32_e32 v5, 0x7f800001
	s_and_saveexec_b64 s[34:35], vcc
	s_cbranch_execz .LBB6_19419
; %bb.19418:                            ;   in Loop: Header=BB6_16537 Depth=3
	v_and_b32_e32 v5, 7, v9
	v_lshrrev_b32_e32 v15, 3, v2
	v_cmp_gt_u32_e32 vcc, 8, v2
	v_ffbh_u32_e32 v2, v5
	v_min_u32_e32 v2, 32, v2
	v_subrev_u32_e32 v5, 28, v2
	v_mov_b32_e32 v13, v9
	v_mov_b32_e32 v14, v51
	v_sub_u32_e32 v2, 29, v2
	v_cndmask_b32_e32 v5, 0, v5, vcc
	v_cndmask_b32_e32 v2, v15, v2, vcc
	v_lshlrev_b64 v[14:15], v5, v[13:14]
	v_lshlrev_b32_e32 v13, 24, v13
	v_lshlrev_b32_e32 v5, 20, v14
	v_bfrev_b32_e32 v14, 60
	v_and_b32_e32 v5, 0x700000, v5
	v_and_b32_e32 v13, 0x80000000, v13
	v_lshl_add_u32 v2, v2, 23, v14
	v_or3_b32 v5, v13, v2, v5
.LBB6_19419:                            ;   in Loop: Header=BB6_16537 Depth=3
	s_or_b64 exec, exec, s[34:35]
.LBB6_19420:                            ;   in Loop: Header=BB6_16537 Depth=3
	s_or_b64 exec, exec, s[30:31]
.LBB6_19421:                            ;   in Loop: Header=BB6_16537 Depth=3
	s_or_b64 exec, exec, s[28:29]
	v_add_f32_e32 v5, v3, v5
	v_and_b32_e32 v2, 0x7f800000, v5
	v_mov_b32_e32 v3, v51
	v_cmp_ne_u64_e32 vcc, s[76:77], v[2:3]
                                        ; implicit-def: $vgpr2
	s_and_saveexec_b64 s[28:29], vcc
	s_xor_b64 s[30:31], exec, s[28:29]
	s_cbranch_execz .LBB6_19435
; %bb.19422:                            ;   in Loop: Header=BB6_16537 Depth=3
	v_and_b32_e32 v2, 0x7fffffff, v5
	v_mov_b32_e32 v3, v51
	v_cmp_gt_u64_e32 vcc, s[78:79], v[2:3]
	v_and_b32_sdwa v3, v5, s96 dst_sel:DWORD dst_unused:UNUSED_PAD src0_sel:BYTE_3 src1_sel:DWORD
                                        ; implicit-def: $vgpr2
	s_and_saveexec_b64 s[28:29], vcc
	s_xor_b64 s[34:35], exec, s[28:29]
	s_cbranch_execz .LBB6_19432
; %bb.19423:                            ;   in Loop: Header=BB6_16537 Depth=3
	v_mov_b32_e32 v2, 0
	v_cmp_ne_u32_e32 vcc, 0, v5
	s_and_saveexec_b64 s[36:37], vcc
	s_cbranch_execz .LBB6_19431
; %bb.19424:                            ;   in Loop: Header=BB6_16537 Depth=3
	v_bfe_u32 v2, v5, 23, 8
	v_and_b32_e32 v13, 0x7fffff, v5
	v_cmp_gt_u32_e64 s[28:29], s97, v2
	v_sub_u32_e32 v5, 0x79, v2
	v_cmp_eq_u32_e32 vcc, 0, v2
	v_cndmask_b32_e64 v5, 0, v5, s[28:29]
	v_mov_b32_e32 v15, 0x78
	v_cndmask_b32_e32 v5, v5, v15, vcc
	v_add_u32_e32 v15, 20, v5
	v_or_b32_e32 v14, 0x800000, v13
	v_lshlrev_b64 v[24:25], v15, -1
	v_cndmask_b32_e32 v13, v14, v13, vcc
	v_mov_b32_e32 v14, v51
	v_add_u32_e32 v15, 19, v5
	v_bfi_b32 v24, v24, 0, v13
	v_lshlrev_b64 v[28:29], v15, 1
	v_lshrrev_b64 v[13:14], v5, v[13:14]
	v_bfi_b32 v25, v25, 0, 0
	v_cmp_eq_u64_e64 s[28:29], v[24:25], v[28:29]
	v_mov_b32_e32 v15, v14
	v_mov_b32_e32 v14, v13
	s_and_saveexec_b64 s[38:39], s[28:29]
; %bb.19425:                            ;   in Loop: Header=BB6_16537 Depth=3
	v_bfe_u32 v14, v13, 20, 1
	v_add_co_u32_e64 v14, s[28:29], v13, v14
	v_add_co_u32_e64 v14, s[28:29], -1, v14
; %bb.19426:                            ;   in Loop: Header=BB6_16537 Depth=3
	s_or_b64 exec, exec, s[38:39]
	v_add_u32_e32 v2, 0xffffff81, v2
	v_mov_b32_e32 v15, 0xffffff82
	v_cndmask_b32_e32 v2, v2, v15, vcc
	v_lshrrev_b32_e32 v15, 23, v13
	v_add3_u32 v15, v5, v2, v15
	v_add_u32_e32 v5, 6, v15
	v_and_b32_e32 v2, 0xfffff, v14
	v_add_u32_e32 v13, v2, v13
	v_mov_b32_e32 v14, v51
	v_cmp_ne_u32_e32 vcc, 0, v5
                                        ; implicit-def: $vgpr2
	s_and_saveexec_b64 s[28:29], vcc
	s_xor_b64 s[28:29], exec, s[28:29]
; %bb.19427:                            ;   in Loop: Header=BB6_16537 Depth=3
	v_cmp_lt_u64_e32 vcc, s[88:89], v[13:14]
	v_add_u32_e32 v2, 7, v15
	v_cndmask_b32_e32 v2, v5, v2, vcc
	v_cndmask_b32_e64 v5, 0, 1, vcc
	v_lshrrev_b64 v[13:14], v5, v[13:14]
; %bb.19428:                            ;   in Loop: Header=BB6_16537 Depth=3
	s_andn2_saveexec_b64 s[28:29], s[28:29]
; %bb.19429:                            ;   in Loop: Header=BB6_16537 Depth=3
	v_bfe_u32 v2, v13, 23, 1
; %bb.19430:                            ;   in Loop: Header=BB6_16537 Depth=3
	s_or_b64 exec, exec, s[28:29]
	v_lshrrev_b64 v[13:14], 20, v[13:14]
	v_cmp_gt_i32_e32 vcc, 16, v2
	v_cndmask_b32_e32 v14, 0, v14, vcc
	v_cndmask_b32_e32 v13, 7, v13, vcc
	v_cmp_eq_u32_e32 vcc, 0, v2
	v_min_i32_e32 v2, 15, v2
	v_cmp_eq_u64_e64 s[28:29], 0, v[13:14]
	v_lshlrev_b32_e32 v2, 3, v2
	v_and_b32_e32 v2, 0xf8, v2
	v_and_or_b32 v2, v13, 7, v2
	s_and_b64 s[28:29], vcc, s[28:29]
	v_cndmask_b32_e64 v2, v2, 0, s[28:29]
	v_or_b32_e32 v2, v2, v3
.LBB6_19431:                            ;   in Loop: Header=BB6_16537 Depth=3
	s_or_b64 exec, exec, s[36:37]
                                        ; implicit-def: $vgpr3
.LBB6_19432:                            ;   in Loop: Header=BB6_16537 Depth=3
	s_andn2_saveexec_b64 s[28:29], s[34:35]
; %bb.19433:                            ;   in Loop: Header=BB6_16537 Depth=3
	v_or_b32_e32 v2, 0x7e, v3
; %bb.19434:                            ;   in Loop: Header=BB6_16537 Depth=3
	s_or_b64 exec, exec, s[28:29]
                                        ; implicit-def: $vgpr5
.LBB6_19435:                            ;   in Loop: Header=BB6_16537 Depth=3
	s_andn2_saveexec_b64 s[28:29], s[30:31]
; %bb.19436:                            ;   in Loop: Header=BB6_16537 Depth=3
	v_or_b32_sdwa v2, v5, s86 dst_sel:DWORD dst_unused:UNUSED_PAD src0_sel:BYTE_3 src1_sel:DWORD
; %bb.19437:                            ;   in Loop: Header=BB6_16537 Depth=3
	s_or_b64 exec, exec, s[28:29]
	v_lshrrev_b16_e32 v13, 8, v0
	v_cmp_ne_u16_e32 vcc, 0, v13
	v_mov_b32_e32 v3, 0
	v_mov_b32_e32 v5, 0
	s_and_saveexec_b64 s[28:29], vcc
	s_cbranch_execz .LBB6_19443
; %bb.19438:                            ;   in Loop: Header=BB6_16537 Depth=3
	v_cmp_ne_u16_e32 vcc, s96, v13
	v_bfrev_b32_e32 v5, 1
	s_and_saveexec_b64 s[30:31], vcc
	s_cbranch_execz .LBB6_19442
; %bb.19439:                            ;   in Loop: Header=BB6_16537 Depth=3
	v_and_b32_e32 v14, 0x7f, v13
	v_cmp_ne_u32_e32 vcc, s86, v14
	v_mov_b32_e32 v5, 0x7f800001
	s_and_saveexec_b64 s[34:35], vcc
	s_cbranch_execz .LBB6_19441
; %bb.19440:                            ;   in Loop: Header=BB6_16537 Depth=3
	v_and_b32_e32 v5, 7, v13
	v_lshrrev_b32_e32 v15, 3, v14
	v_cmp_gt_u32_e32 vcc, 8, v14
	v_ffbh_u32_e32 v14, v5
	v_min_u32_e32 v24, 32, v14
	v_subrev_u32_e32 v14, 28, v24
	v_lshlrev_b64 v[13:14], v14, v[13:14]
	v_sub_u32_e32 v14, 29, v24
	v_and_b32_e32 v13, 7, v13
	v_cndmask_b32_e32 v14, v15, v14, vcc
	v_cndmask_b32_e32 v5, v5, v13, vcc
	v_lshlrev_b32_e32 v0, 16, v0
	v_bfrev_b32_e32 v13, 60
	v_lshlrev_b32_e32 v5, 20, v5
	v_and_b32_e32 v0, 0x80000000, v0
	v_lshl_add_u32 v13, v14, 23, v13
	v_or3_b32 v5, v0, v13, v5
.LBB6_19441:                            ;   in Loop: Header=BB6_16537 Depth=3
	s_or_b64 exec, exec, s[34:35]
.LBB6_19442:                            ;   in Loop: Header=BB6_16537 Depth=3
	s_or_b64 exec, exec, s[30:31]
.LBB6_19443:                            ;   in Loop: Header=BB6_16537 Depth=3
	s_or_b64 exec, exec, s[28:29]
	v_lshrrev_b16_e32 v13, 8, v9
	v_cmp_ne_u16_e32 vcc, 0, v13
	s_and_saveexec_b64 s[28:29], vcc
	s_cbranch_execz .LBB6_19449
; %bb.19444:                            ;   in Loop: Header=BB6_16537 Depth=3
	v_cmp_ne_u16_e32 vcc, s96, v13
	v_bfrev_b32_e32 v3, 1
	s_and_saveexec_b64 s[30:31], vcc
	s_cbranch_execz .LBB6_19448
; %bb.19445:                            ;   in Loop: Header=BB6_16537 Depth=3
	v_and_b32_e32 v0, 0x7f, v13
	v_cmp_ne_u32_e32 vcc, s86, v0
	v_mov_b32_e32 v3, 0x7f800001
	s_and_saveexec_b64 s[34:35], vcc
	s_cbranch_execz .LBB6_19447
; %bb.19446:                            ;   in Loop: Header=BB6_16537 Depth=3
	v_and_b32_e32 v3, 7, v13
	v_lshrrev_b32_e32 v15, 3, v0
	v_cmp_gt_u32_e32 vcc, 8, v0
	v_ffbh_u32_e32 v0, v3
	v_min_u32_e32 v0, 32, v0
	v_subrev_u32_e32 v14, 28, v0
	v_lshlrev_b64 v[13:14], v14, v[13:14]
	v_sub_u32_e32 v0, 29, v0
	v_and_b32_e32 v13, 7, v13
	v_cndmask_b32_e32 v0, v15, v0, vcc
	v_cndmask_b32_e32 v3, v3, v13, vcc
	v_lshlrev_b32_e32 v13, 16, v9
	v_bfrev_b32_e32 v14, 60
	v_lshlrev_b32_e32 v3, 20, v3
	v_and_b32_e32 v13, 0x80000000, v13
	v_lshl_add_u32 v0, v0, 23, v14
	v_or3_b32 v3, v13, v0, v3
.LBB6_19447:                            ;   in Loop: Header=BB6_16537 Depth=3
	s_or_b64 exec, exec, s[34:35]
.LBB6_19448:                            ;   in Loop: Header=BB6_16537 Depth=3
	s_or_b64 exec, exec, s[30:31]
.LBB6_19449:                            ;   in Loop: Header=BB6_16537 Depth=3
	s_or_b64 exec, exec, s[28:29]
	v_add_f32_e32 v3, v5, v3
	v_and_b32_e32 v13, 0x7f800000, v3
	v_mov_b32_e32 v14, v51
	v_cmp_ne_u64_e32 vcc, s[76:77], v[13:14]
                                        ; implicit-def: $vgpr41
	s_and_saveexec_b64 s[28:29], vcc
	s_xor_b64 s[30:31], exec, s[28:29]
	s_cbranch_execz .LBB6_19463
; %bb.19450:                            ;   in Loop: Header=BB6_16537 Depth=3
	v_and_b32_e32 v13, 0x7fffffff, v3
	v_mov_b32_e32 v14, v51
	v_cmp_gt_u64_e32 vcc, s[78:79], v[13:14]
	v_and_b32_sdwa v0, v3, s96 dst_sel:DWORD dst_unused:UNUSED_PAD src0_sel:BYTE_3 src1_sel:DWORD
                                        ; implicit-def: $vgpr41
	s_and_saveexec_b64 s[28:29], vcc
	s_xor_b64 s[34:35], exec, s[28:29]
	s_cbranch_execz .LBB6_19460
; %bb.19451:                            ;   in Loop: Header=BB6_16537 Depth=3
	v_mov_b32_e32 v41, 0
	v_cmp_ne_u32_e32 vcc, 0, v3
	s_and_saveexec_b64 s[36:37], vcc
	s_cbranch_execz .LBB6_19459
; %bb.19452:                            ;   in Loop: Header=BB6_16537 Depth=3
	v_and_b32_e32 v13, 0x7fffff, v3
	v_bfe_u32 v3, v3, 23, 8
	v_cmp_gt_u32_e64 s[28:29], s97, v3
	v_sub_u32_e32 v5, 0x79, v3
	v_cmp_eq_u32_e32 vcc, 0, v3
	v_cndmask_b32_e64 v5, 0, v5, s[28:29]
	v_mov_b32_e32 v15, 0x78
	v_cndmask_b32_e32 v5, v5, v15, vcc
	v_add_u32_e32 v15, 20, v5
	v_or_b32_e32 v14, 0x800000, v13
	v_lshlrev_b64 v[24:25], v15, -1
	v_cndmask_b32_e32 v13, v14, v13, vcc
	v_mov_b32_e32 v14, v51
	v_add_u32_e32 v15, 19, v5
	v_bfi_b32 v24, v24, 0, v13
	v_lshlrev_b64 v[28:29], v15, 1
	v_lshrrev_b64 v[13:14], v5, v[13:14]
	v_bfi_b32 v25, v25, 0, 0
	v_cmp_eq_u64_e64 s[28:29], v[24:25], v[28:29]
	v_mov_b32_e32 v15, v14
	v_mov_b32_e32 v14, v13
	s_and_saveexec_b64 s[38:39], s[28:29]
; %bb.19453:                            ;   in Loop: Header=BB6_16537 Depth=3
	v_bfe_u32 v14, v13, 20, 1
	v_add_co_u32_e64 v14, s[28:29], v13, v14
	v_add_co_u32_e64 v14, s[28:29], -1, v14
; %bb.19454:                            ;   in Loop: Header=BB6_16537 Depth=3
	s_or_b64 exec, exec, s[38:39]
	v_add_u32_e32 v3, 0xffffff81, v3
	v_mov_b32_e32 v15, 0xffffff82
	v_cndmask_b32_e32 v3, v3, v15, vcc
	v_lshrrev_b32_e32 v15, 23, v13
	v_add3_u32 v15, v5, v3, v15
	v_add_u32_e32 v5, 6, v15
	v_and_b32_e32 v3, 0xfffff, v14
	v_add_u32_e32 v13, v3, v13
	v_mov_b32_e32 v14, v51
	v_cmp_ne_u32_e32 vcc, 0, v5
                                        ; implicit-def: $vgpr3
	s_and_saveexec_b64 s[28:29], vcc
	s_xor_b64 s[28:29], exec, s[28:29]
; %bb.19455:                            ;   in Loop: Header=BB6_16537 Depth=3
	v_cmp_lt_u64_e32 vcc, s[88:89], v[13:14]
	v_add_u32_e32 v3, 7, v15
	v_cndmask_b32_e32 v3, v5, v3, vcc
	v_cndmask_b32_e64 v5, 0, 1, vcc
	v_lshrrev_b64 v[13:14], v5, v[13:14]
; %bb.19456:                            ;   in Loop: Header=BB6_16537 Depth=3
	s_andn2_saveexec_b64 s[28:29], s[28:29]
; %bb.19457:                            ;   in Loop: Header=BB6_16537 Depth=3
	v_bfe_u32 v3, v13, 23, 1
; %bb.19458:                            ;   in Loop: Header=BB6_16537 Depth=3
	s_or_b64 exec, exec, s[28:29]
	v_lshrrev_b64 v[13:14], 20, v[13:14]
	v_cmp_gt_i32_e32 vcc, 16, v3
	v_cndmask_b32_e32 v14, 0, v14, vcc
	v_cndmask_b32_e32 v13, 7, v13, vcc
	v_cmp_eq_u32_e32 vcc, 0, v3
	v_min_i32_e32 v3, 15, v3
	v_cmp_eq_u64_e64 s[28:29], 0, v[13:14]
	v_lshlrev_b32_e32 v3, 3, v3
	v_and_b32_e32 v3, 0xf8, v3
	v_and_or_b32 v3, v13, 7, v3
	s_and_b64 s[28:29], vcc, s[28:29]
	v_cndmask_b32_e64 v3, v3, 0, s[28:29]
	v_or_b32_e32 v41, v3, v0
.LBB6_19459:                            ;   in Loop: Header=BB6_16537 Depth=3
	s_or_b64 exec, exec, s[36:37]
                                        ; implicit-def: $vgpr0
.LBB6_19460:                            ;   in Loop: Header=BB6_16537 Depth=3
	s_andn2_saveexec_b64 s[28:29], s[34:35]
; %bb.19461:                            ;   in Loop: Header=BB6_16537 Depth=3
	v_or_b32_e32 v41, 0x7e, v0
; %bb.19462:                            ;   in Loop: Header=BB6_16537 Depth=3
	s_or_b64 exec, exec, s[28:29]
                                        ; implicit-def: $vgpr3
.LBB6_19463:                            ;   in Loop: Header=BB6_16537 Depth=3
	s_andn2_saveexec_b64 s[28:29], s[30:31]
; %bb.19464:                            ;   in Loop: Header=BB6_16537 Depth=3
	v_or_b32_sdwa v41, v3, s86 dst_sel:DWORD dst_unused:UNUSED_PAD src0_sel:BYTE_3 src1_sel:DWORD
; %bb.19465:                            ;   in Loop: Header=BB6_16537 Depth=3
	s_or_b64 exec, exec, s[28:29]
	v_lshrrev_b32_e32 v13, 16, v12
	v_cmp_ne_u16_sdwa vcc, v13, v51 src0_sel:BYTE_0 src1_sel:DWORD
	v_mov_b32_e32 v0, 0
	v_mov_b32_e32 v3, 0
	s_and_saveexec_b64 s[28:29], vcc
	s_cbranch_execz .LBB6_19471
; %bb.19466:                            ;   in Loop: Header=BB6_16537 Depth=3
	v_cmp_ne_u16_sdwa vcc, v13, s96 src0_sel:BYTE_0 src1_sel:DWORD
	v_bfrev_b32_e32 v3, 1
	s_and_saveexec_b64 s[30:31], vcc
	s_cbranch_execz .LBB6_19470
; %bb.19467:                            ;   in Loop: Header=BB6_16537 Depth=3
	v_bfe_u32 v5, v12, 16, 7
	v_cmp_ne_u32_e32 vcc, s86, v5
	v_mov_b32_e32 v3, 0x7f800001
	s_and_saveexec_b64 s[34:35], vcc
	s_cbranch_execz .LBB6_19469
; %bb.19468:                            ;   in Loop: Header=BB6_16537 Depth=3
	v_and_b32_e32 v3, 7, v13
	v_lshrrev_b32_e32 v24, 3, v5
	v_cmp_gt_u32_e32 vcc, 8, v5
	v_ffbh_u32_e32 v5, v3
	v_min_u32_e32 v5, 32, v5
	v_subrev_u32_e32 v14, 28, v5
	v_lshlrev_b64 v[14:15], v14, v[13:14]
	v_sub_u32_e32 v5, 29, v5
	v_and_b32_e32 v14, 7, v14
	v_cndmask_b32_e32 v5, v24, v5, vcc
	v_cndmask_b32_e32 v3, v3, v14, vcc
	v_lshlrev_b32_e32 v13, 24, v13
	v_bfrev_b32_e32 v14, 60
	v_lshlrev_b32_e32 v3, 20, v3
	v_and_b32_e32 v13, 0x80000000, v13
	v_lshl_add_u32 v5, v5, 23, v14
	v_or3_b32 v3, v13, v5, v3
.LBB6_19469:                            ;   in Loop: Header=BB6_16537 Depth=3
	s_or_b64 exec, exec, s[34:35]
.LBB6_19470:                            ;   in Loop: Header=BB6_16537 Depth=3
	s_or_b64 exec, exec, s[30:31]
.LBB6_19471:                            ;   in Loop: Header=BB6_16537 Depth=3
	s_or_b64 exec, exec, s[28:29]
	v_lshrrev_b32_e32 v13, 16, v9
	v_cmp_ne_u16_sdwa vcc, v13, v51 src0_sel:BYTE_0 src1_sel:DWORD
	s_and_saveexec_b64 s[28:29], vcc
	s_cbranch_execz .LBB6_19477
; %bb.19472:                            ;   in Loop: Header=BB6_16537 Depth=3
	v_cmp_ne_u16_sdwa vcc, v13, s96 src0_sel:BYTE_0 src1_sel:DWORD
	v_bfrev_b32_e32 v0, 1
	s_and_saveexec_b64 s[30:31], vcc
	s_cbranch_execz .LBB6_19476
; %bb.19473:                            ;   in Loop: Header=BB6_16537 Depth=3
	v_bfe_u32 v5, v9, 16, 7
	v_cmp_ne_u32_e32 vcc, s86, v5
	v_mov_b32_e32 v0, 0x7f800001
	s_and_saveexec_b64 s[34:35], vcc
	s_cbranch_execz .LBB6_19475
; %bb.19474:                            ;   in Loop: Header=BB6_16537 Depth=3
	v_and_b32_e32 v0, 7, v13
	v_lshrrev_b32_e32 v15, 3, v5
	v_cmp_gt_u32_e32 vcc, 8, v5
	v_ffbh_u32_e32 v5, v0
	v_min_u32_e32 v5, 32, v5
	v_subrev_u32_e32 v14, 28, v5
	v_lshlrev_b64 v[13:14], v14, v[13:14]
	v_sub_u32_e32 v5, 29, v5
	v_and_b32_e32 v13, 7, v13
	v_cndmask_b32_e32 v5, v15, v5, vcc
	v_cndmask_b32_e32 v0, v0, v13, vcc
	v_lshlrev_b32_e32 v13, 8, v9
	v_bfrev_b32_e32 v14, 60
	v_lshlrev_b32_e32 v0, 20, v0
	v_and_b32_e32 v13, 0x80000000, v13
	v_lshl_add_u32 v5, v5, 23, v14
	v_or3_b32 v0, v13, v5, v0
.LBB6_19475:                            ;   in Loop: Header=BB6_16537 Depth=3
	s_or_b64 exec, exec, s[34:35]
.LBB6_19476:                            ;   in Loop: Header=BB6_16537 Depth=3
	s_or_b64 exec, exec, s[30:31]
.LBB6_19477:                            ;   in Loop: Header=BB6_16537 Depth=3
	s_or_b64 exec, exec, s[28:29]
	v_add_f32_e32 v3, v3, v0
	v_and_b32_e32 v13, 0x7f800000, v3
	v_mov_b32_e32 v14, v51
	v_cmp_ne_u64_e32 vcc, s[76:77], v[13:14]
                                        ; implicit-def: $vgpr15
	s_and_saveexec_b64 s[28:29], vcc
	s_xor_b64 s[30:31], exec, s[28:29]
	s_cbranch_execz .LBB6_19491
; %bb.19478:                            ;   in Loop: Header=BB6_16537 Depth=3
	v_and_b32_e32 v13, 0x7fffffff, v3
	v_mov_b32_e32 v14, v51
	v_cmp_gt_u64_e32 vcc, s[78:79], v[13:14]
	v_and_b32_sdwa v0, v3, s96 dst_sel:DWORD dst_unused:UNUSED_PAD src0_sel:BYTE_3 src1_sel:DWORD
                                        ; implicit-def: $vgpr15
	s_and_saveexec_b64 s[28:29], vcc
	s_xor_b64 s[34:35], exec, s[28:29]
	s_cbranch_execz .LBB6_19488
; %bb.19479:                            ;   in Loop: Header=BB6_16537 Depth=3
	v_mov_b32_e32 v15, 0
	v_cmp_ne_u32_e32 vcc, 0, v3
	s_and_saveexec_b64 s[36:37], vcc
	s_cbranch_execz .LBB6_19487
; %bb.19480:                            ;   in Loop: Header=BB6_16537 Depth=3
	v_and_b32_e32 v13, 0x7fffff, v3
	v_bfe_u32 v3, v3, 23, 8
	v_cmp_gt_u32_e64 s[28:29], s97, v3
	v_sub_u32_e32 v5, 0x79, v3
	v_cmp_eq_u32_e32 vcc, 0, v3
	v_cndmask_b32_e64 v5, 0, v5, s[28:29]
	v_mov_b32_e32 v15, 0x78
	v_cndmask_b32_e32 v5, v5, v15, vcc
	v_add_u32_e32 v15, 20, v5
	v_or_b32_e32 v14, 0x800000, v13
	v_lshlrev_b64 v[24:25], v15, -1
	v_cndmask_b32_e32 v13, v14, v13, vcc
	v_mov_b32_e32 v14, v51
	v_add_u32_e32 v15, 19, v5
	v_bfi_b32 v24, v24, 0, v13
	v_lshlrev_b64 v[28:29], v15, 1
	v_lshrrev_b64 v[13:14], v5, v[13:14]
	v_bfi_b32 v25, v25, 0, 0
	v_cmp_eq_u64_e64 s[28:29], v[24:25], v[28:29]
	v_mov_b32_e32 v15, v14
	v_mov_b32_e32 v14, v13
	s_and_saveexec_b64 s[38:39], s[28:29]
; %bb.19481:                            ;   in Loop: Header=BB6_16537 Depth=3
	v_bfe_u32 v14, v13, 20, 1
	v_add_co_u32_e64 v14, s[28:29], v13, v14
	v_add_co_u32_e64 v14, s[28:29], -1, v14
; %bb.19482:                            ;   in Loop: Header=BB6_16537 Depth=3
	s_or_b64 exec, exec, s[38:39]
	v_add_u32_e32 v3, 0xffffff81, v3
	v_mov_b32_e32 v15, 0xffffff82
	v_cndmask_b32_e32 v3, v3, v15, vcc
	v_lshrrev_b32_e32 v15, 23, v13
	v_add3_u32 v15, v5, v3, v15
	v_add_u32_e32 v5, 6, v15
	v_and_b32_e32 v3, 0xfffff, v14
	v_add_u32_e32 v13, v3, v13
	v_mov_b32_e32 v14, v51
	v_cmp_ne_u32_e32 vcc, 0, v5
                                        ; implicit-def: $vgpr3
	s_and_saveexec_b64 s[28:29], vcc
	s_xor_b64 s[28:29], exec, s[28:29]
; %bb.19483:                            ;   in Loop: Header=BB6_16537 Depth=3
	v_cmp_lt_u64_e32 vcc, s[88:89], v[13:14]
	v_add_u32_e32 v3, 7, v15
	v_cndmask_b32_e32 v3, v5, v3, vcc
	v_cndmask_b32_e64 v5, 0, 1, vcc
	v_lshrrev_b64 v[13:14], v5, v[13:14]
; %bb.19484:                            ;   in Loop: Header=BB6_16537 Depth=3
	s_andn2_saveexec_b64 s[28:29], s[28:29]
; %bb.19485:                            ;   in Loop: Header=BB6_16537 Depth=3
	v_bfe_u32 v3, v13, 23, 1
; %bb.19486:                            ;   in Loop: Header=BB6_16537 Depth=3
	s_or_b64 exec, exec, s[28:29]
	v_lshrrev_b64 v[13:14], 20, v[13:14]
	v_cmp_gt_i32_e32 vcc, 16, v3
	v_cndmask_b32_e32 v14, 0, v14, vcc
	v_cndmask_b32_e32 v13, 7, v13, vcc
	v_cmp_eq_u32_e32 vcc, 0, v3
	v_min_i32_e32 v3, 15, v3
	v_cmp_eq_u64_e64 s[28:29], 0, v[13:14]
	v_lshlrev_b32_e32 v3, 3, v3
	v_and_b32_e32 v3, 0xf8, v3
	v_and_or_b32 v3, v13, 7, v3
	s_and_b64 s[28:29], vcc, s[28:29]
	v_cndmask_b32_e64 v3, v3, 0, s[28:29]
	v_or_b32_e32 v15, v3, v0
.LBB6_19487:                            ;   in Loop: Header=BB6_16537 Depth=3
	s_or_b64 exec, exec, s[36:37]
                                        ; implicit-def: $vgpr0
.LBB6_19488:                            ;   in Loop: Header=BB6_16537 Depth=3
	s_andn2_saveexec_b64 s[28:29], s[34:35]
; %bb.19489:                            ;   in Loop: Header=BB6_16537 Depth=3
	v_or_b32_e32 v15, 0x7e, v0
; %bb.19490:                            ;   in Loop: Header=BB6_16537 Depth=3
	s_or_b64 exec, exec, s[28:29]
                                        ; implicit-def: $vgpr3
.LBB6_19491:                            ;   in Loop: Header=BB6_16537 Depth=3
	s_andn2_saveexec_b64 s[28:29], s[30:31]
; %bb.19492:                            ;   in Loop: Header=BB6_16537 Depth=3
	v_or_b32_sdwa v15, v3, s86 dst_sel:DWORD dst_unused:UNUSED_PAD src0_sel:BYTE_3 src1_sel:DWORD
; %bb.19493:                            ;   in Loop: Header=BB6_16537 Depth=3
	s_or_b64 exec, exec, s[28:29]
	v_cmp_lt_u32_e32 vcc, s57, v12
	v_mov_b32_e32 v0, 0
	v_mov_b32_e32 v3, 0
	s_and_saveexec_b64 s[28:29], vcc
	s_cbranch_execz .LBB6_19499
; %bb.19494:                            ;   in Loop: Header=BB6_16537 Depth=3
	v_lshrrev_b32_e32 v13, 24, v12
	v_cmp_ne_u32_sdwa vcc, v12, s96 src0_sel:BYTE_3 src1_sel:DWORD
	v_bfrev_b32_e32 v3, 1
	s_and_saveexec_b64 s[30:31], vcc
	s_cbranch_execz .LBB6_19498
; %bb.19495:                            ;   in Loop: Header=BB6_16537 Depth=3
	v_bfe_u32 v5, v12, 24, 7
	v_cmp_ne_u32_e32 vcc, s86, v5
	v_mov_b32_e32 v3, 0x7f800001
	s_and_saveexec_b64 s[34:35], vcc
	s_cbranch_execz .LBB6_19497
; %bb.19496:                            ;   in Loop: Header=BB6_16537 Depth=3
	v_and_b32_e32 v3, 7, v13
	v_lshrrev_b32_e32 v24, 3, v5
	v_cmp_gt_u32_e32 vcc, 8, v5
	v_ffbh_u32_e32 v5, v3
	v_min_u32_e32 v5, 32, v5
	v_subrev_u32_e32 v14, 28, v5
	v_lshlrev_b64 v[13:14], v14, v[13:14]
	v_sub_u32_e32 v5, 29, v5
	v_and_b32_e32 v13, 7, v13
	v_cndmask_b32_e32 v3, v3, v13, vcc
	v_mov_b32_e32 v13, 24
	v_cndmask_b32_e32 v5, v24, v5, vcc
	v_lshlrev_b32_sdwa v12, v13, v12 dst_sel:DWORD dst_unused:UNUSED_PAD src0_sel:DWORD src1_sel:BYTE_3
	v_bfrev_b32_e32 v13, 60
	v_lshlrev_b32_e32 v3, 20, v3
	v_and_b32_e32 v12, 0x80000000, v12
	v_lshl_add_u32 v5, v5, 23, v13
	v_or3_b32 v3, v12, v5, v3
.LBB6_19497:                            ;   in Loop: Header=BB6_16537 Depth=3
	s_or_b64 exec, exec, s[34:35]
.LBB6_19498:                            ;   in Loop: Header=BB6_16537 Depth=3
	s_or_b64 exec, exec, s[30:31]
.LBB6_19499:                            ;   in Loop: Header=BB6_16537 Depth=3
	s_or_b64 exec, exec, s[28:29]
	v_cmp_lt_u64_e32 vcc, s[56:57], v[8:9]
	s_and_saveexec_b64 s[28:29], vcc
	s_cbranch_execz .LBB6_19505
; %bb.19500:                            ;   in Loop: Header=BB6_16537 Depth=3
	v_lshrrev_b32_e32 v8, 24, v9
	v_cmp_ne_u32_e32 vcc, s96, v8
	v_bfrev_b32_e32 v0, 1
	s_and_saveexec_b64 s[30:31], vcc
	s_cbranch_execz .LBB6_19504
; %bb.19501:                            ;   in Loop: Header=BB6_16537 Depth=3
	v_bfe_u32 v5, v9, 24, 7
	v_cmp_ne_u32_e32 vcc, s86, v5
	v_mov_b32_e32 v0, 0x7f800001
	s_and_saveexec_b64 s[34:35], vcc
	s_cbranch_execz .LBB6_19503
; %bb.19502:                            ;   in Loop: Header=BB6_16537 Depth=3
	v_and_b32_e32 v0, 7, v8
	v_lshrrev_b32_e32 v9, 3, v5
	v_cmp_gt_u32_e32 vcc, 8, v5
	v_ffbh_u32_e32 v5, v0
	v_min_u32_e32 v5, 32, v5
	v_subrev_u32_e32 v12, 28, v5
	v_lshlrev_b64 v[12:13], v12, v[8:9]
	v_sub_u32_e32 v5, 29, v5
	v_and_b32_e32 v12, 7, v12
	v_cndmask_b32_e32 v5, v9, v5, vcc
	v_cndmask_b32_e32 v0, v0, v12, vcc
	v_lshlrev_b32_e32 v8, 24, v8
	v_bfrev_b32_e32 v9, 60
	v_lshlrev_b32_e32 v0, 20, v0
	v_and_b32_e32 v8, 0x80000000, v8
	v_lshl_add_u32 v5, v5, 23, v9
	v_or3_b32 v0, v8, v5, v0
.LBB6_19503:                            ;   in Loop: Header=BB6_16537 Depth=3
	s_or_b64 exec, exec, s[34:35]
.LBB6_19504:                            ;   in Loop: Header=BB6_16537 Depth=3
	s_or_b64 exec, exec, s[30:31]
.LBB6_19505:                            ;   in Loop: Header=BB6_16537 Depth=3
	s_or_b64 exec, exec, s[28:29]
	v_add_f32_e32 v3, v3, v0
	v_and_b32_e32 v8, 0x7f800000, v3
	v_mov_b32_e32 v9, v51
	v_cmp_ne_u64_e32 vcc, s[76:77], v[8:9]
                                        ; implicit-def: $vgpr38
	s_and_saveexec_b64 s[28:29], vcc
	s_xor_b64 s[30:31], exec, s[28:29]
	s_cbranch_execz .LBB6_19519
; %bb.19506:                            ;   in Loop: Header=BB6_16537 Depth=3
	v_and_b32_e32 v8, 0x7fffffff, v3
	v_mov_b32_e32 v9, v51
	v_cmp_gt_u64_e32 vcc, s[78:79], v[8:9]
	v_and_b32_sdwa v0, v3, s96 dst_sel:DWORD dst_unused:UNUSED_PAD src0_sel:BYTE_3 src1_sel:DWORD
                                        ; implicit-def: $vgpr38
	s_and_saveexec_b64 s[28:29], vcc
	s_xor_b64 s[34:35], exec, s[28:29]
	s_cbranch_execz .LBB6_19516
; %bb.19507:                            ;   in Loop: Header=BB6_16537 Depth=3
	v_mov_b32_e32 v38, 0
	v_cmp_ne_u32_e32 vcc, 0, v3
	s_and_saveexec_b64 s[36:37], vcc
	s_cbranch_execz .LBB6_19515
; %bb.19508:                            ;   in Loop: Header=BB6_16537 Depth=3
	v_and_b32_e32 v8, 0x7fffff, v3
	v_bfe_u32 v3, v3, 23, 8
	v_cmp_gt_u32_e64 s[28:29], s97, v3
	v_sub_u32_e32 v5, 0x79, v3
	v_cmp_eq_u32_e32 vcc, 0, v3
	v_cndmask_b32_e64 v5, 0, v5, s[28:29]
	v_mov_b32_e32 v12, 0x78
	v_cndmask_b32_e32 v5, v5, v12, vcc
	v_add_u32_e32 v12, 20, v5
	v_or_b32_e32 v9, 0x800000, v8
	v_lshlrev_b64 v[12:13], v12, -1
	v_cndmask_b32_e32 v8, v9, v8, vcc
	v_mov_b32_e32 v9, v51
	v_add_u32_e32 v14, 19, v5
	v_bfi_b32 v12, v12, 0, v8
	v_lshlrev_b64 v[24:25], v14, 1
	v_lshrrev_b64 v[8:9], v5, v[8:9]
	v_bfi_b32 v13, v13, 0, 0
	v_cmp_eq_u64_e64 s[28:29], v[12:13], v[24:25]
	v_mov_b32_e32 v13, v9
	v_mov_b32_e32 v12, v8
	s_and_saveexec_b64 s[38:39], s[28:29]
; %bb.19509:                            ;   in Loop: Header=BB6_16537 Depth=3
	v_bfe_u32 v9, v8, 20, 1
	v_add_co_u32_e64 v9, s[28:29], v8, v9
	v_add_co_u32_e64 v12, s[28:29], -1, v9
; %bb.19510:                            ;   in Loop: Header=BB6_16537 Depth=3
	s_or_b64 exec, exec, s[38:39]
	v_add_u32_e32 v3, 0xffffff81, v3
	v_mov_b32_e32 v9, 0xffffff82
	v_cndmask_b32_e32 v3, v3, v9, vcc
	v_lshrrev_b32_e32 v9, 23, v8
	v_add3_u32 v13, v5, v3, v9
	v_add_u32_e32 v5, 6, v13
	v_and_b32_e32 v3, 0xfffff, v12
	v_add_u32_e32 v8, v3, v8
	v_mov_b32_e32 v9, v51
	v_cmp_ne_u32_e32 vcc, 0, v5
                                        ; implicit-def: $vgpr3
	s_and_saveexec_b64 s[28:29], vcc
	s_xor_b64 s[28:29], exec, s[28:29]
; %bb.19511:                            ;   in Loop: Header=BB6_16537 Depth=3
	v_cmp_lt_u64_e32 vcc, s[88:89], v[8:9]
	v_add_u32_e32 v3, 7, v13
	v_cndmask_b32_e32 v3, v5, v3, vcc
	v_cndmask_b32_e64 v5, 0, 1, vcc
	v_lshrrev_b64 v[8:9], v5, v[8:9]
; %bb.19512:                            ;   in Loop: Header=BB6_16537 Depth=3
	s_andn2_saveexec_b64 s[28:29], s[28:29]
; %bb.19513:                            ;   in Loop: Header=BB6_16537 Depth=3
	v_bfe_u32 v3, v8, 23, 1
; %bb.19514:                            ;   in Loop: Header=BB6_16537 Depth=3
	s_or_b64 exec, exec, s[28:29]
	v_lshrrev_b64 v[8:9], 20, v[8:9]
	v_cmp_gt_i32_e32 vcc, 16, v3
	v_cndmask_b32_e32 v9, 0, v9, vcc
	v_cndmask_b32_e32 v8, 7, v8, vcc
	v_cmp_eq_u32_e32 vcc, 0, v3
	v_min_i32_e32 v3, 15, v3
	v_cmp_eq_u64_e64 s[28:29], 0, v[8:9]
	v_lshlrev_b32_e32 v3, 3, v3
	v_and_b32_e32 v3, 0xf8, v3
	v_and_or_b32 v3, v8, 7, v3
	s_and_b64 s[28:29], vcc, s[28:29]
	v_cndmask_b32_e64 v3, v3, 0, s[28:29]
	v_or_b32_e32 v38, v3, v0
.LBB6_19515:                            ;   in Loop: Header=BB6_16537 Depth=3
	s_or_b64 exec, exec, s[36:37]
                                        ; implicit-def: $vgpr0
.LBB6_19516:                            ;   in Loop: Header=BB6_16537 Depth=3
	s_andn2_saveexec_b64 s[28:29], s[34:35]
; %bb.19517:                            ;   in Loop: Header=BB6_16537 Depth=3
	v_or_b32_e32 v38, 0x7e, v0
; %bb.19518:                            ;   in Loop: Header=BB6_16537 Depth=3
	s_or_b64 exec, exec, s[28:29]
                                        ; implicit-def: $vgpr3
.LBB6_19519:                            ;   in Loop: Header=BB6_16537 Depth=3
	s_andn2_saveexec_b64 s[28:29], s[30:31]
; %bb.19520:                            ;   in Loop: Header=BB6_16537 Depth=3
	v_or_b32_sdwa v38, v3, s86 dst_sel:DWORD dst_unused:UNUSED_PAD src0_sel:BYTE_3 src1_sel:DWORD
; %bb.19521:                            ;   in Loop: Header=BB6_16537 Depth=3
	s_or_b64 exec, exec, s[28:29]
	buffer_load_dword v0, off, s[0:3], s33 offset:112 ; 4-byte Folded Reload
	buffer_load_dword v3, off, s[0:3], s33 offset:128 ; 4-byte Folded Reload
	;; [unrolled: 1-line block ×3, first 2 shown]
	v_mov_b32_e32 v9, v51
	v_cmp_ne_u32_e32 vcc, 0, v42
	s_waitcnt vmcnt(2)
	v_lshl_or_b32 v0, v0, 8, v42
	s_waitcnt vmcnt(1)
	v_lshlrev_b32_e32 v3, 16, v3
	s_waitcnt vmcnt(0)
	v_lshlrev_b32_e32 v5, 24, v5
	v_or3_b32 v8, v3, v5, v0
	v_mov_b32_e32 v3, 0
	v_mov_b32_e32 v5, 0
	s_and_saveexec_b64 s[28:29], vcc
	s_cbranch_execz .LBB6_19527
; %bb.19522:                            ;   in Loop: Header=BB6_16537 Depth=3
	v_cmp_ne_u32_e32 vcc, s96, v42
	v_bfrev_b32_e32 v5, 1
	s_and_saveexec_b64 s[30:31], vcc
	s_cbranch_execz .LBB6_19526
; %bb.19523:                            ;   in Loop: Header=BB6_16537 Depth=3
	v_and_b32_e32 v12, 0x7f, v42
	v_cmp_ne_u32_e32 vcc, s86, v12
	v_mov_b32_e32 v5, 0x7f800001
	s_and_saveexec_b64 s[34:35], vcc
	s_cbranch_execz .LBB6_19525
; %bb.19524:                            ;   in Loop: Header=BB6_16537 Depth=3
	v_and_b32_e32 v5, 7, v42
	v_ffbh_u32_e32 v5, v5
	v_min_u32_e32 v5, 32, v5
	v_lshrrev_b32_e32 v13, 3, v12
	v_cmp_gt_u32_e32 vcc, 8, v12
	v_subrev_u32_e32 v12, 28, v5
	v_sub_u32_e32 v5, 29, v5
	v_cndmask_b32_e32 v12, 0, v12, vcc
	v_cndmask_b32_e32 v5, v13, v5, vcc
	v_lshlrev_b64 v[12:13], v12, v[8:9]
	v_bfrev_b32_e32 v13, 60
	v_lshlrev_b32_e32 v9, 20, v12
	v_lshlrev_b32_e32 v12, 24, v8
	v_and_b32_e32 v9, 0x700000, v9
	v_and_b32_e32 v12, 0x80000000, v12
	v_lshl_add_u32 v5, v5, 23, v13
	v_or3_b32 v5, v12, v5, v9
.LBB6_19525:                            ;   in Loop: Header=BB6_16537 Depth=3
	s_or_b64 exec, exec, s[34:35]
.LBB6_19526:                            ;   in Loop: Header=BB6_16537 Depth=3
	s_or_b64 exec, exec, s[30:31]
.LBB6_19527:                            ;   in Loop: Header=BB6_16537 Depth=3
	s_or_b64 exec, exec, s[28:29]
	v_cmp_ne_u16_sdwa vcc, v10, v51 src0_sel:BYTE_0 src1_sel:DWORD
	s_and_saveexec_b64 s[28:29], vcc
	s_cbranch_execz .LBB6_19533
; %bb.19528:                            ;   in Loop: Header=BB6_16537 Depth=3
	v_cmp_ne_u16_sdwa vcc, v10, s96 src0_sel:BYTE_0 src1_sel:DWORD
	v_bfrev_b32_e32 v3, 1
	s_and_saveexec_b64 s[30:31], vcc
	s_cbranch_execz .LBB6_19532
; %bb.19529:                            ;   in Loop: Header=BB6_16537 Depth=3
	v_and_b32_e32 v9, 0x7f, v10
	v_cmp_ne_u32_e32 vcc, s86, v9
	v_mov_b32_e32 v3, 0x7f800001
	s_and_saveexec_b64 s[34:35], vcc
	s_cbranch_execz .LBB6_19531
; %bb.19530:                            ;   in Loop: Header=BB6_16537 Depth=3
	v_and_b32_e32 v3, 7, v10
	v_ffbh_u32_e32 v3, v3
	v_min_u32_e32 v3, 32, v3
	v_lshrrev_b32_e32 v12, 3, v9
	v_cmp_gt_u32_e32 vcc, 8, v9
	v_subrev_u32_e32 v9, 28, v3
	v_sub_u32_e32 v3, 29, v3
	v_cndmask_b32_e32 v9, 0, v9, vcc
	v_cndmask_b32_e32 v3, v12, v3, vcc
	v_lshlrev_b64 v[12:13], v9, v[10:11]
	v_bfrev_b32_e32 v13, 60
	v_lshlrev_b32_e32 v9, 20, v12
	v_lshlrev_b32_e32 v12, 24, v10
	v_and_b32_e32 v9, 0x700000, v9
	v_and_b32_e32 v12, 0x80000000, v12
	v_lshl_add_u32 v3, v3, 23, v13
	v_or3_b32 v3, v12, v3, v9
.LBB6_19531:                            ;   in Loop: Header=BB6_16537 Depth=3
	s_or_b64 exec, exec, s[34:35]
.LBB6_19532:                            ;   in Loop: Header=BB6_16537 Depth=3
	s_or_b64 exec, exec, s[30:31]
.LBB6_19533:                            ;   in Loop: Header=BB6_16537 Depth=3
	s_or_b64 exec, exec, s[28:29]
	v_add_f32_e32 v5, v5, v3
	v_and_b32_e32 v12, 0x7f800000, v5
	v_mov_b32_e32 v13, v51
	v_cmp_ne_u64_e32 vcc, s[76:77], v[12:13]
                                        ; implicit-def: $vgpr42
	s_and_saveexec_b64 s[28:29], vcc
	s_xor_b64 s[30:31], exec, s[28:29]
	s_cbranch_execz .LBB6_19547
; %bb.19534:                            ;   in Loop: Header=BB6_16537 Depth=3
	v_and_b32_e32 v12, 0x7fffffff, v5
	v_mov_b32_e32 v13, v51
	v_cmp_gt_u64_e32 vcc, s[78:79], v[12:13]
	v_and_b32_sdwa v3, v5, s96 dst_sel:DWORD dst_unused:UNUSED_PAD src0_sel:BYTE_3 src1_sel:DWORD
                                        ; implicit-def: $vgpr42
	s_and_saveexec_b64 s[28:29], vcc
	s_xor_b64 s[34:35], exec, s[28:29]
	s_cbranch_execz .LBB6_19544
; %bb.19535:                            ;   in Loop: Header=BB6_16537 Depth=3
	v_mov_b32_e32 v42, 0
	v_cmp_ne_u32_e32 vcc, 0, v5
	s_and_saveexec_b64 s[36:37], vcc
	s_cbranch_execz .LBB6_19543
; %bb.19536:                            ;   in Loop: Header=BB6_16537 Depth=3
	v_and_b32_e32 v12, 0x7fffff, v5
	v_bfe_u32 v5, v5, 23, 8
	v_cmp_gt_u32_e64 s[28:29], s97, v5
	v_sub_u32_e32 v9, 0x79, v5
	v_cmp_eq_u32_e32 vcc, 0, v5
	v_cndmask_b32_e64 v9, 0, v9, s[28:29]
	v_mov_b32_e32 v14, 0x78
	v_cndmask_b32_e32 v9, v9, v14, vcc
	v_add_u32_e32 v14, 20, v9
	v_or_b32_e32 v13, 0x800000, v12
	v_lshlrev_b64 v[24:25], v14, -1
	v_cndmask_b32_e32 v12, v13, v12, vcc
	v_mov_b32_e32 v13, v51
	v_add_u32_e32 v14, 19, v9
	v_bfi_b32 v24, v24, 0, v12
	v_lshlrev_b64 v[28:29], v14, 1
	v_lshrrev_b64 v[12:13], v9, v[12:13]
	v_bfi_b32 v25, v25, 0, 0
	v_cmp_eq_u64_e64 s[28:29], v[24:25], v[28:29]
	v_mov_b32_e32 v14, v13
	v_mov_b32_e32 v13, v12
	s_and_saveexec_b64 s[38:39], s[28:29]
; %bb.19537:                            ;   in Loop: Header=BB6_16537 Depth=3
	v_bfe_u32 v13, v12, 20, 1
	v_add_co_u32_e64 v13, s[28:29], v12, v13
	v_add_co_u32_e64 v13, s[28:29], -1, v13
; %bb.19538:                            ;   in Loop: Header=BB6_16537 Depth=3
	s_or_b64 exec, exec, s[38:39]
	v_add_u32_e32 v5, 0xffffff81, v5
	v_mov_b32_e32 v14, 0xffffff82
	v_cndmask_b32_e32 v5, v5, v14, vcc
	v_lshrrev_b32_e32 v14, 23, v12
	v_add3_u32 v14, v9, v5, v14
	v_add_u32_e32 v9, 6, v14
	v_and_b32_e32 v5, 0xfffff, v13
	v_add_u32_e32 v12, v5, v12
	v_mov_b32_e32 v13, v51
	v_cmp_ne_u32_e32 vcc, 0, v9
                                        ; implicit-def: $vgpr5
	s_and_saveexec_b64 s[28:29], vcc
	s_xor_b64 s[28:29], exec, s[28:29]
; %bb.19539:                            ;   in Loop: Header=BB6_16537 Depth=3
	v_cmp_lt_u64_e32 vcc, s[88:89], v[12:13]
	v_add_u32_e32 v5, 7, v14
	v_cndmask_b32_e32 v5, v9, v5, vcc
	v_cndmask_b32_e64 v9, 0, 1, vcc
	v_lshrrev_b64 v[12:13], v9, v[12:13]
; %bb.19540:                            ;   in Loop: Header=BB6_16537 Depth=3
	s_andn2_saveexec_b64 s[28:29], s[28:29]
; %bb.19541:                            ;   in Loop: Header=BB6_16537 Depth=3
	v_bfe_u32 v5, v12, 23, 1
; %bb.19542:                            ;   in Loop: Header=BB6_16537 Depth=3
	s_or_b64 exec, exec, s[28:29]
	v_lshrrev_b64 v[12:13], 20, v[12:13]
	v_cmp_gt_i32_e32 vcc, 16, v5
	v_cndmask_b32_e32 v13, 0, v13, vcc
	v_cndmask_b32_e32 v12, 7, v12, vcc
	v_cmp_eq_u32_e32 vcc, 0, v5
	v_min_i32_e32 v5, 15, v5
	v_cmp_eq_u64_e64 s[28:29], 0, v[12:13]
	v_lshlrev_b32_e32 v5, 3, v5
	v_and_b32_e32 v5, 0xf8, v5
	v_and_or_b32 v5, v12, 7, v5
	s_and_b64 s[28:29], vcc, s[28:29]
	v_cndmask_b32_e64 v5, v5, 0, s[28:29]
	v_or_b32_e32 v42, v5, v3
.LBB6_19543:                            ;   in Loop: Header=BB6_16537 Depth=3
	s_or_b64 exec, exec, s[36:37]
                                        ; implicit-def: $vgpr3
.LBB6_19544:                            ;   in Loop: Header=BB6_16537 Depth=3
	s_andn2_saveexec_b64 s[28:29], s[34:35]
; %bb.19545:                            ;   in Loop: Header=BB6_16537 Depth=3
	v_or_b32_e32 v42, 0x7e, v3
; %bb.19546:                            ;   in Loop: Header=BB6_16537 Depth=3
	s_or_b64 exec, exec, s[28:29]
                                        ; implicit-def: $vgpr5
.LBB6_19547:                            ;   in Loop: Header=BB6_16537 Depth=3
	s_andn2_saveexec_b64 s[28:29], s[30:31]
; %bb.19548:                            ;   in Loop: Header=BB6_16537 Depth=3
	v_or_b32_sdwa v42, v5, s86 dst_sel:DWORD dst_unused:UNUSED_PAD src0_sel:BYTE_3 src1_sel:DWORD
; %bb.19549:                            ;   in Loop: Header=BB6_16537 Depth=3
	s_or_b64 exec, exec, s[28:29]
	v_lshrrev_b16_e32 v9, 8, v0
	v_cmp_ne_u16_e32 vcc, 0, v9
	v_mov_b32_e32 v3, 0
	v_mov_b32_e32 v5, 0
	s_and_saveexec_b64 s[28:29], vcc
	s_cbranch_execz .LBB6_19555
; %bb.19550:                            ;   in Loop: Header=BB6_16537 Depth=3
	v_cmp_ne_u16_e32 vcc, s96, v9
	v_bfrev_b32_e32 v5, 1
	s_and_saveexec_b64 s[30:31], vcc
	s_cbranch_execz .LBB6_19554
; %bb.19551:                            ;   in Loop: Header=BB6_16537 Depth=3
	v_and_b32_e32 v12, 0x7f, v9
	v_cmp_ne_u32_e32 vcc, s86, v12
	v_mov_b32_e32 v5, 0x7f800001
	s_and_saveexec_b64 s[34:35], vcc
	s_cbranch_execz .LBB6_19553
; %bb.19552:                            ;   in Loop: Header=BB6_16537 Depth=3
	v_and_b32_e32 v5, 7, v9
	v_lshrrev_b32_e32 v14, 3, v12
	v_cmp_gt_u32_e32 vcc, 8, v12
	v_ffbh_u32_e32 v12, v5
	v_min_u32_e32 v24, 32, v12
	v_subrev_u32_e32 v12, 28, v24
	v_lshlrev_b64 v[12:13], v12, v[9:10]
	v_sub_u32_e32 v9, 29, v24
	v_and_b32_e32 v12, 7, v12
	v_cndmask_b32_e32 v9, v14, v9, vcc
	v_cndmask_b32_e32 v5, v5, v12, vcc
	v_lshlrev_b32_e32 v0, 16, v0
	v_bfrev_b32_e32 v12, 60
	v_lshlrev_b32_e32 v5, 20, v5
	v_and_b32_e32 v0, 0x80000000, v0
	v_lshl_add_u32 v9, v9, 23, v12
	v_or3_b32 v5, v0, v9, v5
.LBB6_19553:                            ;   in Loop: Header=BB6_16537 Depth=3
	s_or_b64 exec, exec, s[34:35]
.LBB6_19554:                            ;   in Loop: Header=BB6_16537 Depth=3
	s_or_b64 exec, exec, s[30:31]
.LBB6_19555:                            ;   in Loop: Header=BB6_16537 Depth=3
	s_or_b64 exec, exec, s[28:29]
	v_lshrrev_b16_e32 v9, 8, v10
	v_cmp_ne_u16_e32 vcc, 0, v9
	s_and_saveexec_b64 s[28:29], vcc
	s_cbranch_execz .LBB6_19561
; %bb.19556:                            ;   in Loop: Header=BB6_16537 Depth=3
	v_cmp_ne_u16_e32 vcc, s96, v9
	v_bfrev_b32_e32 v3, 1
	s_and_saveexec_b64 s[30:31], vcc
	s_cbranch_execz .LBB6_19560
; %bb.19557:                            ;   in Loop: Header=BB6_16537 Depth=3
	v_and_b32_e32 v0, 0x7f, v9
	v_cmp_ne_u32_e32 vcc, s86, v0
	v_mov_b32_e32 v3, 0x7f800001
	s_and_saveexec_b64 s[34:35], vcc
	s_cbranch_execz .LBB6_19559
; %bb.19558:                            ;   in Loop: Header=BB6_16537 Depth=3
	v_and_b32_e32 v3, 7, v9
	v_lshrrev_b32_e32 v14, 3, v0
	v_cmp_gt_u32_e32 vcc, 8, v0
	v_ffbh_u32_e32 v0, v3
	v_min_u32_e32 v0, 32, v0
	v_subrev_u32_e32 v12, 28, v0
	v_lshlrev_b64 v[12:13], v12, v[9:10]
	v_sub_u32_e32 v0, 29, v0
	v_and_b32_e32 v9, 7, v12
	v_cndmask_b32_e32 v0, v14, v0, vcc
	v_cndmask_b32_e32 v3, v3, v9, vcc
	v_lshlrev_b32_e32 v9, 16, v10
	v_bfrev_b32_e32 v12, 60
	v_lshlrev_b32_e32 v3, 20, v3
	v_and_b32_e32 v9, 0x80000000, v9
	v_lshl_add_u32 v0, v0, 23, v12
	v_or3_b32 v3, v9, v0, v3
.LBB6_19559:                            ;   in Loop: Header=BB6_16537 Depth=3
	s_or_b64 exec, exec, s[34:35]
.LBB6_19560:                            ;   in Loop: Header=BB6_16537 Depth=3
	s_or_b64 exec, exec, s[30:31]
.LBB6_19561:                            ;   in Loop: Header=BB6_16537 Depth=3
	s_or_b64 exec, exec, s[28:29]
	v_add_f32_e32 v3, v5, v3
	v_and_b32_e32 v12, 0x7f800000, v3
	v_mov_b32_e32 v13, v51
	v_cmp_ne_u64_e32 vcc, s[76:77], v[12:13]
                                        ; implicit-def: $vgpr35
	s_and_saveexec_b64 s[28:29], vcc
	s_xor_b64 s[30:31], exec, s[28:29]
	s_cbranch_execz .LBB6_19575
; %bb.19562:                            ;   in Loop: Header=BB6_16537 Depth=3
	v_and_b32_e32 v12, 0x7fffffff, v3
	v_mov_b32_e32 v13, v51
	v_cmp_gt_u64_e32 vcc, s[78:79], v[12:13]
	v_and_b32_sdwa v0, v3, s96 dst_sel:DWORD dst_unused:UNUSED_PAD src0_sel:BYTE_3 src1_sel:DWORD
                                        ; implicit-def: $vgpr35
	s_and_saveexec_b64 s[28:29], vcc
	s_xor_b64 s[34:35], exec, s[28:29]
	s_cbranch_execz .LBB6_19572
; %bb.19563:                            ;   in Loop: Header=BB6_16537 Depth=3
	v_mov_b32_e32 v35, 0
	v_cmp_ne_u32_e32 vcc, 0, v3
	s_and_saveexec_b64 s[36:37], vcc
	s_cbranch_execz .LBB6_19571
; %bb.19564:                            ;   in Loop: Header=BB6_16537 Depth=3
	v_and_b32_e32 v9, 0x7fffff, v3
	v_bfe_u32 v3, v3, 23, 8
	v_cmp_gt_u32_e64 s[28:29], s97, v3
	v_sub_u32_e32 v5, 0x79, v3
	v_cmp_eq_u32_e32 vcc, 0, v3
	v_cndmask_b32_e64 v5, 0, v5, s[28:29]
	v_mov_b32_e32 v13, 0x78
	v_or_b32_e32 v12, 0x800000, v9
	v_cndmask_b32_e32 v5, v5, v13, vcc
	v_cndmask_b32_e32 v12, v12, v9, vcc
	v_add_u32_e32 v9, 20, v5
	v_lshlrev_b64 v[24:25], v9, -1
	v_mov_b32_e32 v13, v51
	v_add_u32_e32 v9, 19, v5
	v_bfi_b32 v24, v24, 0, v12
	v_lshlrev_b64 v[28:29], v9, 1
	v_lshrrev_b64 v[12:13], v5, v[12:13]
	v_bfi_b32 v25, v25, 0, 0
	v_cmp_eq_u64_e64 s[28:29], v[24:25], v[28:29]
	v_mov_b32_e32 v14, v13
	v_mov_b32_e32 v13, v12
	s_and_saveexec_b64 s[38:39], s[28:29]
; %bb.19565:                            ;   in Loop: Header=BB6_16537 Depth=3
	v_bfe_u32 v9, v12, 20, 1
	v_add_co_u32_e64 v9, s[28:29], v12, v9
	v_add_co_u32_e64 v13, s[28:29], -1, v9
; %bb.19566:                            ;   in Loop: Header=BB6_16537 Depth=3
	s_or_b64 exec, exec, s[38:39]
	v_add_u32_e32 v3, 0xffffff81, v3
	v_mov_b32_e32 v9, 0xffffff82
	v_cndmask_b32_e32 v3, v3, v9, vcc
	v_lshrrev_b32_e32 v9, 23, v12
	v_add3_u32 v9, v5, v3, v9
	v_add_u32_e32 v5, 6, v9
	v_and_b32_e32 v3, 0xfffff, v13
	v_add_u32_e32 v12, v3, v12
	v_mov_b32_e32 v13, v51
	v_cmp_ne_u32_e32 vcc, 0, v5
                                        ; implicit-def: $vgpr3
	s_and_saveexec_b64 s[28:29], vcc
	s_xor_b64 s[28:29], exec, s[28:29]
; %bb.19567:                            ;   in Loop: Header=BB6_16537 Depth=3
	v_cmp_lt_u64_e32 vcc, s[88:89], v[12:13]
	v_add_u32_e32 v3, 7, v9
	v_cndmask_b32_e32 v3, v5, v3, vcc
	v_cndmask_b32_e64 v5, 0, 1, vcc
	v_lshrrev_b64 v[12:13], v5, v[12:13]
; %bb.19568:                            ;   in Loop: Header=BB6_16537 Depth=3
	s_andn2_saveexec_b64 s[28:29], s[28:29]
; %bb.19569:                            ;   in Loop: Header=BB6_16537 Depth=3
	v_bfe_u32 v3, v12, 23, 1
; %bb.19570:                            ;   in Loop: Header=BB6_16537 Depth=3
	s_or_b64 exec, exec, s[28:29]
	v_lshrrev_b64 v[12:13], 20, v[12:13]
	v_cmp_gt_i32_e32 vcc, 16, v3
	v_cndmask_b32_e32 v13, 0, v13, vcc
	v_cndmask_b32_e32 v12, 7, v12, vcc
	v_cmp_eq_u32_e32 vcc, 0, v3
	v_min_i32_e32 v3, 15, v3
	v_cmp_eq_u64_e64 s[28:29], 0, v[12:13]
	v_lshlrev_b32_e32 v3, 3, v3
	v_and_b32_e32 v3, 0xf8, v3
	v_and_or_b32 v3, v12, 7, v3
	s_and_b64 s[28:29], vcc, s[28:29]
	v_cndmask_b32_e64 v3, v3, 0, s[28:29]
	v_or_b32_e32 v35, v3, v0
.LBB6_19571:                            ;   in Loop: Header=BB6_16537 Depth=3
	s_or_b64 exec, exec, s[36:37]
                                        ; implicit-def: $vgpr0
.LBB6_19572:                            ;   in Loop: Header=BB6_16537 Depth=3
	s_andn2_saveexec_b64 s[28:29], s[34:35]
; %bb.19573:                            ;   in Loop: Header=BB6_16537 Depth=3
	v_or_b32_e32 v35, 0x7e, v0
; %bb.19574:                            ;   in Loop: Header=BB6_16537 Depth=3
	s_or_b64 exec, exec, s[28:29]
                                        ; implicit-def: $vgpr3
.LBB6_19575:                            ;   in Loop: Header=BB6_16537 Depth=3
	s_andn2_saveexec_b64 s[28:29], s[30:31]
; %bb.19576:                            ;   in Loop: Header=BB6_16537 Depth=3
	v_or_b32_sdwa v35, v3, s86 dst_sel:DWORD dst_unused:UNUSED_PAD src0_sel:BYTE_3 src1_sel:DWORD
; %bb.19577:                            ;   in Loop: Header=BB6_16537 Depth=3
	s_or_b64 exec, exec, s[28:29]
	v_lshrrev_b32_e32 v9, 16, v8
	v_cmp_ne_u16_sdwa vcc, v9, v51 src0_sel:BYTE_0 src1_sel:DWORD
	v_mov_b32_e32 v0, 0
	v_mov_b32_e32 v3, 0
	s_and_saveexec_b64 s[28:29], vcc
	s_cbranch_execz .LBB6_19583
; %bb.19578:                            ;   in Loop: Header=BB6_16537 Depth=3
	v_cmp_ne_u16_sdwa vcc, v9, s96 src0_sel:BYTE_0 src1_sel:DWORD
	v_bfrev_b32_e32 v3, 1
	s_and_saveexec_b64 s[30:31], vcc
	s_cbranch_execz .LBB6_19582
; %bb.19579:                            ;   in Loop: Header=BB6_16537 Depth=3
	v_bfe_u32 v5, v8, 16, 7
	v_cmp_ne_u32_e32 vcc, s86, v5
	v_mov_b32_e32 v3, 0x7f800001
	s_and_saveexec_b64 s[34:35], vcc
	s_cbranch_execz .LBB6_19581
; %bb.19580:                            ;   in Loop: Header=BB6_16537 Depth=3
	v_and_b32_e32 v3, 7, v9
	v_lshrrev_b32_e32 v14, 3, v5
	v_cmp_gt_u32_e32 vcc, 8, v5
	v_ffbh_u32_e32 v5, v3
	v_min_u32_e32 v5, 32, v5
	v_subrev_u32_e32 v12, 28, v5
	v_lshlrev_b64 v[12:13], v12, v[9:10]
	v_sub_u32_e32 v5, 29, v5
	v_and_b32_e32 v12, 7, v12
	v_cndmask_b32_e32 v5, v14, v5, vcc
	v_cndmask_b32_e32 v3, v3, v12, vcc
	v_lshlrev_b32_e32 v9, 24, v9
	v_bfrev_b32_e32 v12, 60
	v_lshlrev_b32_e32 v3, 20, v3
	v_and_b32_e32 v9, 0x80000000, v9
	v_lshl_add_u32 v5, v5, 23, v12
	v_or3_b32 v3, v9, v5, v3
.LBB6_19581:                            ;   in Loop: Header=BB6_16537 Depth=3
	s_or_b64 exec, exec, s[34:35]
.LBB6_19582:                            ;   in Loop: Header=BB6_16537 Depth=3
	s_or_b64 exec, exec, s[30:31]
.LBB6_19583:                            ;   in Loop: Header=BB6_16537 Depth=3
	s_or_b64 exec, exec, s[28:29]
	v_lshrrev_b32_e32 v9, 16, v10
	v_cmp_ne_u16_sdwa vcc, v9, v51 src0_sel:BYTE_0 src1_sel:DWORD
	s_and_saveexec_b64 s[28:29], vcc
	s_cbranch_execz .LBB6_19589
; %bb.19584:                            ;   in Loop: Header=BB6_16537 Depth=3
	v_cmp_ne_u16_sdwa vcc, v9, s96 src0_sel:BYTE_0 src1_sel:DWORD
	v_bfrev_b32_e32 v0, 1
	s_and_saveexec_b64 s[30:31], vcc
	s_cbranch_execz .LBB6_19588
; %bb.19585:                            ;   in Loop: Header=BB6_16537 Depth=3
	v_bfe_u32 v5, v10, 16, 7
	v_cmp_ne_u32_e32 vcc, s86, v5
	v_mov_b32_e32 v0, 0x7f800001
	s_and_saveexec_b64 s[34:35], vcc
	s_cbranch_execz .LBB6_19587
; %bb.19586:                            ;   in Loop: Header=BB6_16537 Depth=3
	v_and_b32_e32 v0, 7, v9
	v_lshrrev_b32_e32 v14, 3, v5
	v_cmp_gt_u32_e32 vcc, 8, v5
	v_ffbh_u32_e32 v5, v0
	v_min_u32_e32 v5, 32, v5
	v_subrev_u32_e32 v12, 28, v5
	v_lshlrev_b64 v[12:13], v12, v[9:10]
	v_sub_u32_e32 v5, 29, v5
	v_and_b32_e32 v9, 7, v12
	v_cndmask_b32_e32 v5, v14, v5, vcc
	v_cndmask_b32_e32 v0, v0, v9, vcc
	v_lshlrev_b32_e32 v9, 8, v10
	v_bfrev_b32_e32 v12, 60
	v_lshlrev_b32_e32 v0, 20, v0
	v_and_b32_e32 v9, 0x80000000, v9
	v_lshl_add_u32 v5, v5, 23, v12
	v_or3_b32 v0, v9, v5, v0
.LBB6_19587:                            ;   in Loop: Header=BB6_16537 Depth=3
	s_or_b64 exec, exec, s[34:35]
.LBB6_19588:                            ;   in Loop: Header=BB6_16537 Depth=3
	s_or_b64 exec, exec, s[30:31]
.LBB6_19589:                            ;   in Loop: Header=BB6_16537 Depth=3
	s_or_b64 exec, exec, s[28:29]
	v_add_f32_e32 v5, v3, v0
	v_and_b32_e32 v12, 0x7f800000, v5
	v_mov_b32_e32 v13, v51
	v_cmp_ne_u64_e32 vcc, s[76:77], v[12:13]
                                        ; implicit-def: $vgpr0
	s_and_saveexec_b64 s[28:29], vcc
	s_xor_b64 s[30:31], exec, s[28:29]
	s_cbranch_execz .LBB6_19603
; %bb.19590:                            ;   in Loop: Header=BB6_16537 Depth=3
	v_and_b32_e32 v12, 0x7fffffff, v5
	v_mov_b32_e32 v13, v51
	v_cmp_gt_u64_e32 vcc, s[78:79], v[12:13]
	v_and_b32_sdwa v3, v5, s96 dst_sel:DWORD dst_unused:UNUSED_PAD src0_sel:BYTE_3 src1_sel:DWORD
                                        ; implicit-def: $vgpr0
	s_and_saveexec_b64 s[28:29], vcc
	s_xor_b64 s[34:35], exec, s[28:29]
	s_cbranch_execz .LBB6_19600
; %bb.19591:                            ;   in Loop: Header=BB6_16537 Depth=3
	v_mov_b32_e32 v0, 0
	v_cmp_ne_u32_e32 vcc, 0, v5
	s_and_saveexec_b64 s[36:37], vcc
	s_cbranch_execz .LBB6_19599
; %bb.19592:                            ;   in Loop: Header=BB6_16537 Depth=3
	v_bfe_u32 v0, v5, 23, 8
	v_and_b32_e32 v9, 0x7fffff, v5
	v_cmp_gt_u32_e64 s[28:29], s97, v0
	v_sub_u32_e32 v5, 0x79, v0
	v_cmp_eq_u32_e32 vcc, 0, v0
	v_cndmask_b32_e64 v5, 0, v5, s[28:29]
	v_mov_b32_e32 v13, 0x78
	v_or_b32_e32 v12, 0x800000, v9
	v_cndmask_b32_e32 v5, v5, v13, vcc
	v_cndmask_b32_e32 v12, v12, v9, vcc
	v_add_u32_e32 v9, 20, v5
	v_lshlrev_b64 v[24:25], v9, -1
	v_mov_b32_e32 v13, v51
	v_add_u32_e32 v9, 19, v5
	v_bfi_b32 v24, v24, 0, v12
	v_lshlrev_b64 v[28:29], v9, 1
	v_lshrrev_b64 v[12:13], v5, v[12:13]
	v_bfi_b32 v25, v25, 0, 0
	v_cmp_eq_u64_e64 s[28:29], v[24:25], v[28:29]
	v_mov_b32_e32 v14, v13
	v_mov_b32_e32 v13, v12
	s_and_saveexec_b64 s[38:39], s[28:29]
; %bb.19593:                            ;   in Loop: Header=BB6_16537 Depth=3
	v_bfe_u32 v9, v12, 20, 1
	v_add_co_u32_e64 v9, s[28:29], v12, v9
	v_add_co_u32_e64 v13, s[28:29], -1, v9
; %bb.19594:                            ;   in Loop: Header=BB6_16537 Depth=3
	s_or_b64 exec, exec, s[38:39]
	v_add_u32_e32 v0, 0xffffff81, v0
	v_mov_b32_e32 v9, 0xffffff82
	v_cndmask_b32_e32 v0, v0, v9, vcc
	v_lshrrev_b32_e32 v9, 23, v12
	v_add3_u32 v9, v5, v0, v9
	v_add_u32_e32 v5, 6, v9
	v_and_b32_e32 v0, 0xfffff, v13
	v_add_u32_e32 v12, v0, v12
	v_mov_b32_e32 v13, v51
	v_cmp_ne_u32_e32 vcc, 0, v5
                                        ; implicit-def: $vgpr0
	s_and_saveexec_b64 s[28:29], vcc
	s_xor_b64 s[28:29], exec, s[28:29]
; %bb.19595:                            ;   in Loop: Header=BB6_16537 Depth=3
	v_cmp_lt_u64_e32 vcc, s[88:89], v[12:13]
	v_add_u32_e32 v0, 7, v9
	v_cndmask_b32_e32 v0, v5, v0, vcc
	v_cndmask_b32_e64 v5, 0, 1, vcc
	v_lshrrev_b64 v[12:13], v5, v[12:13]
; %bb.19596:                            ;   in Loop: Header=BB6_16537 Depth=3
	s_andn2_saveexec_b64 s[28:29], s[28:29]
; %bb.19597:                            ;   in Loop: Header=BB6_16537 Depth=3
	v_bfe_u32 v0, v12, 23, 1
; %bb.19598:                            ;   in Loop: Header=BB6_16537 Depth=3
	s_or_b64 exec, exec, s[28:29]
	v_lshrrev_b64 v[12:13], 20, v[12:13]
	v_cmp_gt_i32_e32 vcc, 16, v0
	v_cndmask_b32_e32 v13, 0, v13, vcc
	v_cndmask_b32_e32 v12, 7, v12, vcc
	v_cmp_eq_u32_e32 vcc, 0, v0
	v_min_i32_e32 v0, 15, v0
	v_cmp_eq_u64_e64 s[28:29], 0, v[12:13]
	v_lshlrev_b32_e32 v0, 3, v0
	v_and_b32_e32 v0, 0xf8, v0
	v_and_or_b32 v0, v12, 7, v0
	s_and_b64 s[28:29], vcc, s[28:29]
	v_cndmask_b32_e64 v0, v0, 0, s[28:29]
	v_or_b32_e32 v0, v0, v3
.LBB6_19599:                            ;   in Loop: Header=BB6_16537 Depth=3
	s_or_b64 exec, exec, s[36:37]
                                        ; implicit-def: $vgpr3
.LBB6_19600:                            ;   in Loop: Header=BB6_16537 Depth=3
	s_andn2_saveexec_b64 s[28:29], s[34:35]
; %bb.19601:                            ;   in Loop: Header=BB6_16537 Depth=3
	v_or_b32_e32 v0, 0x7e, v3
; %bb.19602:                            ;   in Loop: Header=BB6_16537 Depth=3
	s_or_b64 exec, exec, s[28:29]
                                        ; implicit-def: $vgpr5
.LBB6_19603:                            ;   in Loop: Header=BB6_16537 Depth=3
	s_andn2_saveexec_b64 s[28:29], s[30:31]
; %bb.19604:                            ;   in Loop: Header=BB6_16537 Depth=3
	v_or_b32_sdwa v0, v5, s86 dst_sel:DWORD dst_unused:UNUSED_PAD src0_sel:BYTE_3 src1_sel:DWORD
; %bb.19605:                            ;   in Loop: Header=BB6_16537 Depth=3
	s_or_b64 exec, exec, s[28:29]
	v_cmp_lt_u32_e32 vcc, s57, v8
	v_mov_b32_e32 v3, 0
	v_mov_b32_e32 v5, 0
	s_and_saveexec_b64 s[28:29], vcc
	s_cbranch_execz .LBB6_19611
; %bb.19606:                            ;   in Loop: Header=BB6_16537 Depth=3
	v_lshrrev_b32_e32 v9, 24, v8
	v_cmp_ne_u32_sdwa vcc, v8, s96 src0_sel:BYTE_3 src1_sel:DWORD
	v_bfrev_b32_e32 v5, 1
	s_and_saveexec_b64 s[30:31], vcc
	s_cbranch_execz .LBB6_19610
; %bb.19607:                            ;   in Loop: Header=BB6_16537 Depth=3
	v_bfe_u32 v12, v8, 24, 7
	v_cmp_ne_u32_e32 vcc, s86, v12
	v_mov_b32_e32 v5, 0x7f800001
	s_and_saveexec_b64 s[34:35], vcc
	s_cbranch_execz .LBB6_19609
; %bb.19608:                            ;   in Loop: Header=BB6_16537 Depth=3
	v_and_b32_e32 v5, 7, v9
	v_lshrrev_b32_e32 v14, 3, v12
	v_cmp_gt_u32_e32 vcc, 8, v12
	v_ffbh_u32_e32 v12, v5
	v_min_u32_e32 v24, 32, v12
	v_subrev_u32_e32 v12, 28, v24
	v_lshlrev_b64 v[12:13], v12, v[9:10]
	v_sub_u32_e32 v9, 29, v24
	v_and_b32_e32 v12, 7, v12
	v_cndmask_b32_e32 v5, v5, v12, vcc
	v_mov_b32_e32 v12, 24
	v_cndmask_b32_e32 v9, v14, v9, vcc
	v_lshlrev_b32_sdwa v8, v12, v8 dst_sel:DWORD dst_unused:UNUSED_PAD src0_sel:DWORD src1_sel:BYTE_3
	v_bfrev_b32_e32 v12, 60
	v_lshlrev_b32_e32 v5, 20, v5
	v_and_b32_e32 v8, 0x80000000, v8
	v_lshl_add_u32 v9, v9, 23, v12
	v_or3_b32 v5, v8, v9, v5
.LBB6_19609:                            ;   in Loop: Header=BB6_16537 Depth=3
	s_or_b64 exec, exec, s[34:35]
.LBB6_19610:                            ;   in Loop: Header=BB6_16537 Depth=3
	s_or_b64 exec, exec, s[30:31]
.LBB6_19611:                            ;   in Loop: Header=BB6_16537 Depth=3
	s_or_b64 exec, exec, s[28:29]
	v_cmp_lt_u32_e32 vcc, s57, v10
	s_and_saveexec_b64 s[28:29], vcc
	s_cbranch_execz .LBB6_19617
; %bb.19612:                            ;   in Loop: Header=BB6_16537 Depth=3
	v_lshrrev_b32_e32 v8, 24, v10
	v_cmp_ne_u32_e32 vcc, s96, v8
	v_bfrev_b32_e32 v3, 1
	s_and_saveexec_b64 s[30:31], vcc
	s_cbranch_execz .LBB6_19616
; %bb.19613:                            ;   in Loop: Header=BB6_16537 Depth=3
	v_bfe_u32 v9, v10, 24, 7
	v_cmp_ne_u32_e32 vcc, s86, v9
	v_mov_b32_e32 v3, 0x7f800001
	s_and_saveexec_b64 s[34:35], vcc
	s_cbranch_execz .LBB6_19615
; %bb.19614:                            ;   in Loop: Header=BB6_16537 Depth=3
	v_and_b32_e32 v3, 7, v8
	v_lshrrev_b32_e32 v14, 3, v9
	v_cmp_gt_u32_e32 vcc, 8, v9
	v_ffbh_u32_e32 v9, v3
	v_min_u32_e32 v9, 32, v9
	v_subrev_u32_e32 v12, 28, v9
	v_lshlrev_b64 v[12:13], v12, v[8:9]
	v_sub_u32_e32 v9, 29, v9
	v_and_b32_e32 v12, 7, v12
	v_cndmask_b32_e32 v9, v14, v9, vcc
	v_cndmask_b32_e32 v3, v3, v12, vcc
	v_lshlrev_b32_e32 v8, 24, v8
	v_bfrev_b32_e32 v12, 60
	v_lshlrev_b32_e32 v3, 20, v3
	v_and_b32_e32 v8, 0x80000000, v8
	v_lshl_add_u32 v9, v9, 23, v12
	v_or3_b32 v3, v8, v9, v3
.LBB6_19615:                            ;   in Loop: Header=BB6_16537 Depth=3
	s_or_b64 exec, exec, s[34:35]
.LBB6_19616:                            ;   in Loop: Header=BB6_16537 Depth=3
	s_or_b64 exec, exec, s[30:31]
.LBB6_19617:                            ;   in Loop: Header=BB6_16537 Depth=3
	s_or_b64 exec, exec, s[28:29]
	v_add_f32_e32 v8, v5, v3
	v_and_b32_e32 v12, 0x7f800000, v8
	v_mov_b32_e32 v13, v51
	v_cmp_ne_u64_e32 vcc, s[76:77], v[12:13]
                                        ; implicit-def: $vgpr3
	s_and_saveexec_b64 s[28:29], vcc
	s_xor_b64 s[30:31], exec, s[28:29]
	s_cbranch_execz .LBB6_19631
; %bb.19618:                            ;   in Loop: Header=BB6_16537 Depth=3
	v_and_b32_e32 v12, 0x7fffffff, v8
	v_mov_b32_e32 v13, v51
	v_cmp_gt_u64_e32 vcc, s[78:79], v[12:13]
	v_and_b32_sdwa v5, v8, s96 dst_sel:DWORD dst_unused:UNUSED_PAD src0_sel:BYTE_3 src1_sel:DWORD
                                        ; implicit-def: $vgpr3
	s_and_saveexec_b64 s[28:29], vcc
	s_xor_b64 s[34:35], exec, s[28:29]
	s_cbranch_execz .LBB6_19628
; %bb.19619:                            ;   in Loop: Header=BB6_16537 Depth=3
	v_mov_b32_e32 v3, 0
	v_cmp_ne_u32_e32 vcc, 0, v8
	s_and_saveexec_b64 s[36:37], vcc
	s_cbranch_execz .LBB6_19627
; %bb.19620:                            ;   in Loop: Header=BB6_16537 Depth=3
	v_bfe_u32 v3, v8, 23, 8
	v_and_b32_e32 v9, 0x7fffff, v8
	v_cmp_gt_u32_e64 s[28:29], s97, v3
	v_sub_u32_e32 v8, 0x79, v3
	v_cmp_eq_u32_e32 vcc, 0, v3
	v_cndmask_b32_e64 v8, 0, v8, s[28:29]
	v_mov_b32_e32 v13, 0x78
	v_or_b32_e32 v12, 0x800000, v9
	v_cndmask_b32_e32 v14, v8, v13, vcc
	v_cndmask_b32_e32 v8, v12, v9, vcc
	v_add_u32_e32 v12, 20, v14
	v_lshlrev_b64 v[12:13], v12, -1
	v_mov_b32_e32 v9, v51
	v_add_u32_e32 v24, 19, v14
	v_bfi_b32 v12, v12, 0, v8
	v_lshlrev_b64 v[24:25], v24, 1
	v_lshrrev_b64 v[8:9], v14, v[8:9]
	v_bfi_b32 v13, v13, 0, 0
	v_cmp_eq_u64_e64 s[28:29], v[12:13], v[24:25]
	v_mov_b32_e32 v13, v9
	v_mov_b32_e32 v12, v8
	s_and_saveexec_b64 s[38:39], s[28:29]
; %bb.19621:                            ;   in Loop: Header=BB6_16537 Depth=3
	v_bfe_u32 v9, v8, 20, 1
	v_add_co_u32_e64 v9, s[28:29], v8, v9
	v_add_co_u32_e64 v12, s[28:29], -1, v9
; %bb.19622:                            ;   in Loop: Header=BB6_16537 Depth=3
	s_or_b64 exec, exec, s[38:39]
	v_add_u32_e32 v3, 0xffffff81, v3
	v_mov_b32_e32 v9, 0xffffff82
	v_cndmask_b32_e32 v3, v3, v9, vcc
	v_lshrrev_b32_e32 v9, 23, v8
	v_add3_u32 v14, v14, v3, v9
	v_add_u32_e32 v13, 6, v14
	v_and_b32_e32 v3, 0xfffff, v12
	v_add_u32_e32 v8, v3, v8
	v_mov_b32_e32 v9, v51
	v_cmp_ne_u32_e32 vcc, 0, v13
                                        ; implicit-def: $vgpr3
	s_and_saveexec_b64 s[28:29], vcc
	s_xor_b64 s[28:29], exec, s[28:29]
; %bb.19623:                            ;   in Loop: Header=BB6_16537 Depth=3
	v_cmp_lt_u64_e32 vcc, s[88:89], v[8:9]
	v_add_u32_e32 v3, 7, v14
	v_cndmask_b32_e64 v12, 0, 1, vcc
	v_lshrrev_b64 v[8:9], v12, v[8:9]
	v_cndmask_b32_e32 v3, v13, v3, vcc
; %bb.19624:                            ;   in Loop: Header=BB6_16537 Depth=3
	s_andn2_saveexec_b64 s[28:29], s[28:29]
; %bb.19625:                            ;   in Loop: Header=BB6_16537 Depth=3
	v_bfe_u32 v3, v8, 23, 1
; %bb.19626:                            ;   in Loop: Header=BB6_16537 Depth=3
	s_or_b64 exec, exec, s[28:29]
	v_lshrrev_b64 v[8:9], 20, v[8:9]
	v_cmp_gt_i32_e32 vcc, 16, v3
	v_cndmask_b32_e32 v9, 0, v9, vcc
	v_cndmask_b32_e32 v8, 7, v8, vcc
	v_cmp_eq_u32_e32 vcc, 0, v3
	v_min_i32_e32 v3, 15, v3
	v_cmp_eq_u64_e64 s[28:29], 0, v[8:9]
	v_lshlrev_b32_e32 v3, 3, v3
	v_and_b32_e32 v3, 0xf8, v3
	v_and_or_b32 v3, v8, 7, v3
	s_and_b64 s[28:29], vcc, s[28:29]
	v_cndmask_b32_e64 v3, v3, 0, s[28:29]
	v_or_b32_e32 v3, v3, v5
.LBB6_19627:                            ;   in Loop: Header=BB6_16537 Depth=3
	s_or_b64 exec, exec, s[36:37]
                                        ; implicit-def: $vgpr5
.LBB6_19628:                            ;   in Loop: Header=BB6_16537 Depth=3
	s_andn2_saveexec_b64 s[28:29], s[34:35]
; %bb.19629:                            ;   in Loop: Header=BB6_16537 Depth=3
	v_or_b32_e32 v3, 0x7e, v5
; %bb.19630:                            ;   in Loop: Header=BB6_16537 Depth=3
	s_or_b64 exec, exec, s[28:29]
                                        ; implicit-def: $vgpr8
.LBB6_19631:                            ;   in Loop: Header=BB6_16537 Depth=3
	s_andn2_saveexec_b64 s[28:29], s[30:31]
; %bb.19632:                            ;   in Loop: Header=BB6_16537 Depth=3
	v_or_b32_sdwa v3, v8, s86 dst_sel:DWORD dst_unused:UNUSED_PAD src0_sel:BYTE_3 src1_sel:DWORD
; %bb.19633:                            ;   in Loop: Header=BB6_16537 Depth=3
	s_or_b64 exec, exec, s[28:29]
	buffer_load_dword v5, off, s[0:3], s33 offset:132 ; 4-byte Folded Reload
	v_cmp_ne_u32_e32 vcc, 0, v7
	v_mov_b32_e32 v13, 0
	v_mov_b32_e32 v12, 0
	s_waitcnt vmcnt(0)
	v_lshlrev_b32_e32 v8, 24, v5
	buffer_load_dword v5, off, s[0:3], s33 offset:116 ; 4-byte Folded Reload
	s_waitcnt vmcnt(0)
	v_lshlrev_b32_e32 v9, 16, v5
	buffer_load_dword v5, off, s[0:3], s33 offset:104 ; 4-byte Folded Reload
	s_waitcnt vmcnt(0)
	v_lshl_or_b32 v5, v5, 8, v7
	v_or3_b32 v8, v9, v8, v5
	v_mov_b32_e32 v9, v51
	s_and_saveexec_b64 s[28:29], vcc
	s_cbranch_execz .LBB6_19639
; %bb.19634:                            ;   in Loop: Header=BB6_16537 Depth=3
	v_cmp_ne_u32_e32 vcc, s96, v7
	v_bfrev_b32_e32 v12, 1
	s_and_saveexec_b64 s[30:31], vcc
	s_cbranch_execz .LBB6_19638
; %bb.19635:                            ;   in Loop: Header=BB6_16537 Depth=3
	v_and_b32_e32 v14, 0x7f, v7
	v_cmp_ne_u32_e32 vcc, s86, v14
	v_mov_b32_e32 v12, 0x7f800001
	s_and_saveexec_b64 s[34:35], vcc
	s_cbranch_execz .LBB6_19637
; %bb.19636:                            ;   in Loop: Header=BB6_16537 Depth=3
	v_and_b32_e32 v7, 7, v7
	v_ffbh_u32_e32 v7, v7
	v_min_u32_e32 v7, 32, v7
	v_lshrrev_b32_e32 v12, 3, v14
	v_cmp_gt_u32_e32 vcc, 8, v14
	v_subrev_u32_e32 v14, 28, v7
	v_sub_u32_e32 v7, 29, v7
	v_cndmask_b32_e32 v7, v12, v7, vcc
	v_cndmask_b32_e32 v12, 0, v14, vcc
	v_lshlrev_b64 v[24:25], v12, v[8:9]
	v_lshlrev_b32_e32 v12, 24, v8
	v_lshlrev_b32_e32 v9, 20, v24
	v_bfrev_b32_e32 v14, 60
	v_and_b32_e32 v9, 0x700000, v9
	v_and_b32_e32 v12, 0x80000000, v12
	v_lshl_add_u32 v7, v7, 23, v14
	v_or3_b32 v12, v12, v7, v9
.LBB6_19637:                            ;   in Loop: Header=BB6_16537 Depth=3
	s_or_b64 exec, exec, s[34:35]
.LBB6_19638:                            ;   in Loop: Header=BB6_16537 Depth=3
	s_or_b64 exec, exec, s[30:31]
.LBB6_19639:                            ;   in Loop: Header=BB6_16537 Depth=3
	s_or_b64 exec, exec, s[28:29]
	v_cmp_ne_u16_sdwa vcc, v11, v51 src0_sel:BYTE_0 src1_sel:DWORD
	s_and_saveexec_b64 s[28:29], vcc
	s_cbranch_execz .LBB6_19645
; %bb.19640:                            ;   in Loop: Header=BB6_16537 Depth=3
	v_cmp_ne_u16_sdwa vcc, v11, s96 src0_sel:BYTE_0 src1_sel:DWORD
	v_bfrev_b32_e32 v13, 1
	s_and_saveexec_b64 s[30:31], vcc
	s_cbranch_execz .LBB6_19644
; %bb.19641:                            ;   in Loop: Header=BB6_16537 Depth=3
	v_and_b32_e32 v7, 0x7f, v11
	v_cmp_ne_u32_e32 vcc, s86, v7
	v_mov_b32_e32 v13, 0x7f800001
	s_and_saveexec_b64 s[34:35], vcc
	s_cbranch_execz .LBB6_19643
; %bb.19642:                            ;   in Loop: Header=BB6_16537 Depth=3
	v_and_b32_e32 v9, 7, v11
	v_lshrrev_b32_e32 v24, 3, v7
	v_cmp_gt_u32_e32 vcc, 8, v7
	v_ffbh_u32_e32 v7, v9
	v_min_u32_e32 v7, 32, v7
	v_subrev_u32_e32 v9, 28, v7
	v_mov_b32_e32 v13, v11
	v_mov_b32_e32 v14, v51
	v_sub_u32_e32 v7, 29, v7
	v_cndmask_b32_e32 v9, 0, v9, vcc
	v_cndmask_b32_e32 v7, v24, v7, vcc
	v_lshlrev_b64 v[24:25], v9, v[13:14]
	v_lshlrev_b32_e32 v13, 24, v13
	v_lshlrev_b32_e32 v9, 20, v24
	v_bfrev_b32_e32 v14, 60
	v_and_b32_e32 v9, 0x700000, v9
	v_and_b32_e32 v13, 0x80000000, v13
	v_lshl_add_u32 v7, v7, 23, v14
	v_or3_b32 v13, v13, v7, v9
.LBB6_19643:                            ;   in Loop: Header=BB6_16537 Depth=3
	s_or_b64 exec, exec, s[34:35]
.LBB6_19644:                            ;   in Loop: Header=BB6_16537 Depth=3
	s_or_b64 exec, exec, s[30:31]
.LBB6_19645:                            ;   in Loop: Header=BB6_16537 Depth=3
	s_or_b64 exec, exec, s[28:29]
	v_add_f32_e32 v12, v12, v13
	v_and_b32_e32 v13, 0x7f800000, v12
	v_mov_b32_e32 v14, v51
	v_cmp_ne_u64_e32 vcc, s[76:77], v[13:14]
                                        ; implicit-def: $vgpr7
	s_and_saveexec_b64 s[28:29], vcc
	s_xor_b64 s[30:31], exec, s[28:29]
	s_cbranch_execz .LBB6_19659
; %bb.19646:                            ;   in Loop: Header=BB6_16537 Depth=3
	v_and_b32_e32 v13, 0x7fffffff, v12
	v_mov_b32_e32 v14, v51
	v_cmp_gt_u64_e32 vcc, s[78:79], v[13:14]
	v_and_b32_sdwa v9, v12, s96 dst_sel:DWORD dst_unused:UNUSED_PAD src0_sel:BYTE_3 src1_sel:DWORD
                                        ; implicit-def: $vgpr7
	s_and_saveexec_b64 s[28:29], vcc
	s_xor_b64 s[34:35], exec, s[28:29]
	s_cbranch_execz .LBB6_19656
; %bb.19647:                            ;   in Loop: Header=BB6_16537 Depth=3
	v_mov_b32_e32 v7, 0
	v_cmp_ne_u32_e32 vcc, 0, v12
	s_and_saveexec_b64 s[36:37], vcc
	s_cbranch_execz .LBB6_19655
; %bb.19648:                            ;   in Loop: Header=BB6_16537 Depth=3
	v_bfe_u32 v7, v12, 23, 8
	v_and_b32_e32 v13, 0x7fffff, v12
	v_cmp_gt_u32_e64 s[28:29], s97, v7
	v_sub_u32_e32 v12, 0x79, v7
	v_cmp_eq_u32_e32 vcc, 0, v7
	v_cndmask_b32_e64 v12, 0, v12, s[28:29]
	v_mov_b32_e32 v24, 0x78
	v_or_b32_e32 v14, 0x800000, v13
	v_cndmask_b32_e32 v24, v12, v24, vcc
	v_cndmask_b32_e32 v12, v14, v13, vcc
	v_add_u32_e32 v14, 20, v24
	v_lshlrev_b64 v[28:29], v14, -1
	v_mov_b32_e32 v13, v51
	v_add_u32_e32 v14, 19, v24
	v_mov_b32_e32 v1, v32
	v_mov_b32_e32 v25, v31
	v_bfi_b32 v28, v28, 0, v12
	v_lshlrev_b64 v[31:32], v14, 1
	v_lshrrev_b64 v[12:13], v24, v[12:13]
	v_bfi_b32 v29, v29, 0, 0
	v_cmp_eq_u64_e64 s[28:29], v[28:29], v[31:32]
	v_mov_b32_e32 v14, v13
	v_mov_b32_e32 v13, v12
	s_and_saveexec_b64 s[38:39], s[28:29]
; %bb.19649:                            ;   in Loop: Header=BB6_16537 Depth=3
	v_bfe_u32 v13, v12, 20, 1
	v_add_co_u32_e64 v13, s[28:29], v12, v13
	v_add_co_u32_e64 v13, s[28:29], -1, v13
; %bb.19650:                            ;   in Loop: Header=BB6_16537 Depth=3
	s_or_b64 exec, exec, s[38:39]
	v_add_u32_e32 v7, 0xffffff81, v7
	v_mov_b32_e32 v14, 0xffffff82
	v_cndmask_b32_e32 v7, v7, v14, vcc
	v_lshrrev_b32_e32 v14, 23, v12
	v_add3_u32 v24, v24, v7, v14
	v_add_u32_e32 v14, 6, v24
	v_and_b32_e32 v7, 0xfffff, v13
	v_add_u32_e32 v12, v7, v12
	v_mov_b32_e32 v13, v51
	v_cmp_ne_u32_e32 vcc, 0, v14
                                        ; implicit-def: $vgpr7
	s_and_saveexec_b64 s[28:29], vcc
	s_xor_b64 s[28:29], exec, s[28:29]
; %bb.19651:                            ;   in Loop: Header=BB6_16537 Depth=3
	v_cmp_lt_u64_e32 vcc, s[88:89], v[12:13]
	v_add_u32_e32 v7, 7, v24
	v_cndmask_b32_e32 v7, v14, v7, vcc
	v_cndmask_b32_e64 v14, 0, 1, vcc
	v_lshrrev_b64 v[12:13], v14, v[12:13]
; %bb.19652:                            ;   in Loop: Header=BB6_16537 Depth=3
	s_or_saveexec_b64 s[28:29], s[28:29]
	v_mov_b32_e32 v31, v25
	v_mov_b32_e32 v32, v1
	s_xor_b64 exec, exec, s[28:29]
; %bb.19653:                            ;   in Loop: Header=BB6_16537 Depth=3
	v_bfe_u32 v7, v12, 23, 1
; %bb.19654:                            ;   in Loop: Header=BB6_16537 Depth=3
	s_or_b64 exec, exec, s[28:29]
	v_lshrrev_b64 v[12:13], 20, v[12:13]
	v_cmp_gt_i32_e32 vcc, 16, v7
	v_cndmask_b32_e32 v13, 0, v13, vcc
	v_cndmask_b32_e32 v12, 7, v12, vcc
	v_cmp_eq_u32_e32 vcc, 0, v7
	v_min_i32_e32 v7, 15, v7
	v_cmp_eq_u64_e64 s[28:29], 0, v[12:13]
	v_lshlrev_b32_e32 v7, 3, v7
	v_and_b32_e32 v7, 0xf8, v7
	v_and_or_b32 v7, v12, 7, v7
	s_and_b64 s[28:29], vcc, s[28:29]
	v_cndmask_b32_e64 v7, v7, 0, s[28:29]
	v_or_b32_e32 v7, v7, v9
.LBB6_19655:                            ;   in Loop: Header=BB6_16537 Depth=3
	s_or_b64 exec, exec, s[36:37]
                                        ; implicit-def: $vgpr9
.LBB6_19656:                            ;   in Loop: Header=BB6_16537 Depth=3
	s_andn2_saveexec_b64 s[28:29], s[34:35]
; %bb.19657:                            ;   in Loop: Header=BB6_16537 Depth=3
	v_or_b32_e32 v7, 0x7e, v9
; %bb.19658:                            ;   in Loop: Header=BB6_16537 Depth=3
	s_or_b64 exec, exec, s[28:29]
                                        ; implicit-def: $vgpr12
.LBB6_19659:                            ;   in Loop: Header=BB6_16537 Depth=3
	s_andn2_saveexec_b64 s[28:29], s[30:31]
; %bb.19660:                            ;   in Loop: Header=BB6_16537 Depth=3
	v_or_b32_sdwa v7, v12, s86 dst_sel:DWORD dst_unused:UNUSED_PAD src0_sel:BYTE_3 src1_sel:DWORD
; %bb.19661:                            ;   in Loop: Header=BB6_16537 Depth=3
	s_or_b64 exec, exec, s[28:29]
	v_lshrrev_b16_e32 v9, 8, v5
	v_cmp_ne_u16_e32 vcc, 0, v9
	v_mov_b32_e32 v12, 0
	v_mov_b32_e32 v13, 0
	s_and_saveexec_b64 s[28:29], vcc
	s_cbranch_execz .LBB6_19667
; %bb.19662:                            ;   in Loop: Header=BB6_16537 Depth=3
	v_cmp_ne_u16_e32 vcc, s96, v9
	v_bfrev_b32_e32 v13, 1
	s_and_saveexec_b64 s[30:31], vcc
	s_cbranch_execz .LBB6_19666
; %bb.19663:                            ;   in Loop: Header=BB6_16537 Depth=3
	v_and_b32_e32 v14, 0x7f, v9
	v_cmp_ne_u32_e32 vcc, s86, v14
	v_mov_b32_e32 v13, 0x7f800001
	s_and_saveexec_b64 s[34:35], vcc
	s_cbranch_execz .LBB6_19665
; %bb.19664:                            ;   in Loop: Header=BB6_16537 Depth=3
	v_and_b32_e32 v24, 7, v9
	v_ffbh_u32_e32 v13, v24
	v_min_u32_e32 v28, 32, v13
	v_subrev_u32_e32 v13, 28, v28
	v_lshrrev_b32_e32 v25, 3, v14
	v_cmp_gt_u32_e32 vcc, 8, v14
	v_lshlrev_b64 v[13:14], v13, v[9:10]
	v_sub_u32_e32 v9, 29, v28
	v_and_b32_e32 v13, 7, v13
	v_cndmask_b32_e32 v9, v25, v9, vcc
	v_cndmask_b32_e32 v13, v24, v13, vcc
	v_lshlrev_b32_e32 v5, 16, v5
	v_bfrev_b32_e32 v14, 60
	v_lshlrev_b32_e32 v13, 20, v13
	v_and_b32_e32 v5, 0x80000000, v5
	v_lshl_add_u32 v9, v9, 23, v14
	v_or3_b32 v13, v5, v9, v13
.LBB6_19665:                            ;   in Loop: Header=BB6_16537 Depth=3
	s_or_b64 exec, exec, s[34:35]
.LBB6_19666:                            ;   in Loop: Header=BB6_16537 Depth=3
	s_or_b64 exec, exec, s[30:31]
.LBB6_19667:                            ;   in Loop: Header=BB6_16537 Depth=3
	s_or_b64 exec, exec, s[28:29]
	v_lshrrev_b16_e32 v9, 8, v11
	v_cmp_ne_u16_e32 vcc, 0, v9
	s_and_saveexec_b64 s[28:29], vcc
	s_cbranch_execz .LBB6_19673
; %bb.19668:                            ;   in Loop: Header=BB6_16537 Depth=3
	v_cmp_ne_u16_e32 vcc, s96, v9
	v_bfrev_b32_e32 v12, 1
	s_and_saveexec_b64 s[30:31], vcc
	s_cbranch_execz .LBB6_19672
; %bb.19669:                            ;   in Loop: Header=BB6_16537 Depth=3
	v_and_b32_e32 v5, 0x7f, v9
	v_cmp_ne_u32_e32 vcc, s86, v5
	v_mov_b32_e32 v12, 0x7f800001
	s_and_saveexec_b64 s[34:35], vcc
	s_cbranch_execz .LBB6_19671
; %bb.19670:                            ;   in Loop: Header=BB6_16537 Depth=3
	v_and_b32_e32 v12, 7, v9
	v_lshrrev_b32_e32 v14, 3, v5
	v_cmp_gt_u32_e32 vcc, 8, v5
	v_ffbh_u32_e32 v5, v12
	v_min_u32_e32 v5, 32, v5
	v_subrev_u32_e32 v24, 28, v5
	v_lshlrev_b64 v[24:25], v24, v[9:10]
	v_sub_u32_e32 v5, 29, v5
	v_and_b32_e32 v9, 7, v24
	v_cndmask_b32_e32 v5, v14, v5, vcc
	v_cndmask_b32_e32 v9, v12, v9, vcc
	v_lshlrev_b32_e32 v12, 16, v11
	v_bfrev_b32_e32 v14, 60
	v_lshlrev_b32_e32 v9, 20, v9
	v_and_b32_e32 v12, 0x80000000, v12
	v_lshl_add_u32 v5, v5, 23, v14
	v_or3_b32 v12, v12, v5, v9
.LBB6_19671:                            ;   in Loop: Header=BB6_16537 Depth=3
	s_or_b64 exec, exec, s[34:35]
.LBB6_19672:                            ;   in Loop: Header=BB6_16537 Depth=3
	s_or_b64 exec, exec, s[30:31]
.LBB6_19673:                            ;   in Loop: Header=BB6_16537 Depth=3
	s_or_b64 exec, exec, s[28:29]
	v_add_f32_e32 v12, v13, v12
	v_and_b32_e32 v13, 0x7f800000, v12
	v_mov_b32_e32 v14, v51
	v_cmp_ne_u64_e32 vcc, s[76:77], v[13:14]
                                        ; implicit-def: $vgpr5
	s_and_saveexec_b64 s[28:29], vcc
	s_xor_b64 s[30:31], exec, s[28:29]
	s_cbranch_execz .LBB6_19687
; %bb.19674:                            ;   in Loop: Header=BB6_16537 Depth=3
	v_and_b32_e32 v13, 0x7fffffff, v12
	v_mov_b32_e32 v14, v51
	v_cmp_gt_u64_e32 vcc, s[78:79], v[13:14]
	v_and_b32_sdwa v9, v12, s96 dst_sel:DWORD dst_unused:UNUSED_PAD src0_sel:BYTE_3 src1_sel:DWORD
                                        ; implicit-def: $vgpr5
	s_and_saveexec_b64 s[28:29], vcc
	s_xor_b64 s[34:35], exec, s[28:29]
	s_cbranch_execz .LBB6_19684
; %bb.19675:                            ;   in Loop: Header=BB6_16537 Depth=3
	v_mov_b32_e32 v5, 0
	v_cmp_ne_u32_e32 vcc, 0, v12
	s_and_saveexec_b64 s[36:37], vcc
	s_cbranch_execz .LBB6_19683
; %bb.19676:                            ;   in Loop: Header=BB6_16537 Depth=3
	v_bfe_u32 v5, v12, 23, 8
	v_and_b32_e32 v13, 0x7fffff, v12
	v_cmp_gt_u32_e64 s[28:29], s97, v5
	v_sub_u32_e32 v12, 0x79, v5
	v_cmp_eq_u32_e32 vcc, 0, v5
	v_cndmask_b32_e64 v12, 0, v12, s[28:29]
	v_mov_b32_e32 v24, 0x78
	v_or_b32_e32 v14, 0x800000, v13
	v_cndmask_b32_e32 v24, v12, v24, vcc
	v_cndmask_b32_e32 v12, v14, v13, vcc
	v_add_u32_e32 v14, 20, v24
	v_lshlrev_b64 v[28:29], v14, -1
	v_mov_b32_e32 v13, v51
	v_add_u32_e32 v14, 19, v24
	v_mov_b32_e32 v1, v32
	v_mov_b32_e32 v25, v31
	v_bfi_b32 v28, v28, 0, v12
	v_lshlrev_b64 v[31:32], v14, 1
	v_lshrrev_b64 v[12:13], v24, v[12:13]
	v_bfi_b32 v29, v29, 0, 0
	v_cmp_eq_u64_e64 s[28:29], v[28:29], v[31:32]
	v_mov_b32_e32 v14, v13
	v_mov_b32_e32 v13, v12
	s_and_saveexec_b64 s[38:39], s[28:29]
; %bb.19677:                            ;   in Loop: Header=BB6_16537 Depth=3
	v_bfe_u32 v13, v12, 20, 1
	v_add_co_u32_e64 v13, s[28:29], v12, v13
	v_add_co_u32_e64 v13, s[28:29], -1, v13
; %bb.19678:                            ;   in Loop: Header=BB6_16537 Depth=3
	s_or_b64 exec, exec, s[38:39]
	v_add_u32_e32 v5, 0xffffff81, v5
	v_mov_b32_e32 v14, 0xffffff82
	v_cndmask_b32_e32 v5, v5, v14, vcc
	v_lshrrev_b32_e32 v14, 23, v12
	v_add3_u32 v24, v24, v5, v14
	v_add_u32_e32 v14, 6, v24
	v_and_b32_e32 v5, 0xfffff, v13
	v_add_u32_e32 v12, v5, v12
	v_mov_b32_e32 v13, v51
	v_cmp_ne_u32_e32 vcc, 0, v14
                                        ; implicit-def: $vgpr5
	s_and_saveexec_b64 s[28:29], vcc
	s_xor_b64 s[28:29], exec, s[28:29]
; %bb.19679:                            ;   in Loop: Header=BB6_16537 Depth=3
	v_cmp_lt_u64_e32 vcc, s[88:89], v[12:13]
	v_add_u32_e32 v5, 7, v24
	v_cndmask_b32_e32 v5, v14, v5, vcc
	v_cndmask_b32_e64 v14, 0, 1, vcc
	v_lshrrev_b64 v[12:13], v14, v[12:13]
; %bb.19680:                            ;   in Loop: Header=BB6_16537 Depth=3
	s_or_saveexec_b64 s[28:29], s[28:29]
	v_mov_b32_e32 v31, v25
	v_mov_b32_e32 v32, v1
	s_xor_b64 exec, exec, s[28:29]
; %bb.19681:                            ;   in Loop: Header=BB6_16537 Depth=3
	v_bfe_u32 v5, v12, 23, 1
; %bb.19682:                            ;   in Loop: Header=BB6_16537 Depth=3
	s_or_b64 exec, exec, s[28:29]
	v_lshrrev_b64 v[12:13], 20, v[12:13]
	v_cmp_gt_i32_e32 vcc, 16, v5
	v_cndmask_b32_e32 v13, 0, v13, vcc
	v_cndmask_b32_e32 v12, 7, v12, vcc
	v_cmp_eq_u32_e32 vcc, 0, v5
	v_min_i32_e32 v5, 15, v5
	v_cmp_eq_u64_e64 s[28:29], 0, v[12:13]
	v_lshlrev_b32_e32 v5, 3, v5
	v_and_b32_e32 v5, 0xf8, v5
	v_and_or_b32 v5, v12, 7, v5
	s_and_b64 s[28:29], vcc, s[28:29]
	v_cndmask_b32_e64 v5, v5, 0, s[28:29]
	v_or_b32_e32 v5, v5, v9
.LBB6_19683:                            ;   in Loop: Header=BB6_16537 Depth=3
	s_or_b64 exec, exec, s[36:37]
                                        ; implicit-def: $vgpr9
.LBB6_19684:                            ;   in Loop: Header=BB6_16537 Depth=3
	s_andn2_saveexec_b64 s[28:29], s[34:35]
; %bb.19685:                            ;   in Loop: Header=BB6_16537 Depth=3
	v_or_b32_e32 v5, 0x7e, v9
; %bb.19686:                            ;   in Loop: Header=BB6_16537 Depth=3
	s_or_b64 exec, exec, s[28:29]
                                        ; implicit-def: $vgpr12
.LBB6_19687:                            ;   in Loop: Header=BB6_16537 Depth=3
	s_andn2_saveexec_b64 s[28:29], s[30:31]
; %bb.19688:                            ;   in Loop: Header=BB6_16537 Depth=3
	v_or_b32_sdwa v5, v12, s86 dst_sel:DWORD dst_unused:UNUSED_PAD src0_sel:BYTE_3 src1_sel:DWORD
; %bb.19689:                            ;   in Loop: Header=BB6_16537 Depth=3
	s_or_b64 exec, exec, s[28:29]
	v_lshrrev_b32_e32 v9, 16, v8
	v_cmp_ne_u16_sdwa vcc, v9, v51 src0_sel:BYTE_0 src1_sel:DWORD
	v_mov_b32_e32 v12, 0
	v_mov_b32_e32 v13, 0
	s_and_saveexec_b64 s[28:29], vcc
	s_cbranch_execz .LBB6_19695
; %bb.19690:                            ;   in Loop: Header=BB6_16537 Depth=3
	v_cmp_ne_u16_sdwa vcc, v9, s96 src0_sel:BYTE_0 src1_sel:DWORD
	v_bfrev_b32_e32 v13, 1
	s_and_saveexec_b64 s[30:31], vcc
	s_cbranch_execz .LBB6_19694
; %bb.19691:                            ;   in Loop: Header=BB6_16537 Depth=3
	v_bfe_u32 v14, v8, 16, 7
	v_cmp_ne_u32_e32 vcc, s86, v14
	v_mov_b32_e32 v13, 0x7f800001
	s_and_saveexec_b64 s[34:35], vcc
	s_cbranch_execz .LBB6_19693
; %bb.19692:                            ;   in Loop: Header=BB6_16537 Depth=3
	v_and_b32_e32 v24, 7, v9
	v_ffbh_u32_e32 v13, v24
	v_min_u32_e32 v28, 32, v13
	v_subrev_u32_e32 v13, 28, v28
	v_lshrrev_b32_e32 v25, 3, v14
	v_cmp_gt_u32_e32 vcc, 8, v14
	v_lshlrev_b64 v[13:14], v13, v[9:10]
	v_sub_u32_e32 v14, 29, v28
	v_and_b32_e32 v13, 7, v13
	v_cndmask_b32_e32 v14, v25, v14, vcc
	v_cndmask_b32_e32 v13, v24, v13, vcc
	v_lshlrev_b32_e32 v9, 24, v9
	v_bfrev_b32_e32 v24, 60
	v_lshlrev_b32_e32 v13, 20, v13
	v_and_b32_e32 v9, 0x80000000, v9
	v_lshl_add_u32 v14, v14, 23, v24
	v_or3_b32 v13, v9, v14, v13
.LBB6_19693:                            ;   in Loop: Header=BB6_16537 Depth=3
	s_or_b64 exec, exec, s[34:35]
.LBB6_19694:                            ;   in Loop: Header=BB6_16537 Depth=3
	s_or_b64 exec, exec, s[30:31]
.LBB6_19695:                            ;   in Loop: Header=BB6_16537 Depth=3
	s_or_b64 exec, exec, s[28:29]
	v_lshrrev_b32_e32 v9, 16, v11
	v_cmp_ne_u16_sdwa vcc, v9, v51 src0_sel:BYTE_0 src1_sel:DWORD
	s_and_saveexec_b64 s[28:29], vcc
	s_cbranch_execz .LBB6_19701
; %bb.19696:                            ;   in Loop: Header=BB6_16537 Depth=3
	v_cmp_ne_u16_sdwa vcc, v9, s96 src0_sel:BYTE_0 src1_sel:DWORD
	v_bfrev_b32_e32 v12, 1
	s_and_saveexec_b64 s[30:31], vcc
	s_cbranch_execz .LBB6_19700
; %bb.19697:                            ;   in Loop: Header=BB6_16537 Depth=3
	v_bfe_u32 v14, v11, 16, 7
	v_cmp_ne_u32_e32 vcc, s86, v14
	v_mov_b32_e32 v12, 0x7f800001
	s_and_saveexec_b64 s[34:35], vcc
	s_cbranch_execz .LBB6_19699
; %bb.19698:                            ;   in Loop: Header=BB6_16537 Depth=3
	v_and_b32_e32 v12, 7, v9
	v_lshrrev_b32_e32 v28, 3, v14
	v_cmp_gt_u32_e32 vcc, 8, v14
	v_ffbh_u32_e32 v14, v12
	v_min_u32_e32 v14, 32, v14
	v_subrev_u32_e32 v24, 28, v14
	v_lshlrev_b64 v[24:25], v24, v[9:10]
	v_sub_u32_e32 v9, 29, v14
	v_and_b32_e32 v14, 7, v24
	v_cndmask_b32_e32 v9, v28, v9, vcc
	v_cndmask_b32_e32 v12, v12, v14, vcc
	v_lshlrev_b32_e32 v14, 8, v11
	v_bfrev_b32_e32 v24, 60
	v_lshlrev_b32_e32 v12, 20, v12
	v_and_b32_e32 v14, 0x80000000, v14
	v_lshl_add_u32 v9, v9, 23, v24
	v_or3_b32 v12, v14, v9, v12
.LBB6_19699:                            ;   in Loop: Header=BB6_16537 Depth=3
	s_or_b64 exec, exec, s[34:35]
.LBB6_19700:                            ;   in Loop: Header=BB6_16537 Depth=3
	s_or_b64 exec, exec, s[30:31]
.LBB6_19701:                            ;   in Loop: Header=BB6_16537 Depth=3
	s_or_b64 exec, exec, s[28:29]
	v_add_f32_e32 v13, v13, v12
	v_and_b32_e32 v24, 0x7f800000, v13
	v_mov_b32_e32 v25, v51
	v_cmp_ne_u64_e32 vcc, s[76:77], v[24:25]
                                        ; implicit-def: $vgpr12
	s_and_saveexec_b64 s[28:29], vcc
	s_xor_b64 s[30:31], exec, s[28:29]
	s_cbranch_execz .LBB6_19715
; %bb.19702:                            ;   in Loop: Header=BB6_16537 Depth=3
	v_and_b32_e32 v24, 0x7fffffff, v13
	v_mov_b32_e32 v25, v51
	v_cmp_gt_u64_e32 vcc, s[78:79], v[24:25]
	v_and_b32_sdwa v9, v13, s96 dst_sel:DWORD dst_unused:UNUSED_PAD src0_sel:BYTE_3 src1_sel:DWORD
                                        ; implicit-def: $vgpr12
	s_and_saveexec_b64 s[28:29], vcc
	s_xor_b64 s[34:35], exec, s[28:29]
	s_cbranch_execz .LBB6_19712
; %bb.19703:                            ;   in Loop: Header=BB6_16537 Depth=3
	v_mov_b32_e32 v12, 0
	v_cmp_ne_u32_e32 vcc, 0, v13
	s_and_saveexec_b64 s[36:37], vcc
	s_cbranch_execz .LBB6_19711
; %bb.19704:                            ;   in Loop: Header=BB6_16537 Depth=3
	v_bfe_u32 v24, v13, 23, 8
	v_and_b32_e32 v12, 0x7fffff, v13
	v_cmp_gt_u32_e64 s[28:29], s97, v24
	v_sub_u32_e32 v13, 0x79, v24
	v_cmp_eq_u32_e32 vcc, 0, v24
	v_cndmask_b32_e64 v13, 0, v13, s[28:29]
	v_mov_b32_e32 v25, 0x78
	v_or_b32_e32 v14, 0x800000, v12
	v_cndmask_b32_e32 v25, v13, v25, vcc
	v_cndmask_b32_e32 v12, v14, v12, vcc
	v_add_u32_e32 v14, 20, v25
	v_lshlrev_b64 v[28:29], v14, -1
	v_mov_b32_e32 v13, v51
	v_add_u32_e32 v14, 19, v25
	v_mov_b32_e32 v23, v32
	v_mov_b32_e32 v1, v31
	v_bfi_b32 v28, v28, 0, v12
	v_lshlrev_b64 v[31:32], v14, 1
	v_lshrrev_b64 v[12:13], v25, v[12:13]
	v_bfi_b32 v29, v29, 0, 0
	v_cmp_eq_u64_e64 s[28:29], v[28:29], v[31:32]
	v_mov_b32_e32 v14, v13
	v_mov_b32_e32 v13, v12
	s_and_saveexec_b64 s[38:39], s[28:29]
; %bb.19705:                            ;   in Loop: Header=BB6_16537 Depth=3
	v_bfe_u32 v13, v12, 20, 1
	v_add_co_u32_e64 v13, s[28:29], v12, v13
	v_add_co_u32_e64 v13, s[28:29], -1, v13
; %bb.19706:                            ;   in Loop: Header=BB6_16537 Depth=3
	s_or_b64 exec, exec, s[38:39]
	v_add_u32_e32 v14, 0xffffff81, v24
	v_mov_b32_e32 v24, 0xffffff82
	v_cndmask_b32_e32 v14, v14, v24, vcc
	v_lshrrev_b32_e32 v24, 23, v12
	v_add3_u32 v25, v25, v14, v24
	v_add_u32_e32 v24, 6, v25
	v_and_b32_e32 v13, 0xfffff, v13
	v_add_u32_e32 v12, v13, v12
	v_mov_b32_e32 v13, v51
	v_cmp_ne_u32_e32 vcc, 0, v24
                                        ; implicit-def: $vgpr14
	s_and_saveexec_b64 s[28:29], vcc
	s_xor_b64 s[28:29], exec, s[28:29]
; %bb.19707:                            ;   in Loop: Header=BB6_16537 Depth=3
	v_cmp_lt_u64_e32 vcc, s[88:89], v[12:13]
	v_add_u32_e32 v14, 7, v25
	v_cndmask_b32_e32 v14, v24, v14, vcc
	v_cndmask_b32_e64 v24, 0, 1, vcc
	v_lshrrev_b64 v[12:13], v24, v[12:13]
; %bb.19708:                            ;   in Loop: Header=BB6_16537 Depth=3
	s_or_saveexec_b64 s[28:29], s[28:29]
	v_mov_b32_e32 v31, v1
	v_mov_b32_e32 v32, v23
	s_xor_b64 exec, exec, s[28:29]
; %bb.19709:                            ;   in Loop: Header=BB6_16537 Depth=3
	v_bfe_u32 v14, v12, 23, 1
; %bb.19710:                            ;   in Loop: Header=BB6_16537 Depth=3
	s_or_b64 exec, exec, s[28:29]
	v_lshrrev_b64 v[12:13], 20, v[12:13]
	v_cmp_gt_i32_e32 vcc, 16, v14
	v_cndmask_b32_e32 v13, 0, v13, vcc
	v_cndmask_b32_e32 v12, 7, v12, vcc
	v_cmp_eq_u64_e64 s[28:29], 0, v[12:13]
	v_min_i32_e32 v13, 15, v14
	v_lshlrev_b32_e32 v13, 3, v13
	v_cmp_eq_u32_e32 vcc, 0, v14
	v_and_b32_e32 v13, 0xf8, v13
	v_and_or_b32 v12, v12, 7, v13
	s_and_b64 s[28:29], vcc, s[28:29]
	v_cndmask_b32_e64 v12, v12, 0, s[28:29]
	v_or_b32_e32 v12, v12, v9
.LBB6_19711:                            ;   in Loop: Header=BB6_16537 Depth=3
	s_or_b64 exec, exec, s[36:37]
                                        ; implicit-def: $vgpr9
.LBB6_19712:                            ;   in Loop: Header=BB6_16537 Depth=3
	s_andn2_saveexec_b64 s[28:29], s[34:35]
; %bb.19713:                            ;   in Loop: Header=BB6_16537 Depth=3
	v_or_b32_e32 v12, 0x7e, v9
; %bb.19714:                            ;   in Loop: Header=BB6_16537 Depth=3
	s_or_b64 exec, exec, s[28:29]
                                        ; implicit-def: $vgpr13
.LBB6_19715:                            ;   in Loop: Header=BB6_16537 Depth=3
	s_andn2_saveexec_b64 s[28:29], s[30:31]
; %bb.19716:                            ;   in Loop: Header=BB6_16537 Depth=3
	v_or_b32_sdwa v12, v13, s86 dst_sel:DWORD dst_unused:UNUSED_PAD src0_sel:BYTE_3 src1_sel:DWORD
; %bb.19717:                            ;   in Loop: Header=BB6_16537 Depth=3
	s_or_b64 exec, exec, s[28:29]
	v_cmp_lt_u32_e32 vcc, s57, v8
	v_mov_b32_e32 v13, 0
	v_mov_b32_e32 v14, 0
	s_and_saveexec_b64 s[28:29], vcc
	s_cbranch_execz .LBB6_19723
; %bb.19718:                            ;   in Loop: Header=BB6_16537 Depth=3
	v_lshrrev_b32_e32 v9, 24, v8
	v_cmp_ne_u32_sdwa vcc, v8, s96 src0_sel:BYTE_3 src1_sel:DWORD
	v_bfrev_b32_e32 v14, 1
	s_and_saveexec_b64 s[30:31], vcc
	s_cbranch_execz .LBB6_19722
; %bb.19719:                            ;   in Loop: Header=BB6_16537 Depth=3
	v_bfe_u32 v24, v8, 24, 7
	v_cmp_ne_u32_e32 vcc, s86, v24
	v_mov_b32_e32 v14, 0x7f800001
	s_and_saveexec_b64 s[34:35], vcc
	s_cbranch_execz .LBB6_19721
; %bb.19720:                            ;   in Loop: Header=BB6_16537 Depth=3
	v_and_b32_e32 v14, 7, v9
	v_lshrrev_b32_e32 v28, 3, v24
	v_cmp_gt_u32_e32 vcc, 8, v24
	v_ffbh_u32_e32 v24, v14
	v_min_u32_e32 v29, 32, v24
	v_subrev_u32_e32 v24, 28, v29
	v_lshlrev_b64 v[24:25], v24, v[9:10]
	v_sub_u32_e32 v9, 29, v29
	v_and_b32_e32 v24, 7, v24
	v_cndmask_b32_e32 v14, v14, v24, vcc
	v_mov_b32_e32 v24, 24
	v_cndmask_b32_e32 v9, v28, v9, vcc
	v_lshlrev_b32_sdwa v8, v24, v8 dst_sel:DWORD dst_unused:UNUSED_PAD src0_sel:DWORD src1_sel:BYTE_3
	v_bfrev_b32_e32 v24, 60
	v_lshlrev_b32_e32 v14, 20, v14
	v_and_b32_e32 v8, 0x80000000, v8
	v_lshl_add_u32 v9, v9, 23, v24
	v_or3_b32 v14, v8, v9, v14
.LBB6_19721:                            ;   in Loop: Header=BB6_16537 Depth=3
	s_or_b64 exec, exec, s[34:35]
.LBB6_19722:                            ;   in Loop: Header=BB6_16537 Depth=3
	s_or_b64 exec, exec, s[30:31]
.LBB6_19723:                            ;   in Loop: Header=BB6_16537 Depth=3
	s_or_b64 exec, exec, s[28:29]
	v_cmp_lt_u64_e32 vcc, s[56:57], v[10:11]
	s_and_saveexec_b64 s[28:29], vcc
	s_cbranch_execz .LBB6_19729
; %bb.19724:                            ;   in Loop: Header=BB6_16537 Depth=3
	v_lshrrev_b32_e32 v8, 24, v11
	v_cmp_ne_u32_e32 vcc, s96, v8
	v_bfrev_b32_e32 v13, 1
	s_and_saveexec_b64 s[30:31], vcc
	s_cbranch_execz .LBB6_19728
; %bb.19725:                            ;   in Loop: Header=BB6_16537 Depth=3
	v_bfe_u32 v9, v11, 24, 7
	v_cmp_ne_u32_e32 vcc, s86, v9
	v_mov_b32_e32 v13, 0x7f800001
	s_and_saveexec_b64 s[34:35], vcc
	s_cbranch_execz .LBB6_19727
; %bb.19726:                            ;   in Loop: Header=BB6_16537 Depth=3
	v_and_b32_e32 v11, 7, v8
	v_lshrrev_b32_e32 v13, 3, v9
	v_cmp_gt_u32_e32 vcc, 8, v9
	v_ffbh_u32_e32 v9, v11
	v_min_u32_e32 v24, 32, v9
	v_subrev_u32_e32 v9, 28, v24
	v_lshlrev_b64 v[9:10], v9, v[8:9]
	v_sub_u32_e32 v10, 29, v24
	v_and_b32_e32 v9, 7, v9
	v_cndmask_b32_e32 v10, v13, v10, vcc
	v_cndmask_b32_e32 v9, v11, v9, vcc
	v_lshlrev_b32_e32 v8, 24, v8
	v_bfrev_b32_e32 v11, 60
	v_lshlrev_b32_e32 v9, 20, v9
	v_and_b32_e32 v8, 0x80000000, v8
	v_lshl_add_u32 v10, v10, 23, v11
	v_or3_b32 v13, v8, v10, v9
.LBB6_19727:                            ;   in Loop: Header=BB6_16537 Depth=3
	s_or_b64 exec, exec, s[34:35]
.LBB6_19728:                            ;   in Loop: Header=BB6_16537 Depth=3
	s_or_b64 exec, exec, s[30:31]
.LBB6_19729:                            ;   in Loop: Header=BB6_16537 Depth=3
	s_or_b64 exec, exec, s[28:29]
	v_add_f32_e32 v9, v14, v13
	v_and_b32_e32 v10, 0x7f800000, v9
	v_mov_b32_e32 v11, v51
	v_cmp_ne_u64_e32 vcc, s[76:77], v[10:11]
                                        ; implicit-def: $vgpr8
	s_and_saveexec_b64 s[28:29], vcc
	s_xor_b64 s[30:31], exec, s[28:29]
	s_cbranch_execz .LBB6_19743
; %bb.19730:                            ;   in Loop: Header=BB6_16537 Depth=3
	v_and_b32_e32 v10, 0x7fffffff, v9
	v_mov_b32_e32 v11, v51
	v_cmp_gt_u64_e32 vcc, s[78:79], v[10:11]
	v_and_b32_sdwa v11, v9, s96 dst_sel:DWORD dst_unused:UNUSED_PAD src0_sel:BYTE_3 src1_sel:DWORD
                                        ; implicit-def: $vgpr8
	s_and_saveexec_b64 s[28:29], vcc
	s_xor_b64 s[34:35], exec, s[28:29]
	s_cbranch_execz .LBB6_19740
; %bb.19731:                            ;   in Loop: Header=BB6_16537 Depth=3
	v_mov_b32_e32 v8, 0
	v_cmp_ne_u32_e32 vcc, 0, v9
	s_and_saveexec_b64 s[36:37], vcc
	s_cbranch_execz .LBB6_19739
; %bb.19732:                            ;   in Loop: Header=BB6_16537 Depth=3
	v_bfe_u32 v13, v9, 23, 8
	v_and_b32_e32 v8, 0x7fffff, v9
	v_cmp_gt_u32_e64 s[28:29], s97, v13
	v_sub_u32_e32 v9, 0x79, v13
	v_cmp_eq_u32_e32 vcc, 0, v13
	v_cndmask_b32_e64 v9, 0, v9, s[28:29]
	v_mov_b32_e32 v14, 0x78
	v_or_b32_e32 v10, 0x800000, v8
	v_cndmask_b32_e32 v14, v9, v14, vcc
	v_cndmask_b32_e32 v8, v10, v8, vcc
	v_add_u32_e32 v10, 20, v14
	v_lshlrev_b64 v[24:25], v10, -1
	v_mov_b32_e32 v9, v51
	v_add_u32_e32 v10, 19, v14
	v_bfi_b32 v24, v24, 0, v8
	v_lshlrev_b64 v[28:29], v10, 1
	v_lshrrev_b64 v[8:9], v14, v[8:9]
	v_bfi_b32 v25, v25, 0, 0
	v_cmp_eq_u64_e64 s[28:29], v[24:25], v[28:29]
	v_mov_b32_e32 v10, v9
	v_mov_b32_e32 v9, v8
	s_and_saveexec_b64 s[38:39], s[28:29]
; %bb.19733:                            ;   in Loop: Header=BB6_16537 Depth=3
	v_bfe_u32 v9, v8, 20, 1
	v_add_co_u32_e64 v9, s[28:29], v8, v9
	v_add_co_u32_e64 v9, s[28:29], -1, v9
; %bb.19734:                            ;   in Loop: Header=BB6_16537 Depth=3
	s_or_b64 exec, exec, s[38:39]
	v_add_u32_e32 v10, 0xffffff81, v13
	v_mov_b32_e32 v13, 0xffffff82
	v_cndmask_b32_e32 v10, v10, v13, vcc
	v_lshrrev_b32_e32 v13, 23, v8
	v_add3_u32 v14, v14, v10, v13
	v_add_u32_e32 v13, 6, v14
	v_and_b32_e32 v9, 0xfffff, v9
	v_add_u32_e32 v8, v9, v8
	v_mov_b32_e32 v9, v51
	v_cmp_ne_u32_e32 vcc, 0, v13
                                        ; implicit-def: $vgpr10
	s_and_saveexec_b64 s[28:29], vcc
	s_xor_b64 s[28:29], exec, s[28:29]
; %bb.19735:                            ;   in Loop: Header=BB6_16537 Depth=3
	v_cmp_lt_u64_e32 vcc, s[88:89], v[8:9]
	v_add_u32_e32 v10, 7, v14
	v_cndmask_b32_e32 v10, v13, v10, vcc
	v_cndmask_b32_e64 v13, 0, 1, vcc
	v_lshrrev_b64 v[8:9], v13, v[8:9]
; %bb.19736:                            ;   in Loop: Header=BB6_16537 Depth=3
	s_andn2_saveexec_b64 s[28:29], s[28:29]
; %bb.19737:                            ;   in Loop: Header=BB6_16537 Depth=3
	v_bfe_u32 v10, v8, 23, 1
; %bb.19738:                            ;   in Loop: Header=BB6_16537 Depth=3
	s_or_b64 exec, exec, s[28:29]
	v_lshrrev_b64 v[8:9], 20, v[8:9]
	v_cmp_gt_i32_e32 vcc, 16, v10
	v_cndmask_b32_e32 v9, 0, v9, vcc
	v_cndmask_b32_e32 v8, 7, v8, vcc
	v_cmp_eq_u64_e64 s[28:29], 0, v[8:9]
	v_min_i32_e32 v9, 15, v10
	v_lshlrev_b32_e32 v9, 3, v9
	v_cmp_eq_u32_e32 vcc, 0, v10
	v_and_b32_e32 v9, 0xf8, v9
	v_and_or_b32 v8, v8, 7, v9
	s_and_b64 s[28:29], vcc, s[28:29]
	v_cndmask_b32_e64 v8, v8, 0, s[28:29]
	v_or_b32_e32 v8, v8, v11
.LBB6_19739:                            ;   in Loop: Header=BB6_16537 Depth=3
	s_or_b64 exec, exec, s[36:37]
                                        ; implicit-def: $vgpr11
.LBB6_19740:                            ;   in Loop: Header=BB6_16537 Depth=3
	s_andn2_saveexec_b64 s[28:29], s[34:35]
; %bb.19741:                            ;   in Loop: Header=BB6_16537 Depth=3
	v_or_b32_e32 v8, 0x7e, v11
; %bb.19742:                            ;   in Loop: Header=BB6_16537 Depth=3
	s_or_b64 exec, exec, s[28:29]
                                        ; implicit-def: $vgpr9
.LBB6_19743:                            ;   in Loop: Header=BB6_16537 Depth=3
	s_andn2_saveexec_b64 s[28:29], s[30:31]
	s_cbranch_execz .LBB6_16536
; %bb.19744:                            ;   in Loop: Header=BB6_16537 Depth=3
	v_or_b32_sdwa v8, v9, s86 dst_sel:DWORD dst_unused:UNUSED_PAD src0_sel:BYTE_3 src1_sel:DWORD
	s_branch .LBB6_16536
.LBB6_19745:                            ;   in Loop: Header=BB6_10483 Depth=2
	s_or_b64 exec, exec, s[42:43]
	buffer_load_dword v1, off, s[0:3], s33 offset:308 ; 4-byte Folded Reload
.LBB6_19746:                            ;   in Loop: Header=BB6_10483 Depth=2
	s_or_b64 exec, exec, s[40:41]
	buffer_load_dword v0, off, s[0:3], s33 offset:364 ; 4-byte Folded Reload
	s_waitcnt vmcnt(0)
	v_lshlrev_b32_e32 v1, 12, v1
	s_mov_b64 s[28:29], 0
	v_mov_b32_e32 v6, 0
                                        ; implicit-def: $vgpr3
                                        ; implicit-def: $vgpr2
	v_cmp_ne_u32_e32 vcc, v0, v1
	s_and_saveexec_b64 s[42:43], vcc
	s_cbranch_execz .LBB6_20560
; %bb.19747:                            ;   in Loop: Header=BB6_10483 Depth=2
	buffer_load_dword v0, off, s[0:3], s33 offset:364 ; 4-byte Folded Reload
	buffer_load_dword v2, off, s[0:3], s33 offset:580 ; 4-byte Folded Reload
	s_waitcnt vmcnt(0)
	v_sub_u32_e32 v3, v0, v1
	v_lshlrev_b32_e32 v0, 6, v4
	v_sub_u32_e32 v0, v2, v0
	v_ashrrev_i32_e32 v2, 31, v0
	v_lshrrev_b32_e32 v2, 26, v2
	v_add_u32_e32 v2, v0, v2
	v_ashrrev_i32_e32 v4, 6, v2
	v_and_b32_e32 v2, 0xffffffc0, v2
	v_sub_u32_e32 v2, v0, v2
	v_lshlrev_b32_e32 v0, 4, v2
	v_lshl_add_u32 v6, v4, 10, v0
	v_ashrrev_i32_e32 v0, 31, v3
	v_lshrrev_b32_e32 v0, 22, v0
	v_add_u32_e32 v0, v3, v0
	v_ashrrev_i32_e32 v7, 10, v0
	v_and_b32_e32 v0, 0xfffffc00, v0
	v_sub_u32_e32 v5, v3, v6
	v_sub_u32_e32 v3, v3, v0
	v_cmp_lt_i32_e64 s[28:29], 15, v3
	v_addc_co_u32_e64 v7, vcc, 0, v7, s[28:29]
	v_sub_u32_e32 v4, v7, v4
	v_cmp_lt_i32_e32 vcc, 15, v5
	s_and_saveexec_b64 s[30:31], vcc
	s_cbranch_execz .LBB6_20559
; %bb.19748:                            ;   in Loop: Header=BB6_10483 Depth=2
	v_add_u32_e32 v8, v6, v1
	s_trap 2
	ds_read_b64 v[6:7], v0
	buffer_load_dword v10, off, s[0:3], s33 offset:436 ; 4-byte Folded Reload
	buffer_load_dword v11, off, s[0:3], s33 offset:440 ; 4-byte Folded Reload
	v_ashrrev_i32_e32 v9, 31, v8
	s_mov_b64 s[34:35], 0
	s_waitcnt lgkmcnt(0)
	v_readfirstlane_b32 s9, v6
	s_and_b32 s40, s9, 7
	s_flbit_i32_b32 s40, s40
	s_min_u32 s40, s40, 32
	s_and_b32 s41, s9, 0x7f
	s_waitcnt vmcnt(1)
	v_add_co_u32_e32 v12, vcc, v8, v10
	s_waitcnt vmcnt(0)
	v_addc_co_u32_e32 v13, vcc, v9, v11, vcc
	buffer_load_dword v10, off, s[0:3], s33 offset:420 ; 4-byte Folded Reload
	buffer_load_dword v11, off, s[0:3], s33 offset:424 ; 4-byte Folded Reload
	v_add_co_u32_e32 v14, vcc, v6, v8
	v_addc_co_u32_e32 v15, vcc, v7, v9, vcc
	s_waitcnt vmcnt(1)
	v_add_co_u32_e32 v16, vcc, v8, v10
	s_waitcnt vmcnt(0)
	v_addc_co_u32_e32 v17, vcc, v9, v11, vcc
	s_bfe_u32 vcc_lo, s9, 0x40003
	s_sub_i32 vcc_hi, s40, 28
	s_sub_i32 s40, 29, s40
	s_cmp_lt_u32 s41, 8
	s_cselect_b32 vcc_hi, vcc_hi, 0
	s_cselect_b32 s40, s40, vcc_lo
	v_lshlrev_b64 v[6:7], vcc_hi, v[6:7]
	s_lshl_b32 vcc_lo, s9, 24
	s_lshl_b32 s40, s40, 23
	s_and_b32 vcc_lo, vcc_lo, 0x80000000
	s_add_i32 s40, s40, 0x3c000000
	v_lshlrev_b32_e32 v6, 20, v6
	s_or_b32 s40, vcc_lo, s40
	v_and_b32_e32 v6, 0x700000, v6
	s_cmpk_lg_i32 s41, 0x7f
	v_or_b32_e32 v6, s40, v6
	s_cselect_b64 vcc, -1, 0
	v_mov_b32_e32 v7, 0x7f800001
	v_cndmask_b32_e32 v6, v7, v6, vcc
	s_and_b32 s9, s9, 0xff
	s_branch .LBB6_19750
.LBB6_19749:                            ;   in Loop: Header=BB6_19750 Depth=3
	s_or_b64 exec, exec, s[40:41]
	v_lshl_or_b32 v9, v33, 8, v22
	v_lshlrev_b32_e32 v10, 16, v35
	v_lshlrev_b32_e32 v11, 24, v36
	v_or3_b32 v28, v9, v10, v11
	v_lshl_or_b32 v7, v24, 8, v7
	v_lshlrev_b32_e32 v9, 16, v27
	v_lshlrev_b32_e32 v10, 24, v30
	v_or3_b32 v27, v7, v9, v10
	;; [unrolled: 4-line block ×3, first 2 shown]
	v_lshlrev_b32_e32 v7, 24, v8
	v_lshlrev_b32_e32 v8, 16, v18
	v_lshl_or_b32 v9, v23, 8, v21
	v_or3_b32 v30, v9, v8, v7
	buffer_load_dword v7, off, s[0:3], s33 offset:356 ; 4-byte Folded Reload
	s_waitcnt vmcnt(0)
	v_add_co_u32_e32 v12, vcc, v12, v7
	v_addc_co_u32_e32 v13, vcc, 0, v13, vcc
	v_add_co_u32_e32 v14, vcc, v14, v7
	v_addc_co_u32_e32 v15, vcc, 0, v15, vcc
	global_store_dwordx4 v[16:17], v[27:30], off glc slc
	v_add_co_u32_e32 v16, vcc, v16, v7
	v_sub_u32_e32 v5, v5, v7
	buffer_load_dword v7, off, s[0:3], s33 offset:92 ; 4-byte Folded Reload
	v_addc_co_u32_e32 v17, vcc, 0, v17, vcc
	v_cmp_gt_i32_e32 vcc, 16, v5
	s_or_b64 s[34:35], vcc, s[34:35]
	s_waitcnt vmcnt(0)
	v_sub_u32_e32 v4, v4, v7
	s_andn2_b64 exec, exec, s[34:35]
	s_cbranch_execz .LBB6_20558
.LBB6_19750:                            ;   Parent Loop BB6_47 Depth=1
                                        ;     Parent Loop BB6_10483 Depth=2
                                        ; =>    This Inner Loop Header: Depth=3
	s_cmpk_lt_i32 s9, 0x80
	s_cbranch_scc1 .LBB6_19754
; %bb.19751:                            ;   in Loop: Header=BB6_19750 Depth=3
	s_and_b32 vcc_lo, 0xffff, s9
	s_mov_b64 s[40:41], -1
	s_cmpk_eq_i32 vcc_lo, 0x80
	s_cbranch_scc0 .LBB6_19753
; %bb.19752:                            ;   in Loop: Header=BB6_19750 Depth=3
	s_mov_b64 s[40:41], 0
.LBB6_19753:                            ;   in Loop: Header=BB6_19750 Depth=3
	s_brev_b32 s36, 1
	s_branch .LBB6_19756
.LBB6_19754:                            ;   in Loop: Header=BB6_19750 Depth=3
	s_mov_b64 s[40:41], 0
	s_brev_b32 s36, 1
	s_cbranch_execz .LBB6_19756
; %bb.19755:                            ;   in Loop: Header=BB6_19750 Depth=3
	s_and_b32 s40, 0xffff, s9
	s_cmp_lg_u32 s40, 0
	s_mov_b32 s36, 0
	s_cselect_b64 s[40:41], -1, 0
.LBB6_19756:                            ;   in Loop: Header=BB6_19750 Depth=3
	s_andn2_b64 vcc, exec, s[40:41]
	v_mov_b32_e32 v24, s36
	s_cbranch_vccnz .LBB6_19758
; %bb.19757:                            ;   in Loop: Header=BB6_19750 Depth=3
	v_mov_b32_e32 v24, v6
.LBB6_19758:                            ;   in Loop: Header=BB6_19750 Depth=3
	global_load_dwordx4 v[8:11], v[12:13], off glc slc
	v_mov_b32_e32 v7, 0
	s_waitcnt vmcnt(0)
	v_cmp_ne_u16_sdwa vcc, v8, v51 src0_sel:BYTE_0 src1_sel:DWORD
	s_and_saveexec_b64 s[40:41], vcc
	s_cbranch_execz .LBB6_19764
; %bb.19759:                            ;   in Loop: Header=BB6_19750 Depth=3
	v_cmp_ne_u16_sdwa vcc, v8, s96 src0_sel:BYTE_0 src1_sel:DWORD
	v_bfrev_b32_e32 v7, 1
	s_and_saveexec_b64 s[36:37], vcc
	s_cbranch_execz .LBB6_19763
; %bb.19760:                            ;   in Loop: Header=BB6_19750 Depth=3
	v_and_b32_e32 v18, 0x7f, v8
	v_cmp_ne_u32_e32 vcc, s86, v18
	v_mov_b32_e32 v7, 0x7f800001
	s_and_saveexec_b64 s[38:39], vcc
	s_cbranch_execz .LBB6_19762
; %bb.19761:                            ;   in Loop: Header=BB6_19750 Depth=3
	v_and_b32_e32 v7, 7, v8
	v_ffbh_u32_e32 v7, v7
	v_min_u32_e32 v7, 32, v7
	v_lshrrev_b32_e32 v19, 3, v18
	v_cmp_gt_u32_e32 vcc, 8, v18
	v_subrev_u32_e32 v18, 28, v7
	v_sub_u32_e32 v7, 29, v7
	v_cndmask_b32_e32 v18, 0, v18, vcc
	v_cndmask_b32_e32 v7, v19, v7, vcc
	v_lshlrev_b64 v[18:19], v18, v[8:9]
	v_lshlrev_b32_e32 v19, 24, v8
	v_lshlrev_b32_e32 v18, 20, v18
	v_bfrev_b32_e32 v20, 60
	v_and_b32_e32 v18, 0x700000, v18
	v_and_b32_e32 v19, 0x80000000, v19
	v_lshl_add_u32 v7, v7, 23, v20
	v_or3_b32 v7, v19, v7, v18
.LBB6_19762:                            ;   in Loop: Header=BB6_19750 Depth=3
	s_or_b64 exec, exec, s[38:39]
.LBB6_19763:                            ;   in Loop: Header=BB6_19750 Depth=3
	s_or_b64 exec, exec, s[36:37]
.LBB6_19764:                            ;   in Loop: Header=BB6_19750 Depth=3
	s_or_b64 exec, exec, s[40:41]
	v_mul_f32_e32 v18, v24, v7
	v_and_b32_e32 v19, 0x7f800000, v18
	v_mov_b32_e32 v20, v51
	v_cmp_ne_u64_e32 vcc, s[76:77], v[19:20]
                                        ; implicit-def: $vgpr7
	s_and_saveexec_b64 s[40:41], vcc
	s_xor_b64 s[36:37], exec, s[40:41]
	s_cbranch_execz .LBB6_19778
; %bb.19765:                            ;   in Loop: Header=BB6_19750 Depth=3
	v_and_b32_e32 v19, 0x7fffffff, v18
	v_mov_b32_e32 v20, v51
	v_cmp_gt_u64_e32 vcc, s[78:79], v[19:20]
	v_and_b32_sdwa v21, v18, s96 dst_sel:DWORD dst_unused:UNUSED_PAD src0_sel:BYTE_3 src1_sel:DWORD
                                        ; implicit-def: $vgpr7
	s_and_saveexec_b64 s[40:41], vcc
	s_xor_b64 s[38:39], exec, s[40:41]
	s_cbranch_execz .LBB6_19775
; %bb.19766:                            ;   in Loop: Header=BB6_19750 Depth=3
	v_mov_b32_e32 v7, 0
	v_cmp_ne_u32_e32 vcc, 0, v18
	s_and_saveexec_b64 s[48:49], vcc
	s_cbranch_execz .LBB6_19774
; %bb.19767:                            ;   in Loop: Header=BB6_19750 Depth=3
	v_bfe_u32 v7, v18, 23, 8
	v_and_b32_e32 v19, 0x7fffff, v18
	v_cmp_gt_u32_e64 s[40:41], s97, v7
	v_sub_u32_e32 v18, 0x79, v7
	v_cmp_eq_u32_e32 vcc, 0, v7
	v_cndmask_b32_e64 v18, 0, v18, s[40:41]
	v_mov_b32_e32 v22, 0x78
	v_or_b32_e32 v20, 0x800000, v19
	v_cndmask_b32_e32 v22, v18, v22, vcc
	v_cndmask_b32_e32 v18, v20, v19, vcc
	v_add_u32_e32 v20, 20, v22
	v_lshlrev_b64 v[25:26], v20, -1
	v_mov_b32_e32 v19, v51
	v_add_u32_e32 v20, 19, v22
	v_bfi_b32 v25, v25, 0, v18
	v_lshlrev_b64 v[27:28], v20, 1
	v_lshrrev_b64 v[18:19], v22, v[18:19]
	v_bfi_b32 v26, v26, 0, 0
	v_cmp_eq_u64_e64 s[40:41], v[25:26], v[27:28]
	v_mov_b32_e32 v20, v19
	v_mov_b32_e32 v19, v18
	s_and_saveexec_b64 s[50:51], s[40:41]
; %bb.19768:                            ;   in Loop: Header=BB6_19750 Depth=3
	v_bfe_u32 v19, v18, 20, 1
	v_add_co_u32_e64 v19, s[40:41], v18, v19
	v_add_co_u32_e64 v19, s[40:41], -1, v19
; %bb.19769:                            ;   in Loop: Header=BB6_19750 Depth=3
	s_or_b64 exec, exec, s[50:51]
	v_add_u32_e32 v7, 0xffffff81, v7
	v_mov_b32_e32 v20, 0xffffff82
	v_cndmask_b32_e32 v7, v7, v20, vcc
	v_lshrrev_b32_e32 v20, 23, v18
	v_add3_u32 v22, v22, v7, v20
	v_add_u32_e32 v20, 6, v22
	v_and_b32_e32 v7, 0xfffff, v19
	v_add_u32_e32 v18, v7, v18
	v_mov_b32_e32 v19, v51
	v_cmp_ne_u32_e32 vcc, 0, v20
                                        ; implicit-def: $vgpr7
	s_and_saveexec_b64 s[40:41], vcc
	s_xor_b64 s[40:41], exec, s[40:41]
; %bb.19770:                            ;   in Loop: Header=BB6_19750 Depth=3
	v_cmp_lt_u64_e32 vcc, s[88:89], v[18:19]
	v_add_u32_e32 v7, 7, v22
	v_cndmask_b32_e32 v7, v20, v7, vcc
	v_cndmask_b32_e64 v20, 0, 1, vcc
	v_lshrrev_b64 v[18:19], v20, v[18:19]
; %bb.19771:                            ;   in Loop: Header=BB6_19750 Depth=3
	s_andn2_saveexec_b64 s[40:41], s[40:41]
; %bb.19772:                            ;   in Loop: Header=BB6_19750 Depth=3
	v_bfe_u32 v7, v18, 23, 1
; %bb.19773:                            ;   in Loop: Header=BB6_19750 Depth=3
	s_or_b64 exec, exec, s[40:41]
	v_lshrrev_b64 v[18:19], 20, v[18:19]
	v_cmp_gt_i32_e32 vcc, 16, v7
	v_cndmask_b32_e32 v19, 0, v19, vcc
	v_cndmask_b32_e32 v18, 7, v18, vcc
	v_cmp_eq_u32_e32 vcc, 0, v7
	v_min_i32_e32 v7, 15, v7
	v_cmp_eq_u64_e64 s[40:41], 0, v[18:19]
	v_lshlrev_b32_e32 v7, 3, v7
	v_and_b32_e32 v7, 0xf8, v7
	v_and_or_b32 v7, v18, 7, v7
	s_and_b64 s[40:41], vcc, s[40:41]
	v_cndmask_b32_e64 v7, v7, 0, s[40:41]
	v_or_b32_e32 v7, v7, v21
.LBB6_19774:                            ;   in Loop: Header=BB6_19750 Depth=3
	s_or_b64 exec, exec, s[48:49]
                                        ; implicit-def: $vgpr21
.LBB6_19775:                            ;   in Loop: Header=BB6_19750 Depth=3
	s_andn2_saveexec_b64 s[40:41], s[38:39]
; %bb.19776:                            ;   in Loop: Header=BB6_19750 Depth=3
	v_or_b32_e32 v7, 0x7e, v21
; %bb.19777:                            ;   in Loop: Header=BB6_19750 Depth=3
	s_or_b64 exec, exec, s[40:41]
                                        ; implicit-def: $vgpr18
.LBB6_19778:                            ;   in Loop: Header=BB6_19750 Depth=3
	s_andn2_saveexec_b64 s[40:41], s[36:37]
; %bb.19779:                            ;   in Loop: Header=BB6_19750 Depth=3
	v_or_b32_sdwa v7, v18, s86 dst_sel:DWORD dst_unused:UNUSED_PAD src0_sel:BYTE_3 src1_sel:DWORD
; %bb.19780:                            ;   in Loop: Header=BB6_19750 Depth=3
	s_or_b64 exec, exec, s[40:41]
	v_lshrrev_b16_e32 v18, 8, v8
	v_cmp_ne_u16_e32 vcc, 0, v18
	v_mov_b32_e32 v19, 0
	s_and_saveexec_b64 s[40:41], vcc
	s_cbranch_execz .LBB6_19786
; %bb.19781:                            ;   in Loop: Header=BB6_19750 Depth=3
	v_cmp_ne_u16_e32 vcc, s96, v18
	v_bfrev_b32_e32 v19, 1
	s_and_saveexec_b64 s[36:37], vcc
	s_cbranch_execz .LBB6_19785
; %bb.19782:                            ;   in Loop: Header=BB6_19750 Depth=3
	v_and_b32_e32 v20, 0x7f, v18
	v_cmp_ne_u32_e32 vcc, s86, v20
	v_mov_b32_e32 v19, 0x7f800001
	s_and_saveexec_b64 s[38:39], vcc
	s_cbranch_execz .LBB6_19784
; %bb.19783:                            ;   in Loop: Header=BB6_19750 Depth=3
	v_and_b32_e32 v21, 7, v18
	v_ffbh_u32_e32 v19, v21
	v_lshrrev_b32_e32 v22, 3, v20
	v_cmp_gt_u32_e32 vcc, 8, v20
	v_min_u32_e32 v20, 32, v19
	v_subrev_u32_e32 v19, 28, v20
	v_lshlrev_b64 v[18:19], v19, v[18:19]
	v_sub_u32_e32 v19, 29, v20
	v_and_b32_e32 v18, 7, v18
	v_cndmask_b32_e32 v19, v22, v19, vcc
	v_cndmask_b32_e32 v18, v21, v18, vcc
	v_lshlrev_b32_e32 v20, 16, v8
	v_bfrev_b32_e32 v21, 60
	v_lshlrev_b32_e32 v18, 20, v18
	v_and_b32_e32 v20, 0x80000000, v20
	v_lshl_add_u32 v19, v19, 23, v21
	v_or3_b32 v19, v20, v19, v18
.LBB6_19784:                            ;   in Loop: Header=BB6_19750 Depth=3
	s_or_b64 exec, exec, s[38:39]
.LBB6_19785:                            ;   in Loop: Header=BB6_19750 Depth=3
	s_or_b64 exec, exec, s[36:37]
.LBB6_19786:                            ;   in Loop: Header=BB6_19750 Depth=3
	s_or_b64 exec, exec, s[40:41]
	v_mul_f32_e32 v18, v24, v19
	v_and_b32_e32 v19, 0x7f800000, v18
	v_mov_b32_e32 v20, v51
	v_cmp_ne_u64_e32 vcc, s[76:77], v[19:20]
                                        ; implicit-def: $vgpr27
	s_and_saveexec_b64 s[40:41], vcc
	s_xor_b64 s[36:37], exec, s[40:41]
	s_cbranch_execz .LBB6_19800
; %bb.19787:                            ;   in Loop: Header=BB6_19750 Depth=3
	v_and_b32_e32 v19, 0x7fffffff, v18
	v_mov_b32_e32 v20, v51
	v_cmp_gt_u64_e32 vcc, s[78:79], v[19:20]
	v_and_b32_sdwa v21, v18, s96 dst_sel:DWORD dst_unused:UNUSED_PAD src0_sel:BYTE_3 src1_sel:DWORD
                                        ; implicit-def: $vgpr27
	s_and_saveexec_b64 s[40:41], vcc
	s_xor_b64 s[38:39], exec, s[40:41]
	s_cbranch_execz .LBB6_19797
; %bb.19788:                            ;   in Loop: Header=BB6_19750 Depth=3
	v_mov_b32_e32 v27, 0
	v_cmp_ne_u32_e32 vcc, 0, v18
	s_and_saveexec_b64 s[48:49], vcc
	s_cbranch_execz .LBB6_19796
; %bb.19789:                            ;   in Loop: Header=BB6_19750 Depth=3
	v_bfe_u32 v22, v18, 23, 8
	v_and_b32_e32 v19, 0x7fffff, v18
	v_cmp_gt_u32_e64 s[40:41], s97, v22
	v_sub_u32_e32 v18, 0x79, v22
	v_cmp_eq_u32_e32 vcc, 0, v22
	v_cndmask_b32_e64 v18, 0, v18, s[40:41]
	v_mov_b32_e32 v23, 0x78
	v_or_b32_e32 v20, 0x800000, v19
	v_cndmask_b32_e32 v23, v18, v23, vcc
	v_cndmask_b32_e32 v18, v20, v19, vcc
	v_add_u32_e32 v20, 20, v23
	v_lshlrev_b64 v[25:26], v20, -1
	v_mov_b32_e32 v19, v51
	v_add_u32_e32 v20, 19, v23
	v_bfi_b32 v25, v25, 0, v18
	v_lshlrev_b64 v[27:28], v20, 1
	v_lshrrev_b64 v[18:19], v23, v[18:19]
	v_bfi_b32 v26, v26, 0, 0
	v_cmp_eq_u64_e64 s[40:41], v[25:26], v[27:28]
	v_mov_b32_e32 v20, v19
	v_mov_b32_e32 v19, v18
	s_and_saveexec_b64 s[50:51], s[40:41]
; %bb.19790:                            ;   in Loop: Header=BB6_19750 Depth=3
	v_bfe_u32 v19, v18, 20, 1
	v_add_co_u32_e64 v19, s[40:41], v18, v19
	v_add_co_u32_e64 v19, s[40:41], -1, v19
; %bb.19791:                            ;   in Loop: Header=BB6_19750 Depth=3
	s_or_b64 exec, exec, s[50:51]
	v_add_u32_e32 v20, 0xffffff81, v22
	v_mov_b32_e32 v22, 0xffffff82
	v_cndmask_b32_e32 v20, v20, v22, vcc
	v_lshrrev_b32_e32 v22, 23, v18
	v_add3_u32 v23, v23, v20, v22
	v_add_u32_e32 v22, 6, v23
	v_and_b32_e32 v19, 0xfffff, v19
	v_add_u32_e32 v18, v19, v18
	v_mov_b32_e32 v19, v51
	v_cmp_ne_u32_e32 vcc, 0, v22
                                        ; implicit-def: $vgpr20
	s_and_saveexec_b64 s[40:41], vcc
	s_xor_b64 s[40:41], exec, s[40:41]
; %bb.19792:                            ;   in Loop: Header=BB6_19750 Depth=3
	v_cmp_lt_u64_e32 vcc, s[88:89], v[18:19]
	v_add_u32_e32 v20, 7, v23
	v_cndmask_b32_e32 v20, v22, v20, vcc
	v_cndmask_b32_e64 v22, 0, 1, vcc
	v_lshrrev_b64 v[18:19], v22, v[18:19]
; %bb.19793:                            ;   in Loop: Header=BB6_19750 Depth=3
	s_andn2_saveexec_b64 s[40:41], s[40:41]
; %bb.19794:                            ;   in Loop: Header=BB6_19750 Depth=3
	v_bfe_u32 v20, v18, 23, 1
; %bb.19795:                            ;   in Loop: Header=BB6_19750 Depth=3
	s_or_b64 exec, exec, s[40:41]
	v_lshrrev_b64 v[18:19], 20, v[18:19]
	v_cmp_gt_i32_e32 vcc, 16, v20
	v_cndmask_b32_e32 v19, 0, v19, vcc
	v_cndmask_b32_e32 v18, 7, v18, vcc
	v_cmp_eq_u64_e64 s[40:41], 0, v[18:19]
	v_min_i32_e32 v19, 15, v20
	v_lshlrev_b32_e32 v19, 3, v19
	v_cmp_eq_u32_e32 vcc, 0, v20
	v_and_b32_e32 v19, 0xf8, v19
	v_and_or_b32 v18, v18, 7, v19
	s_and_b64 s[40:41], vcc, s[40:41]
	v_cndmask_b32_e64 v18, v18, 0, s[40:41]
	v_or_b32_e32 v27, v18, v21
.LBB6_19796:                            ;   in Loop: Header=BB6_19750 Depth=3
	s_or_b64 exec, exec, s[48:49]
                                        ; implicit-def: $vgpr21
.LBB6_19797:                            ;   in Loop: Header=BB6_19750 Depth=3
	s_andn2_saveexec_b64 s[40:41], s[38:39]
; %bb.19798:                            ;   in Loop: Header=BB6_19750 Depth=3
	v_or_b32_e32 v27, 0x7e, v21
; %bb.19799:                            ;   in Loop: Header=BB6_19750 Depth=3
	s_or_b64 exec, exec, s[40:41]
                                        ; implicit-def: $vgpr18
.LBB6_19800:                            ;   in Loop: Header=BB6_19750 Depth=3
	s_andn2_saveexec_b64 s[40:41], s[36:37]
; %bb.19801:                            ;   in Loop: Header=BB6_19750 Depth=3
	v_or_b32_sdwa v27, v18, s86 dst_sel:DWORD dst_unused:UNUSED_PAD src0_sel:BYTE_3 src1_sel:DWORD
; %bb.19802:                            ;   in Loop: Header=BB6_19750 Depth=3
	s_or_b64 exec, exec, s[40:41]
	v_lshrrev_b32_e32 v18, 16, v8
	v_cmp_ne_u16_sdwa vcc, v18, v51 src0_sel:BYTE_0 src1_sel:DWORD
	v_mov_b32_e32 v19, 0
	s_and_saveexec_b64 s[40:41], vcc
	s_cbranch_execz .LBB6_19808
; %bb.19803:                            ;   in Loop: Header=BB6_19750 Depth=3
	v_cmp_ne_u16_sdwa vcc, v18, s96 src0_sel:BYTE_0 src1_sel:DWORD
	v_bfrev_b32_e32 v19, 1
	s_and_saveexec_b64 s[36:37], vcc
	s_cbranch_execz .LBB6_19807
; %bb.19804:                            ;   in Loop: Header=BB6_19750 Depth=3
	v_bfe_u32 v20, v8, 16, 7
	v_cmp_ne_u32_e32 vcc, s86, v20
	v_mov_b32_e32 v19, 0x7f800001
	s_and_saveexec_b64 s[38:39], vcc
	s_cbranch_execz .LBB6_19806
; %bb.19805:                            ;   in Loop: Header=BB6_19750 Depth=3
	v_and_b32_e32 v21, 7, v18
	v_ffbh_u32_e32 v19, v21
	v_min_u32_e32 v23, 32, v19
	v_subrev_u32_e32 v19, 28, v23
	v_lshrrev_b32_e32 v22, 3, v20
	v_cmp_gt_u32_e32 vcc, 8, v20
	v_lshlrev_b64 v[19:20], v19, v[18:19]
	v_sub_u32_e32 v20, 29, v23
	v_and_b32_e32 v19, 7, v19
	v_cndmask_b32_e32 v20, v22, v20, vcc
	v_cndmask_b32_e32 v19, v21, v19, vcc
	v_lshlrev_b32_e32 v18, 24, v18
	v_bfrev_b32_e32 v21, 60
	v_lshlrev_b32_e32 v19, 20, v19
	v_and_b32_e32 v18, 0x80000000, v18
	v_lshl_add_u32 v20, v20, 23, v21
	v_or3_b32 v19, v18, v20, v19
.LBB6_19806:                            ;   in Loop: Header=BB6_19750 Depth=3
	s_or_b64 exec, exec, s[38:39]
.LBB6_19807:                            ;   in Loop: Header=BB6_19750 Depth=3
	s_or_b64 exec, exec, s[36:37]
.LBB6_19808:                            ;   in Loop: Header=BB6_19750 Depth=3
	s_or_b64 exec, exec, s[40:41]
	v_mul_f32_e32 v18, v24, v19
	v_and_b32_e32 v19, 0x7f800000, v18
	v_mov_b32_e32 v20, v51
	v_cmp_ne_u64_e32 vcc, s[76:77], v[19:20]
                                        ; implicit-def: $vgpr30
	s_and_saveexec_b64 s[40:41], vcc
	s_xor_b64 s[36:37], exec, s[40:41]
	s_cbranch_execz .LBB6_19822
; %bb.19809:                            ;   in Loop: Header=BB6_19750 Depth=3
	v_and_b32_e32 v19, 0x7fffffff, v18
	v_mov_b32_e32 v20, v51
	v_cmp_gt_u64_e32 vcc, s[78:79], v[19:20]
	v_and_b32_sdwa v21, v18, s96 dst_sel:DWORD dst_unused:UNUSED_PAD src0_sel:BYTE_3 src1_sel:DWORD
                                        ; implicit-def: $vgpr30
	s_and_saveexec_b64 s[40:41], vcc
	s_xor_b64 s[38:39], exec, s[40:41]
	s_cbranch_execz .LBB6_19819
; %bb.19810:                            ;   in Loop: Header=BB6_19750 Depth=3
	v_mov_b32_e32 v30, 0
	v_cmp_ne_u32_e32 vcc, 0, v18
	s_and_saveexec_b64 s[48:49], vcc
	s_cbranch_execz .LBB6_19818
; %bb.19811:                            ;   in Loop: Header=BB6_19750 Depth=3
	v_bfe_u32 v22, v18, 23, 8
	v_and_b32_e32 v19, 0x7fffff, v18
	v_cmp_gt_u32_e64 s[40:41], s97, v22
	v_sub_u32_e32 v18, 0x79, v22
	v_cmp_eq_u32_e32 vcc, 0, v22
	v_cndmask_b32_e64 v18, 0, v18, s[40:41]
	v_mov_b32_e32 v23, 0x78
	v_or_b32_e32 v20, 0x800000, v19
	v_cndmask_b32_e32 v23, v18, v23, vcc
	v_cndmask_b32_e32 v18, v20, v19, vcc
	v_add_u32_e32 v20, 20, v23
	v_lshlrev_b64 v[25:26], v20, -1
	v_mov_b32_e32 v19, v51
	v_add_u32_e32 v20, 19, v23
	v_bfi_b32 v25, v25, 0, v18
	v_lshlrev_b64 v[28:29], v20, 1
	v_lshrrev_b64 v[18:19], v23, v[18:19]
	v_bfi_b32 v26, v26, 0, 0
	v_cmp_eq_u64_e64 s[40:41], v[25:26], v[28:29]
	v_mov_b32_e32 v20, v19
	v_mov_b32_e32 v19, v18
	s_and_saveexec_b64 s[50:51], s[40:41]
; %bb.19812:                            ;   in Loop: Header=BB6_19750 Depth=3
	v_bfe_u32 v19, v18, 20, 1
	v_add_co_u32_e64 v19, s[40:41], v18, v19
	v_add_co_u32_e64 v19, s[40:41], -1, v19
; %bb.19813:                            ;   in Loop: Header=BB6_19750 Depth=3
	s_or_b64 exec, exec, s[50:51]
	v_add_u32_e32 v20, 0xffffff81, v22
	v_mov_b32_e32 v22, 0xffffff82
	v_cndmask_b32_e32 v20, v20, v22, vcc
	v_lshrrev_b32_e32 v22, 23, v18
	v_add3_u32 v23, v23, v20, v22
	v_add_u32_e32 v22, 6, v23
	v_and_b32_e32 v19, 0xfffff, v19
	v_add_u32_e32 v18, v19, v18
	v_mov_b32_e32 v19, v51
	v_cmp_ne_u32_e32 vcc, 0, v22
                                        ; implicit-def: $vgpr20
	s_and_saveexec_b64 s[40:41], vcc
	s_xor_b64 s[40:41], exec, s[40:41]
; %bb.19814:                            ;   in Loop: Header=BB6_19750 Depth=3
	v_cmp_lt_u64_e32 vcc, s[88:89], v[18:19]
	v_add_u32_e32 v20, 7, v23
	v_cndmask_b32_e32 v20, v22, v20, vcc
	v_cndmask_b32_e64 v22, 0, 1, vcc
	v_lshrrev_b64 v[18:19], v22, v[18:19]
; %bb.19815:                            ;   in Loop: Header=BB6_19750 Depth=3
	s_andn2_saveexec_b64 s[40:41], s[40:41]
; %bb.19816:                            ;   in Loop: Header=BB6_19750 Depth=3
	v_bfe_u32 v20, v18, 23, 1
; %bb.19817:                            ;   in Loop: Header=BB6_19750 Depth=3
	s_or_b64 exec, exec, s[40:41]
	v_lshrrev_b64 v[18:19], 20, v[18:19]
	v_cmp_gt_i32_e32 vcc, 16, v20
	v_cndmask_b32_e32 v19, 0, v19, vcc
	v_cndmask_b32_e32 v18, 7, v18, vcc
	v_cmp_eq_u64_e64 s[40:41], 0, v[18:19]
	v_min_i32_e32 v19, 15, v20
	v_lshlrev_b32_e32 v19, 3, v19
	v_cmp_eq_u32_e32 vcc, 0, v20
	v_and_b32_e32 v19, 0xf8, v19
	v_and_or_b32 v18, v18, 7, v19
	s_and_b64 s[40:41], vcc, s[40:41]
	v_cndmask_b32_e64 v18, v18, 0, s[40:41]
	v_or_b32_e32 v30, v18, v21
.LBB6_19818:                            ;   in Loop: Header=BB6_19750 Depth=3
	s_or_b64 exec, exec, s[48:49]
                                        ; implicit-def: $vgpr21
.LBB6_19819:                            ;   in Loop: Header=BB6_19750 Depth=3
	s_andn2_saveexec_b64 s[40:41], s[38:39]
; %bb.19820:                            ;   in Loop: Header=BB6_19750 Depth=3
	v_or_b32_e32 v30, 0x7e, v21
; %bb.19821:                            ;   in Loop: Header=BB6_19750 Depth=3
	s_or_b64 exec, exec, s[40:41]
                                        ; implicit-def: $vgpr18
.LBB6_19822:                            ;   in Loop: Header=BB6_19750 Depth=3
	s_andn2_saveexec_b64 s[40:41], s[36:37]
; %bb.19823:                            ;   in Loop: Header=BB6_19750 Depth=3
	v_or_b32_sdwa v30, v18, s86 dst_sel:DWORD dst_unused:UNUSED_PAD src0_sel:BYTE_3 src1_sel:DWORD
; %bb.19824:                            ;   in Loop: Header=BB6_19750 Depth=3
	s_or_b64 exec, exec, s[40:41]
	v_cmp_lt_u32_e32 vcc, s57, v8
	v_mov_b32_e32 v19, 0
	s_and_saveexec_b64 s[40:41], vcc
	s_cbranch_execz .LBB6_19830
; %bb.19825:                            ;   in Loop: Header=BB6_19750 Depth=3
	v_lshrrev_b32_e32 v18, 24, v8
	v_cmp_ne_u32_e32 vcc, s96, v18
	v_bfrev_b32_e32 v19, 1
	s_and_saveexec_b64 s[36:37], vcc
	s_cbranch_execz .LBB6_19829
; %bb.19826:                            ;   in Loop: Header=BB6_19750 Depth=3
	v_bfe_u32 v20, v8, 24, 7
	v_cmp_ne_u32_e32 vcc, s86, v20
	v_mov_b32_e32 v19, 0x7f800001
	s_and_saveexec_b64 s[38:39], vcc
	s_cbranch_execz .LBB6_19828
; %bb.19827:                            ;   in Loop: Header=BB6_19750 Depth=3
	v_and_b32_e32 v21, 7, v18
	v_ffbh_u32_e32 v19, v21
	v_min_u32_e32 v23, 32, v19
	v_subrev_u32_e32 v19, 28, v23
	v_lshrrev_b32_e32 v22, 3, v20
	v_cmp_gt_u32_e32 vcc, 8, v20
	v_lshlrev_b64 v[19:20], v19, v[18:19]
	v_sub_u32_e32 v20, 29, v23
	v_and_b32_e32 v19, 7, v19
	v_cndmask_b32_e32 v20, v22, v20, vcc
	v_cndmask_b32_e32 v19, v21, v19, vcc
	v_lshlrev_b32_e32 v18, 24, v18
	v_bfrev_b32_e32 v21, 60
	v_lshlrev_b32_e32 v19, 20, v19
	v_and_b32_e32 v18, 0x80000000, v18
	v_lshl_add_u32 v20, v20, 23, v21
	v_or3_b32 v19, v18, v20, v19
.LBB6_19828:                            ;   in Loop: Header=BB6_19750 Depth=3
	s_or_b64 exec, exec, s[38:39]
.LBB6_19829:                            ;   in Loop: Header=BB6_19750 Depth=3
	s_or_b64 exec, exec, s[36:37]
.LBB6_19830:                            ;   in Loop: Header=BB6_19750 Depth=3
	s_or_b64 exec, exec, s[40:41]
	v_mul_f32_e32 v18, v24, v19
	v_and_b32_e32 v19, 0x7f800000, v18
	v_mov_b32_e32 v20, v51
	v_cmp_ne_u64_e32 vcc, s[76:77], v[19:20]
                                        ; implicit-def: $vgpr37
	s_and_saveexec_b64 s[40:41], vcc
	s_xor_b64 s[36:37], exec, s[40:41]
	s_cbranch_execz .LBB6_19844
; %bb.19831:                            ;   in Loop: Header=BB6_19750 Depth=3
	v_and_b32_e32 v19, 0x7fffffff, v18
	v_mov_b32_e32 v20, v51
	v_cmp_gt_u64_e32 vcc, s[78:79], v[19:20]
	v_and_b32_sdwa v21, v18, s96 dst_sel:DWORD dst_unused:UNUSED_PAD src0_sel:BYTE_3 src1_sel:DWORD
                                        ; implicit-def: $vgpr37
	s_and_saveexec_b64 s[40:41], vcc
	s_xor_b64 s[38:39], exec, s[40:41]
	s_cbranch_execz .LBB6_19841
; %bb.19832:                            ;   in Loop: Header=BB6_19750 Depth=3
	v_mov_b32_e32 v37, 0
	v_cmp_ne_u32_e32 vcc, 0, v18
	s_and_saveexec_b64 s[48:49], vcc
	s_cbranch_execz .LBB6_19840
; %bb.19833:                            ;   in Loop: Header=BB6_19750 Depth=3
	v_bfe_u32 v22, v18, 23, 8
	v_and_b32_e32 v19, 0x7fffff, v18
	v_cmp_gt_u32_e64 s[40:41], s97, v22
	v_sub_u32_e32 v18, 0x79, v22
	v_cmp_eq_u32_e32 vcc, 0, v22
	v_cndmask_b32_e64 v18, 0, v18, s[40:41]
	v_mov_b32_e32 v23, 0x78
	v_or_b32_e32 v20, 0x800000, v19
	v_cndmask_b32_e32 v23, v18, v23, vcc
	v_cndmask_b32_e32 v18, v20, v19, vcc
	v_add_u32_e32 v20, 20, v23
	v_lshlrev_b64 v[25:26], v20, -1
	v_mov_b32_e32 v19, v51
	v_add_u32_e32 v20, 19, v23
	v_bfi_b32 v25, v25, 0, v18
	v_lshlrev_b64 v[28:29], v20, 1
	v_lshrrev_b64 v[18:19], v23, v[18:19]
	v_bfi_b32 v26, v26, 0, 0
	v_cmp_eq_u64_e64 s[40:41], v[25:26], v[28:29]
	v_mov_b32_e32 v20, v19
	v_mov_b32_e32 v19, v18
	s_and_saveexec_b64 s[50:51], s[40:41]
; %bb.19834:                            ;   in Loop: Header=BB6_19750 Depth=3
	v_bfe_u32 v19, v18, 20, 1
	v_add_co_u32_e64 v19, s[40:41], v18, v19
	v_add_co_u32_e64 v19, s[40:41], -1, v19
; %bb.19835:                            ;   in Loop: Header=BB6_19750 Depth=3
	s_or_b64 exec, exec, s[50:51]
	v_add_u32_e32 v20, 0xffffff81, v22
	v_mov_b32_e32 v22, 0xffffff82
	v_cndmask_b32_e32 v20, v20, v22, vcc
	v_lshrrev_b32_e32 v22, 23, v18
	v_add3_u32 v23, v23, v20, v22
	v_add_u32_e32 v22, 6, v23
	v_and_b32_e32 v19, 0xfffff, v19
	v_add_u32_e32 v18, v19, v18
	v_mov_b32_e32 v19, v51
	v_cmp_ne_u32_e32 vcc, 0, v22
                                        ; implicit-def: $vgpr20
	s_and_saveexec_b64 s[40:41], vcc
	s_xor_b64 s[40:41], exec, s[40:41]
; %bb.19836:                            ;   in Loop: Header=BB6_19750 Depth=3
	v_cmp_lt_u64_e32 vcc, s[88:89], v[18:19]
	v_add_u32_e32 v20, 7, v23
	v_cndmask_b32_e32 v20, v22, v20, vcc
	v_cndmask_b32_e64 v22, 0, 1, vcc
	v_lshrrev_b64 v[18:19], v22, v[18:19]
; %bb.19837:                            ;   in Loop: Header=BB6_19750 Depth=3
	s_andn2_saveexec_b64 s[40:41], s[40:41]
; %bb.19838:                            ;   in Loop: Header=BB6_19750 Depth=3
	v_bfe_u32 v20, v18, 23, 1
; %bb.19839:                            ;   in Loop: Header=BB6_19750 Depth=3
	s_or_b64 exec, exec, s[40:41]
	v_lshrrev_b64 v[18:19], 20, v[18:19]
	v_cmp_gt_i32_e32 vcc, 16, v20
	v_cndmask_b32_e32 v19, 0, v19, vcc
	v_cndmask_b32_e32 v18, 7, v18, vcc
	v_cmp_eq_u64_e64 s[40:41], 0, v[18:19]
	v_min_i32_e32 v19, 15, v20
	v_lshlrev_b32_e32 v19, 3, v19
	v_cmp_eq_u32_e32 vcc, 0, v20
	v_and_b32_e32 v19, 0xf8, v19
	v_and_or_b32 v18, v18, 7, v19
	s_and_b64 s[40:41], vcc, s[40:41]
	v_cndmask_b32_e64 v18, v18, 0, s[40:41]
	v_or_b32_e32 v37, v18, v21
.LBB6_19840:                            ;   in Loop: Header=BB6_19750 Depth=3
	s_or_b64 exec, exec, s[48:49]
                                        ; implicit-def: $vgpr21
.LBB6_19841:                            ;   in Loop: Header=BB6_19750 Depth=3
	s_andn2_saveexec_b64 s[40:41], s[38:39]
; %bb.19842:                            ;   in Loop: Header=BB6_19750 Depth=3
	v_or_b32_e32 v37, 0x7e, v21
; %bb.19843:                            ;   in Loop: Header=BB6_19750 Depth=3
	s_or_b64 exec, exec, s[40:41]
                                        ; implicit-def: $vgpr18
.LBB6_19844:                            ;   in Loop: Header=BB6_19750 Depth=3
	s_andn2_saveexec_b64 s[40:41], s[36:37]
; %bb.19845:                            ;   in Loop: Header=BB6_19750 Depth=3
	v_or_b32_sdwa v37, v18, s86 dst_sel:DWORD dst_unused:UNUSED_PAD src0_sel:BYTE_3 src1_sel:DWORD
; %bb.19846:                            ;   in Loop: Header=BB6_19750 Depth=3
	s_or_b64 exec, exec, s[40:41]
	v_mov_b32_e32 v18, v9
	v_mov_b32_e32 v19, v51
	v_cmp_ne_u16_sdwa vcc, v9, v51 src0_sel:BYTE_0 src1_sel:DWORD
	v_mov_b32_e32 v20, 0
	s_and_saveexec_b64 s[40:41], vcc
	s_cbranch_execz .LBB6_19852
; %bb.19847:                            ;   in Loop: Header=BB6_19750 Depth=3
	v_cmp_ne_u16_sdwa vcc, v9, s96 src0_sel:BYTE_0 src1_sel:DWORD
	v_bfrev_b32_e32 v20, 1
	s_and_saveexec_b64 s[36:37], vcc
	s_cbranch_execz .LBB6_19851
; %bb.19848:                            ;   in Loop: Header=BB6_19750 Depth=3
	v_and_b32_e32 v21, 0x7f, v9
	v_cmp_ne_u32_e32 vcc, s86, v21
	v_mov_b32_e32 v20, 0x7f800001
	s_and_saveexec_b64 s[38:39], vcc
	s_cbranch_execz .LBB6_19850
; %bb.19849:                            ;   in Loop: Header=BB6_19750 Depth=3
	v_and_b32_e32 v20, 7, v9
	v_ffbh_u32_e32 v20, v20
	v_min_u32_e32 v20, 32, v20
	v_lshrrev_b32_e32 v22, 3, v21
	v_cmp_gt_u32_e32 vcc, 8, v21
	v_subrev_u32_e32 v21, 28, v20
	v_sub_u32_e32 v20, 29, v20
	v_cndmask_b32_e32 v22, v22, v20, vcc
	v_cndmask_b32_e32 v20, 0, v21, vcc
	v_lshlrev_b64 v[19:20], v20, v[18:19]
	v_lshlrev_b32_e32 v20, 24, v18
	v_lshlrev_b32_e32 v19, 20, v19
	v_bfrev_b32_e32 v21, 60
	v_and_b32_e32 v19, 0x700000, v19
	v_and_b32_e32 v20, 0x80000000, v20
	v_lshl_add_u32 v21, v22, 23, v21
	v_or3_b32 v20, v20, v21, v19
.LBB6_19850:                            ;   in Loop: Header=BB6_19750 Depth=3
	s_or_b64 exec, exec, s[38:39]
.LBB6_19851:                            ;   in Loop: Header=BB6_19750 Depth=3
	s_or_b64 exec, exec, s[36:37]
.LBB6_19852:                            ;   in Loop: Header=BB6_19750 Depth=3
	s_or_b64 exec, exec, s[40:41]
	v_mul_f32_e32 v19, v24, v20
	v_and_b32_e32 v20, 0x7f800000, v19
	v_mov_b32_e32 v21, v51
	v_cmp_ne_u64_e32 vcc, s[76:77], v[20:21]
                                        ; implicit-def: $vgpr22
	s_and_saveexec_b64 s[40:41], vcc
	s_xor_b64 s[36:37], exec, s[40:41]
	s_cbranch_execz .LBB6_19866
; %bb.19853:                            ;   in Loop: Header=BB6_19750 Depth=3
	v_and_b32_e32 v20, 0x7fffffff, v19
	v_mov_b32_e32 v21, v51
	v_cmp_gt_u64_e32 vcc, s[78:79], v[20:21]
	v_and_b32_sdwa v23, v19, s96 dst_sel:DWORD dst_unused:UNUSED_PAD src0_sel:BYTE_3 src1_sel:DWORD
                                        ; implicit-def: $vgpr22
	s_and_saveexec_b64 s[40:41], vcc
	s_xor_b64 s[38:39], exec, s[40:41]
	s_cbranch_execz .LBB6_19863
; %bb.19854:                            ;   in Loop: Header=BB6_19750 Depth=3
	v_mov_b32_e32 v22, 0
	v_cmp_ne_u32_e32 vcc, 0, v19
	s_and_saveexec_b64 s[48:49], vcc
	s_cbranch_execz .LBB6_19862
; %bb.19855:                            ;   in Loop: Header=BB6_19750 Depth=3
	v_bfe_u32 v22, v19, 23, 8
	v_and_b32_e32 v20, 0x7fffff, v19
	v_cmp_gt_u32_e64 s[40:41], s97, v22
	v_sub_u32_e32 v19, 0x79, v22
	v_cmp_eq_u32_e32 vcc, 0, v22
	v_cndmask_b32_e64 v19, 0, v19, s[40:41]
	v_mov_b32_e32 v25, 0x78
	v_or_b32_e32 v21, 0x800000, v20
	v_cndmask_b32_e32 v25, v19, v25, vcc
	v_cndmask_b32_e32 v19, v21, v20, vcc
	v_add_u32_e32 v21, 20, v25
	v_lshlrev_b64 v[28:29], v21, -1
	v_mov_b32_e32 v20, v51
	v_add_u32_e32 v21, 19, v25
	v_bfi_b32 v28, v28, 0, v19
	v_lshlrev_b64 v[31:32], v21, 1
	v_lshrrev_b64 v[19:20], v25, v[19:20]
	v_bfi_b32 v29, v29, 0, 0
	v_cmp_eq_u64_e64 s[40:41], v[28:29], v[31:32]
	v_mov_b32_e32 v21, v20
	v_mov_b32_e32 v20, v19
	s_and_saveexec_b64 s[50:51], s[40:41]
; %bb.19856:                            ;   in Loop: Header=BB6_19750 Depth=3
	v_bfe_u32 v20, v19, 20, 1
	v_add_co_u32_e64 v20, s[40:41], v19, v20
	v_add_co_u32_e64 v20, s[40:41], -1, v20
; %bb.19857:                            ;   in Loop: Header=BB6_19750 Depth=3
	s_or_b64 exec, exec, s[50:51]
	v_add_u32_e32 v21, 0xffffff81, v22
	v_mov_b32_e32 v22, 0xffffff82
	v_cndmask_b32_e32 v21, v21, v22, vcc
	v_lshrrev_b32_e32 v22, 23, v19
	v_add3_u32 v25, v25, v21, v22
	v_add_u32_e32 v22, 6, v25
	v_and_b32_e32 v20, 0xfffff, v20
	v_add_u32_e32 v19, v20, v19
	v_mov_b32_e32 v20, v51
	v_cmp_ne_u32_e32 vcc, 0, v22
                                        ; implicit-def: $vgpr21
	s_and_saveexec_b64 s[40:41], vcc
	s_xor_b64 s[40:41], exec, s[40:41]
; %bb.19858:                            ;   in Loop: Header=BB6_19750 Depth=3
	v_cmp_lt_u64_e32 vcc, s[88:89], v[19:20]
	v_add_u32_e32 v21, 7, v25
	v_cndmask_b32_e32 v21, v22, v21, vcc
	v_cndmask_b32_e64 v22, 0, 1, vcc
	v_lshrrev_b64 v[19:20], v22, v[19:20]
; %bb.19859:                            ;   in Loop: Header=BB6_19750 Depth=3
	s_andn2_saveexec_b64 s[40:41], s[40:41]
; %bb.19860:                            ;   in Loop: Header=BB6_19750 Depth=3
	v_bfe_u32 v21, v19, 23, 1
; %bb.19861:                            ;   in Loop: Header=BB6_19750 Depth=3
	s_or_b64 exec, exec, s[40:41]
	v_lshrrev_b64 v[19:20], 20, v[19:20]
	v_cmp_gt_i32_e32 vcc, 16, v21
	v_cndmask_b32_e32 v20, 0, v20, vcc
	v_cndmask_b32_e32 v19, 7, v19, vcc
	v_cmp_eq_u64_e64 s[40:41], 0, v[19:20]
	v_min_i32_e32 v20, 15, v21
	v_lshlrev_b32_e32 v20, 3, v20
	v_cmp_eq_u32_e32 vcc, 0, v21
	v_and_b32_e32 v20, 0xf8, v20
	v_and_or_b32 v19, v19, 7, v20
	s_and_b64 s[40:41], vcc, s[40:41]
	v_cndmask_b32_e64 v19, v19, 0, s[40:41]
	v_or_b32_e32 v22, v19, v23
.LBB6_19862:                            ;   in Loop: Header=BB6_19750 Depth=3
	s_or_b64 exec, exec, s[48:49]
                                        ; implicit-def: $vgpr23
.LBB6_19863:                            ;   in Loop: Header=BB6_19750 Depth=3
	s_andn2_saveexec_b64 s[40:41], s[38:39]
; %bb.19864:                            ;   in Loop: Header=BB6_19750 Depth=3
	v_or_b32_e32 v22, 0x7e, v23
; %bb.19865:                            ;   in Loop: Header=BB6_19750 Depth=3
	s_or_b64 exec, exec, s[40:41]
                                        ; implicit-def: $vgpr19
.LBB6_19866:                            ;   in Loop: Header=BB6_19750 Depth=3
	s_andn2_saveexec_b64 s[40:41], s[36:37]
; %bb.19867:                            ;   in Loop: Header=BB6_19750 Depth=3
	v_or_b32_sdwa v22, v19, s86 dst_sel:DWORD dst_unused:UNUSED_PAD src0_sel:BYTE_3 src1_sel:DWORD
; %bb.19868:                            ;   in Loop: Header=BB6_19750 Depth=3
	s_or_b64 exec, exec, s[40:41]
	v_lshrrev_b16_e32 v19, 8, v18
	v_cmp_ne_u16_e32 vcc, 0, v19
	v_mov_b32_e32 v20, 0
	s_and_saveexec_b64 s[40:41], vcc
	s_cbranch_execz .LBB6_19874
; %bb.19869:                            ;   in Loop: Header=BB6_19750 Depth=3
	v_cmp_ne_u16_e32 vcc, s96, v19
	v_bfrev_b32_e32 v20, 1
	s_and_saveexec_b64 s[36:37], vcc
	s_cbranch_execz .LBB6_19873
; %bb.19870:                            ;   in Loop: Header=BB6_19750 Depth=3
	v_and_b32_e32 v21, 0x7f, v19
	v_cmp_ne_u32_e32 vcc, s86, v21
	v_mov_b32_e32 v20, 0x7f800001
	s_and_saveexec_b64 s[38:39], vcc
	s_cbranch_execz .LBB6_19872
; %bb.19871:                            ;   in Loop: Header=BB6_19750 Depth=3
	v_and_b32_e32 v23, 7, v19
	v_ffbh_u32_e32 v20, v23
	v_lshrrev_b32_e32 v25, 3, v21
	v_cmp_gt_u32_e32 vcc, 8, v21
	v_min_u32_e32 v21, 32, v20
	v_subrev_u32_e32 v20, 28, v21
	v_lshlrev_b64 v[19:20], v20, v[19:20]
	v_sub_u32_e32 v20, 29, v21
	v_and_b32_e32 v19, 7, v19
	v_cndmask_b32_e32 v20, v25, v20, vcc
	v_cndmask_b32_e32 v19, v23, v19, vcc
	v_lshlrev_b32_e32 v18, 16, v18
	v_bfrev_b32_e32 v21, 60
	v_lshlrev_b32_e32 v19, 20, v19
	v_and_b32_e32 v18, 0x80000000, v18
	v_lshl_add_u32 v20, v20, 23, v21
	v_or3_b32 v20, v18, v20, v19
.LBB6_19872:                            ;   in Loop: Header=BB6_19750 Depth=3
	s_or_b64 exec, exec, s[38:39]
.LBB6_19873:                            ;   in Loop: Header=BB6_19750 Depth=3
	s_or_b64 exec, exec, s[36:37]
.LBB6_19874:                            ;   in Loop: Header=BB6_19750 Depth=3
	s_or_b64 exec, exec, s[40:41]
	v_mul_f32_e32 v18, v24, v20
	v_and_b32_e32 v19, 0x7f800000, v18
	v_mov_b32_e32 v20, v51
	v_cmp_ne_u64_e32 vcc, s[76:77], v[19:20]
                                        ; implicit-def: $vgpr33
	s_and_saveexec_b64 s[40:41], vcc
	s_xor_b64 s[36:37], exec, s[40:41]
	s_cbranch_execz .LBB6_19888
; %bb.19875:                            ;   in Loop: Header=BB6_19750 Depth=3
	v_and_b32_e32 v19, 0x7fffffff, v18
	v_mov_b32_e32 v20, v51
	v_cmp_gt_u64_e32 vcc, s[78:79], v[19:20]
	v_and_b32_sdwa v21, v18, s96 dst_sel:DWORD dst_unused:UNUSED_PAD src0_sel:BYTE_3 src1_sel:DWORD
                                        ; implicit-def: $vgpr33
	s_and_saveexec_b64 s[40:41], vcc
	s_xor_b64 s[38:39], exec, s[40:41]
	s_cbranch_execz .LBB6_19885
; %bb.19876:                            ;   in Loop: Header=BB6_19750 Depth=3
	v_mov_b32_e32 v33, 0
	v_cmp_ne_u32_e32 vcc, 0, v18
	s_and_saveexec_b64 s[48:49], vcc
	s_cbranch_execz .LBB6_19884
; %bb.19877:                            ;   in Loop: Header=BB6_19750 Depth=3
	v_bfe_u32 v23, v18, 23, 8
	v_and_b32_e32 v19, 0x7fffff, v18
	v_cmp_gt_u32_e64 s[40:41], s97, v23
	v_sub_u32_e32 v18, 0x79, v23
	v_cmp_eq_u32_e32 vcc, 0, v23
	v_cndmask_b32_e64 v18, 0, v18, s[40:41]
	v_mov_b32_e32 v25, 0x78
	v_or_b32_e32 v20, 0x800000, v19
	v_cndmask_b32_e32 v25, v18, v25, vcc
	v_cndmask_b32_e32 v18, v20, v19, vcc
	v_add_u32_e32 v20, 20, v25
	v_lshlrev_b64 v[28:29], v20, -1
	v_mov_b32_e32 v19, v51
	v_add_u32_e32 v20, 19, v25
	v_bfi_b32 v28, v28, 0, v18
	v_lshlrev_b64 v[31:32], v20, 1
	v_lshrrev_b64 v[18:19], v25, v[18:19]
	v_bfi_b32 v29, v29, 0, 0
	v_cmp_eq_u64_e64 s[40:41], v[28:29], v[31:32]
	v_mov_b32_e32 v20, v19
	v_mov_b32_e32 v19, v18
	s_and_saveexec_b64 s[50:51], s[40:41]
; %bb.19878:                            ;   in Loop: Header=BB6_19750 Depth=3
	v_bfe_u32 v19, v18, 20, 1
	v_add_co_u32_e64 v19, s[40:41], v18, v19
	v_add_co_u32_e64 v19, s[40:41], -1, v19
; %bb.19879:                            ;   in Loop: Header=BB6_19750 Depth=3
	s_or_b64 exec, exec, s[50:51]
	v_add_u32_e32 v20, 0xffffff81, v23
	v_mov_b32_e32 v23, 0xffffff82
	v_cndmask_b32_e32 v20, v20, v23, vcc
	v_lshrrev_b32_e32 v23, 23, v18
	v_add3_u32 v25, v25, v20, v23
	v_add_u32_e32 v23, 6, v25
	v_and_b32_e32 v19, 0xfffff, v19
	v_add_u32_e32 v18, v19, v18
	v_mov_b32_e32 v19, v51
	v_cmp_ne_u32_e32 vcc, 0, v23
                                        ; implicit-def: $vgpr20
	s_and_saveexec_b64 s[40:41], vcc
	s_xor_b64 s[40:41], exec, s[40:41]
; %bb.19880:                            ;   in Loop: Header=BB6_19750 Depth=3
	v_cmp_lt_u64_e32 vcc, s[88:89], v[18:19]
	v_add_u32_e32 v20, 7, v25
	v_cndmask_b32_e32 v20, v23, v20, vcc
	v_cndmask_b32_e64 v23, 0, 1, vcc
	v_lshrrev_b64 v[18:19], v23, v[18:19]
; %bb.19881:                            ;   in Loop: Header=BB6_19750 Depth=3
	s_andn2_saveexec_b64 s[40:41], s[40:41]
; %bb.19882:                            ;   in Loop: Header=BB6_19750 Depth=3
	v_bfe_u32 v20, v18, 23, 1
; %bb.19883:                            ;   in Loop: Header=BB6_19750 Depth=3
	s_or_b64 exec, exec, s[40:41]
	v_lshrrev_b64 v[18:19], 20, v[18:19]
	v_cmp_gt_i32_e32 vcc, 16, v20
	v_cndmask_b32_e32 v19, 0, v19, vcc
	v_cndmask_b32_e32 v18, 7, v18, vcc
	v_cmp_eq_u64_e64 s[40:41], 0, v[18:19]
	v_min_i32_e32 v19, 15, v20
	v_lshlrev_b32_e32 v19, 3, v19
	v_cmp_eq_u32_e32 vcc, 0, v20
	v_and_b32_e32 v19, 0xf8, v19
	v_and_or_b32 v18, v18, 7, v19
	s_and_b64 s[40:41], vcc, s[40:41]
	v_cndmask_b32_e64 v18, v18, 0, s[40:41]
	v_or_b32_e32 v33, v18, v21
.LBB6_19884:                            ;   in Loop: Header=BB6_19750 Depth=3
	s_or_b64 exec, exec, s[48:49]
                                        ; implicit-def: $vgpr21
.LBB6_19885:                            ;   in Loop: Header=BB6_19750 Depth=3
	s_andn2_saveexec_b64 s[40:41], s[38:39]
; %bb.19886:                            ;   in Loop: Header=BB6_19750 Depth=3
	v_or_b32_e32 v33, 0x7e, v21
; %bb.19887:                            ;   in Loop: Header=BB6_19750 Depth=3
	s_or_b64 exec, exec, s[40:41]
                                        ; implicit-def: $vgpr18
.LBB6_19888:                            ;   in Loop: Header=BB6_19750 Depth=3
	s_andn2_saveexec_b64 s[40:41], s[36:37]
; %bb.19889:                            ;   in Loop: Header=BB6_19750 Depth=3
	v_or_b32_sdwa v33, v18, s86 dst_sel:DWORD dst_unused:UNUSED_PAD src0_sel:BYTE_3 src1_sel:DWORD
; %bb.19890:                            ;   in Loop: Header=BB6_19750 Depth=3
	s_or_b64 exec, exec, s[40:41]
	v_lshrrev_b32_e32 v18, 16, v9
	v_cmp_ne_u16_sdwa vcc, v18, v51 src0_sel:BYTE_0 src1_sel:DWORD
	v_mov_b32_e32 v19, 0
	s_and_saveexec_b64 s[40:41], vcc
	s_cbranch_execz .LBB6_19896
; %bb.19891:                            ;   in Loop: Header=BB6_19750 Depth=3
	v_cmp_ne_u16_sdwa vcc, v18, s96 src0_sel:BYTE_0 src1_sel:DWORD
	v_bfrev_b32_e32 v19, 1
	s_and_saveexec_b64 s[36:37], vcc
	s_cbranch_execz .LBB6_19895
; %bb.19892:                            ;   in Loop: Header=BB6_19750 Depth=3
	v_bfe_u32 v20, v9, 16, 7
	v_cmp_ne_u32_e32 vcc, s86, v20
	v_mov_b32_e32 v19, 0x7f800001
	s_and_saveexec_b64 s[38:39], vcc
	s_cbranch_execz .LBB6_19894
; %bb.19893:                            ;   in Loop: Header=BB6_19750 Depth=3
	v_and_b32_e32 v21, 7, v18
	v_ffbh_u32_e32 v19, v21
	v_min_u32_e32 v25, 32, v19
	v_subrev_u32_e32 v19, 28, v25
	v_lshrrev_b32_e32 v23, 3, v20
	v_cmp_gt_u32_e32 vcc, 8, v20
	v_lshlrev_b64 v[19:20], v19, v[18:19]
	v_sub_u32_e32 v20, 29, v25
	v_and_b32_e32 v19, 7, v19
	v_cndmask_b32_e32 v20, v23, v20, vcc
	v_cndmask_b32_e32 v19, v21, v19, vcc
	v_lshlrev_b32_e32 v18, 24, v18
	v_bfrev_b32_e32 v21, 60
	v_lshlrev_b32_e32 v19, 20, v19
	v_and_b32_e32 v18, 0x80000000, v18
	v_lshl_add_u32 v20, v20, 23, v21
	v_or3_b32 v19, v18, v20, v19
.LBB6_19894:                            ;   in Loop: Header=BB6_19750 Depth=3
	s_or_b64 exec, exec, s[38:39]
.LBB6_19895:                            ;   in Loop: Header=BB6_19750 Depth=3
	s_or_b64 exec, exec, s[36:37]
.LBB6_19896:                            ;   in Loop: Header=BB6_19750 Depth=3
	s_or_b64 exec, exec, s[40:41]
	v_mul_f32_e32 v18, v24, v19
	v_and_b32_e32 v19, 0x7f800000, v18
	v_mov_b32_e32 v20, v51
	v_cmp_ne_u64_e32 vcc, s[76:77], v[19:20]
                                        ; implicit-def: $vgpr35
	s_and_saveexec_b64 s[40:41], vcc
	s_xor_b64 s[36:37], exec, s[40:41]
	s_cbranch_execz .LBB6_19910
; %bb.19897:                            ;   in Loop: Header=BB6_19750 Depth=3
	v_and_b32_e32 v19, 0x7fffffff, v18
	v_mov_b32_e32 v20, v51
	v_cmp_gt_u64_e32 vcc, s[78:79], v[19:20]
	v_and_b32_sdwa v21, v18, s96 dst_sel:DWORD dst_unused:UNUSED_PAD src0_sel:BYTE_3 src1_sel:DWORD
                                        ; implicit-def: $vgpr35
	s_and_saveexec_b64 s[40:41], vcc
	s_xor_b64 s[38:39], exec, s[40:41]
	s_cbranch_execz .LBB6_19907
; %bb.19898:                            ;   in Loop: Header=BB6_19750 Depth=3
	v_mov_b32_e32 v35, 0
	v_cmp_ne_u32_e32 vcc, 0, v18
	s_and_saveexec_b64 s[48:49], vcc
	s_cbranch_execz .LBB6_19906
; %bb.19899:                            ;   in Loop: Header=BB6_19750 Depth=3
	v_bfe_u32 v23, v18, 23, 8
	v_and_b32_e32 v19, 0x7fffff, v18
	v_cmp_gt_u32_e64 s[40:41], s97, v23
	v_sub_u32_e32 v18, 0x79, v23
	v_cmp_eq_u32_e32 vcc, 0, v23
	v_cndmask_b32_e64 v18, 0, v18, s[40:41]
	v_mov_b32_e32 v25, 0x78
	v_or_b32_e32 v20, 0x800000, v19
	v_cndmask_b32_e32 v25, v18, v25, vcc
	v_cndmask_b32_e32 v18, v20, v19, vcc
	v_add_u32_e32 v20, 20, v25
	v_lshlrev_b64 v[28:29], v20, -1
	v_mov_b32_e32 v19, v51
	v_add_u32_e32 v20, 19, v25
	v_bfi_b32 v28, v28, 0, v18
	v_lshlrev_b64 v[31:32], v20, 1
	v_lshrrev_b64 v[18:19], v25, v[18:19]
	v_bfi_b32 v29, v29, 0, 0
	v_cmp_eq_u64_e64 s[40:41], v[28:29], v[31:32]
	v_mov_b32_e32 v20, v19
	v_mov_b32_e32 v19, v18
	s_and_saveexec_b64 s[50:51], s[40:41]
; %bb.19900:                            ;   in Loop: Header=BB6_19750 Depth=3
	v_bfe_u32 v19, v18, 20, 1
	v_add_co_u32_e64 v19, s[40:41], v18, v19
	v_add_co_u32_e64 v19, s[40:41], -1, v19
; %bb.19901:                            ;   in Loop: Header=BB6_19750 Depth=3
	s_or_b64 exec, exec, s[50:51]
	v_add_u32_e32 v20, 0xffffff81, v23
	v_mov_b32_e32 v23, 0xffffff82
	v_cndmask_b32_e32 v20, v20, v23, vcc
	v_lshrrev_b32_e32 v23, 23, v18
	v_add3_u32 v25, v25, v20, v23
	v_add_u32_e32 v23, 6, v25
	v_and_b32_e32 v19, 0xfffff, v19
	v_add_u32_e32 v18, v19, v18
	v_mov_b32_e32 v19, v51
	v_cmp_ne_u32_e32 vcc, 0, v23
                                        ; implicit-def: $vgpr20
	s_and_saveexec_b64 s[40:41], vcc
	s_xor_b64 s[40:41], exec, s[40:41]
; %bb.19902:                            ;   in Loop: Header=BB6_19750 Depth=3
	v_cmp_lt_u64_e32 vcc, s[88:89], v[18:19]
	v_add_u32_e32 v20, 7, v25
	v_cndmask_b32_e32 v20, v23, v20, vcc
	v_cndmask_b32_e64 v23, 0, 1, vcc
	v_lshrrev_b64 v[18:19], v23, v[18:19]
; %bb.19903:                            ;   in Loop: Header=BB6_19750 Depth=3
	s_andn2_saveexec_b64 s[40:41], s[40:41]
; %bb.19904:                            ;   in Loop: Header=BB6_19750 Depth=3
	v_bfe_u32 v20, v18, 23, 1
; %bb.19905:                            ;   in Loop: Header=BB6_19750 Depth=3
	s_or_b64 exec, exec, s[40:41]
	v_lshrrev_b64 v[18:19], 20, v[18:19]
	v_cmp_gt_i32_e32 vcc, 16, v20
	v_cndmask_b32_e32 v19, 0, v19, vcc
	v_cndmask_b32_e32 v18, 7, v18, vcc
	v_cmp_eq_u64_e64 s[40:41], 0, v[18:19]
	v_min_i32_e32 v19, 15, v20
	v_lshlrev_b32_e32 v19, 3, v19
	v_cmp_eq_u32_e32 vcc, 0, v20
	v_and_b32_e32 v19, 0xf8, v19
	v_and_or_b32 v18, v18, 7, v19
	s_and_b64 s[40:41], vcc, s[40:41]
	v_cndmask_b32_e64 v18, v18, 0, s[40:41]
	v_or_b32_e32 v35, v18, v21
.LBB6_19906:                            ;   in Loop: Header=BB6_19750 Depth=3
	s_or_b64 exec, exec, s[48:49]
                                        ; implicit-def: $vgpr21
.LBB6_19907:                            ;   in Loop: Header=BB6_19750 Depth=3
	s_andn2_saveexec_b64 s[40:41], s[38:39]
; %bb.19908:                            ;   in Loop: Header=BB6_19750 Depth=3
	v_or_b32_e32 v35, 0x7e, v21
; %bb.19909:                            ;   in Loop: Header=BB6_19750 Depth=3
	s_or_b64 exec, exec, s[40:41]
                                        ; implicit-def: $vgpr18
.LBB6_19910:                            ;   in Loop: Header=BB6_19750 Depth=3
	s_andn2_saveexec_b64 s[40:41], s[36:37]
; %bb.19911:                            ;   in Loop: Header=BB6_19750 Depth=3
	v_or_b32_sdwa v35, v18, s86 dst_sel:DWORD dst_unused:UNUSED_PAD src0_sel:BYTE_3 src1_sel:DWORD
; %bb.19912:                            ;   in Loop: Header=BB6_19750 Depth=3
	s_or_b64 exec, exec, s[40:41]
	v_cmp_lt_u64_e32 vcc, s[56:57], v[8:9]
	v_mov_b32_e32 v18, 0
	s_and_saveexec_b64 s[40:41], vcc
	s_cbranch_execz .LBB6_19918
; %bb.19913:                            ;   in Loop: Header=BB6_19750 Depth=3
	v_lshrrev_b32_e32 v8, 24, v9
	v_cmp_ne_u32_e32 vcc, s96, v8
	v_bfrev_b32_e32 v18, 1
	s_and_saveexec_b64 s[36:37], vcc
	s_cbranch_execz .LBB6_19917
; %bb.19914:                            ;   in Loop: Header=BB6_19750 Depth=3
	v_bfe_u32 v9, v9, 24, 7
	v_cmp_ne_u32_e32 vcc, s86, v9
	v_mov_b32_e32 v18, 0x7f800001
	s_and_saveexec_b64 s[38:39], vcc
	s_cbranch_execz .LBB6_19916
; %bb.19915:                            ;   in Loop: Header=BB6_19750 Depth=3
	v_and_b32_e32 v20, 7, v8
	v_lshrrev_b32_e32 v21, 3, v9
	v_cmp_gt_u32_e32 vcc, 8, v9
	v_ffbh_u32_e32 v9, v20
	v_min_u32_e32 v9, 32, v9
	v_subrev_u32_e32 v18, 28, v9
	v_lshlrev_b64 v[18:19], v18, v[8:9]
	v_sub_u32_e32 v9, 29, v9
	v_and_b32_e32 v18, 7, v18
	v_cndmask_b32_e32 v9, v21, v9, vcc
	v_cndmask_b32_e32 v18, v20, v18, vcc
	v_lshlrev_b32_e32 v8, 24, v8
	v_bfrev_b32_e32 v19, 60
	v_lshlrev_b32_e32 v18, 20, v18
	v_and_b32_e32 v8, 0x80000000, v8
	v_lshl_add_u32 v9, v9, 23, v19
	v_or3_b32 v18, v8, v9, v18
.LBB6_19916:                            ;   in Loop: Header=BB6_19750 Depth=3
	s_or_b64 exec, exec, s[38:39]
.LBB6_19917:                            ;   in Loop: Header=BB6_19750 Depth=3
	s_or_b64 exec, exec, s[36:37]
.LBB6_19918:                            ;   in Loop: Header=BB6_19750 Depth=3
	s_or_b64 exec, exec, s[40:41]
	v_mul_f32_e32 v8, v24, v18
	v_and_b32_e32 v18, 0x7f800000, v8
	v_mov_b32_e32 v19, v51
	v_cmp_ne_u64_e32 vcc, s[76:77], v[18:19]
                                        ; implicit-def: $vgpr36
	s_and_saveexec_b64 s[40:41], vcc
	s_xor_b64 s[36:37], exec, s[40:41]
	s_cbranch_execz .LBB6_19932
; %bb.19919:                            ;   in Loop: Header=BB6_19750 Depth=3
	v_and_b32_e32 v18, 0x7fffffff, v8
	v_mov_b32_e32 v19, v51
	v_cmp_gt_u64_e32 vcc, s[78:79], v[18:19]
	v_and_b32_sdwa v20, v8, s96 dst_sel:DWORD dst_unused:UNUSED_PAD src0_sel:BYTE_3 src1_sel:DWORD
                                        ; implicit-def: $vgpr36
	s_and_saveexec_b64 s[40:41], vcc
	s_xor_b64 s[38:39], exec, s[40:41]
	s_cbranch_execz .LBB6_19929
; %bb.19920:                            ;   in Loop: Header=BB6_19750 Depth=3
	v_mov_b32_e32 v36, 0
	v_cmp_ne_u32_e32 vcc, 0, v8
	s_and_saveexec_b64 s[48:49], vcc
	s_cbranch_execz .LBB6_19928
; %bb.19921:                            ;   in Loop: Header=BB6_19750 Depth=3
	v_bfe_u32 v21, v8, 23, 8
	v_and_b32_e32 v9, 0x7fffff, v8
	v_cmp_gt_u32_e64 s[40:41], s97, v21
	v_sub_u32_e32 v8, 0x79, v21
	v_cmp_eq_u32_e32 vcc, 0, v21
	v_cndmask_b32_e64 v8, 0, v8, s[40:41]
	v_mov_b32_e32 v19, 0x78
	v_or_b32_e32 v18, 0x800000, v9
	v_cndmask_b32_e32 v23, v8, v19, vcc
	v_cndmask_b32_e32 v8, v18, v9, vcc
	v_add_u32_e32 v18, 20, v23
	v_lshlrev_b64 v[18:19], v18, -1
	v_mov_b32_e32 v9, v51
	v_add_u32_e32 v25, 19, v23
	v_bfi_b32 v18, v18, 0, v8
	v_lshlrev_b64 v[25:26], v25, 1
	v_lshrrev_b64 v[8:9], v23, v[8:9]
	v_bfi_b32 v19, v19, 0, 0
	v_cmp_eq_u64_e64 s[40:41], v[18:19], v[25:26]
	v_mov_b32_e32 v19, v9
	v_mov_b32_e32 v18, v8
	s_and_saveexec_b64 s[50:51], s[40:41]
; %bb.19922:                            ;   in Loop: Header=BB6_19750 Depth=3
	v_bfe_u32 v9, v8, 20, 1
	v_add_co_u32_e64 v9, s[40:41], v8, v9
	v_add_co_u32_e64 v18, s[40:41], -1, v9
; %bb.19923:                            ;   in Loop: Header=BB6_19750 Depth=3
	s_or_b64 exec, exec, s[50:51]
	v_add_u32_e32 v9, 0xffffff81, v21
	v_mov_b32_e32 v19, 0xffffff82
	v_cndmask_b32_e32 v9, v9, v19, vcc
	v_lshrrev_b32_e32 v19, 23, v8
	v_add3_u32 v21, v23, v9, v19
	v_add_u32_e32 v19, 6, v21
	v_and_b32_e32 v9, 0xfffff, v18
	v_add_u32_e32 v8, v9, v8
	v_mov_b32_e32 v9, v51
	v_cmp_ne_u32_e32 vcc, 0, v19
                                        ; implicit-def: $vgpr18
	s_and_saveexec_b64 s[40:41], vcc
	s_xor_b64 s[40:41], exec, s[40:41]
; %bb.19924:                            ;   in Loop: Header=BB6_19750 Depth=3
	v_cmp_lt_u64_e32 vcc, s[88:89], v[8:9]
	v_add_u32_e32 v18, 7, v21
	v_cndmask_b32_e32 v18, v19, v18, vcc
	v_cndmask_b32_e64 v19, 0, 1, vcc
	v_lshrrev_b64 v[8:9], v19, v[8:9]
; %bb.19925:                            ;   in Loop: Header=BB6_19750 Depth=3
	s_andn2_saveexec_b64 s[40:41], s[40:41]
; %bb.19926:                            ;   in Loop: Header=BB6_19750 Depth=3
	v_bfe_u32 v18, v8, 23, 1
; %bb.19927:                            ;   in Loop: Header=BB6_19750 Depth=3
	s_or_b64 exec, exec, s[40:41]
	v_lshrrev_b64 v[8:9], 20, v[8:9]
	v_cmp_gt_i32_e32 vcc, 16, v18
	v_cndmask_b32_e32 v9, 0, v9, vcc
	v_cndmask_b32_e32 v8, 7, v8, vcc
	v_cmp_eq_u64_e64 s[40:41], 0, v[8:9]
	v_min_i32_e32 v9, 15, v18
	v_lshlrev_b32_e32 v9, 3, v9
	v_cmp_eq_u32_e32 vcc, 0, v18
	v_and_b32_e32 v9, 0xf8, v9
	v_and_or_b32 v8, v8, 7, v9
	s_and_b64 s[40:41], vcc, s[40:41]
	v_cndmask_b32_e64 v8, v8, 0, s[40:41]
	v_or_b32_e32 v36, v8, v20
.LBB6_19928:                            ;   in Loop: Header=BB6_19750 Depth=3
	s_or_b64 exec, exec, s[48:49]
                                        ; implicit-def: $vgpr20
.LBB6_19929:                            ;   in Loop: Header=BB6_19750 Depth=3
	s_andn2_saveexec_b64 s[40:41], s[38:39]
; %bb.19930:                            ;   in Loop: Header=BB6_19750 Depth=3
	v_or_b32_e32 v36, 0x7e, v20
; %bb.19931:                            ;   in Loop: Header=BB6_19750 Depth=3
	s_or_b64 exec, exec, s[40:41]
                                        ; implicit-def: $vgpr8
.LBB6_19932:                            ;   in Loop: Header=BB6_19750 Depth=3
	s_andn2_saveexec_b64 s[40:41], s[36:37]
; %bb.19933:                            ;   in Loop: Header=BB6_19750 Depth=3
	v_or_b32_sdwa v36, v8, s86 dst_sel:DWORD dst_unused:UNUSED_PAD src0_sel:BYTE_3 src1_sel:DWORD
; %bb.19934:                            ;   in Loop: Header=BB6_19750 Depth=3
	s_or_b64 exec, exec, s[40:41]
	v_cmp_ne_u16_sdwa vcc, v10, v51 src0_sel:BYTE_0 src1_sel:DWORD
	v_mov_b32_e32 v8, 0
	s_and_saveexec_b64 s[40:41], vcc
	s_cbranch_execz .LBB6_19940
; %bb.19935:                            ;   in Loop: Header=BB6_19750 Depth=3
	v_cmp_ne_u16_sdwa vcc, v10, s96 src0_sel:BYTE_0 src1_sel:DWORD
	v_bfrev_b32_e32 v8, 1
	s_and_saveexec_b64 s[36:37], vcc
	s_cbranch_execz .LBB6_19939
; %bb.19936:                            ;   in Loop: Header=BB6_19750 Depth=3
	v_and_b32_e32 v9, 0x7f, v10
	v_cmp_ne_u32_e32 vcc, s86, v9
	v_mov_b32_e32 v8, 0x7f800001
	s_and_saveexec_b64 s[38:39], vcc
	s_cbranch_execz .LBB6_19938
; %bb.19937:                            ;   in Loop: Header=BB6_19750 Depth=3
	v_and_b32_e32 v8, 7, v10
	v_ffbh_u32_e32 v8, v8
	v_min_u32_e32 v8, 32, v8
	v_lshrrev_b32_e32 v18, 3, v9
	v_cmp_gt_u32_e32 vcc, 8, v9
	v_subrev_u32_e32 v9, 28, v8
	v_sub_u32_e32 v8, 29, v8
	v_cndmask_b32_e32 v18, v18, v8, vcc
	v_cndmask_b32_e32 v8, 0, v9, vcc
	v_lshlrev_b64 v[8:9], v8, v[10:11]
	v_lshlrev_b32_e32 v9, 24, v10
	v_lshlrev_b32_e32 v8, 20, v8
	v_bfrev_b32_e32 v19, 60
	v_and_b32_e32 v8, 0x700000, v8
	v_and_b32_e32 v9, 0x80000000, v9
	v_lshl_add_u32 v18, v18, 23, v19
	v_or3_b32 v8, v9, v18, v8
.LBB6_19938:                            ;   in Loop: Header=BB6_19750 Depth=3
	s_or_b64 exec, exec, s[38:39]
.LBB6_19939:                            ;   in Loop: Header=BB6_19750 Depth=3
	s_or_b64 exec, exec, s[36:37]
.LBB6_19940:                            ;   in Loop: Header=BB6_19750 Depth=3
	s_or_b64 exec, exec, s[40:41]
	v_mul_f32_e32 v8, v24, v8
	v_and_b32_e32 v18, 0x7f800000, v8
	v_mov_b32_e32 v19, v51
	v_cmp_ne_u64_e32 vcc, s[76:77], v[18:19]
                                        ; implicit-def: $vgpr25
	s_and_saveexec_b64 s[40:41], vcc
	s_xor_b64 s[36:37], exec, s[40:41]
	s_cbranch_execz .LBB6_19954
; %bb.19941:                            ;   in Loop: Header=BB6_19750 Depth=3
	v_and_b32_e32 v18, 0x7fffffff, v8
	v_mov_b32_e32 v19, v51
	v_cmp_gt_u64_e32 vcc, s[78:79], v[18:19]
	v_and_b32_sdwa v20, v8, s96 dst_sel:DWORD dst_unused:UNUSED_PAD src0_sel:BYTE_3 src1_sel:DWORD
                                        ; implicit-def: $vgpr25
	s_and_saveexec_b64 s[40:41], vcc
	s_xor_b64 s[38:39], exec, s[40:41]
	s_cbranch_execz .LBB6_19951
; %bb.19942:                            ;   in Loop: Header=BB6_19750 Depth=3
	v_mov_b32_e32 v25, 0
	v_cmp_ne_u32_e32 vcc, 0, v8
	s_and_saveexec_b64 s[48:49], vcc
	s_cbranch_execz .LBB6_19950
; %bb.19943:                            ;   in Loop: Header=BB6_19750 Depth=3
	v_bfe_u32 v21, v8, 23, 8
	v_and_b32_e32 v9, 0x7fffff, v8
	v_cmp_gt_u32_e64 s[40:41], s97, v21
	v_sub_u32_e32 v8, 0x79, v21
	v_cmp_eq_u32_e32 vcc, 0, v21
	v_cndmask_b32_e64 v8, 0, v8, s[40:41]
	v_mov_b32_e32 v19, 0x78
	v_or_b32_e32 v18, 0x800000, v9
	v_cndmask_b32_e32 v23, v8, v19, vcc
	v_cndmask_b32_e32 v8, v18, v9, vcc
	v_add_u32_e32 v18, 20, v23
	v_lshlrev_b64 v[18:19], v18, -1
	v_mov_b32_e32 v9, v51
	v_add_u32_e32 v25, 19, v23
	v_bfi_b32 v18, v18, 0, v8
	v_lshlrev_b64 v[25:26], v25, 1
	v_lshrrev_b64 v[8:9], v23, v[8:9]
	v_bfi_b32 v19, v19, 0, 0
	v_cmp_eq_u64_e64 s[40:41], v[18:19], v[25:26]
	v_mov_b32_e32 v19, v9
	v_mov_b32_e32 v18, v8
	s_and_saveexec_b64 s[50:51], s[40:41]
; %bb.19944:                            ;   in Loop: Header=BB6_19750 Depth=3
	v_bfe_u32 v9, v8, 20, 1
	v_add_co_u32_e64 v9, s[40:41], v8, v9
	v_add_co_u32_e64 v18, s[40:41], -1, v9
; %bb.19945:                            ;   in Loop: Header=BB6_19750 Depth=3
	s_or_b64 exec, exec, s[50:51]
	v_add_u32_e32 v9, 0xffffff81, v21
	v_mov_b32_e32 v19, 0xffffff82
	v_cndmask_b32_e32 v9, v9, v19, vcc
	v_lshrrev_b32_e32 v19, 23, v8
	v_add3_u32 v21, v23, v9, v19
	v_add_u32_e32 v19, 6, v21
	v_and_b32_e32 v9, 0xfffff, v18
	v_add_u32_e32 v8, v9, v8
	v_mov_b32_e32 v9, v51
	v_cmp_ne_u32_e32 vcc, 0, v19
                                        ; implicit-def: $vgpr18
	s_and_saveexec_b64 s[40:41], vcc
	s_xor_b64 s[40:41], exec, s[40:41]
; %bb.19946:                            ;   in Loop: Header=BB6_19750 Depth=3
	v_cmp_lt_u64_e32 vcc, s[88:89], v[8:9]
	v_add_u32_e32 v18, 7, v21
	v_cndmask_b32_e32 v18, v19, v18, vcc
	v_cndmask_b32_e64 v19, 0, 1, vcc
	v_lshrrev_b64 v[8:9], v19, v[8:9]
; %bb.19947:                            ;   in Loop: Header=BB6_19750 Depth=3
	s_andn2_saveexec_b64 s[40:41], s[40:41]
; %bb.19948:                            ;   in Loop: Header=BB6_19750 Depth=3
	v_bfe_u32 v18, v8, 23, 1
; %bb.19949:                            ;   in Loop: Header=BB6_19750 Depth=3
	s_or_b64 exec, exec, s[40:41]
	v_lshrrev_b64 v[8:9], 20, v[8:9]
	v_cmp_gt_i32_e32 vcc, 16, v18
	v_cndmask_b32_e32 v9, 0, v9, vcc
	v_cndmask_b32_e32 v8, 7, v8, vcc
	v_cmp_eq_u64_e64 s[40:41], 0, v[8:9]
	v_min_i32_e32 v9, 15, v18
	v_lshlrev_b32_e32 v9, 3, v9
	v_cmp_eq_u32_e32 vcc, 0, v18
	v_and_b32_e32 v9, 0xf8, v9
	v_and_or_b32 v8, v8, 7, v9
	s_and_b64 s[40:41], vcc, s[40:41]
	v_cndmask_b32_e64 v8, v8, 0, s[40:41]
	v_or_b32_e32 v25, v8, v20
.LBB6_19950:                            ;   in Loop: Header=BB6_19750 Depth=3
	s_or_b64 exec, exec, s[48:49]
                                        ; implicit-def: $vgpr20
.LBB6_19951:                            ;   in Loop: Header=BB6_19750 Depth=3
	s_andn2_saveexec_b64 s[40:41], s[38:39]
; %bb.19952:                            ;   in Loop: Header=BB6_19750 Depth=3
	v_or_b32_e32 v25, 0x7e, v20
; %bb.19953:                            ;   in Loop: Header=BB6_19750 Depth=3
	s_or_b64 exec, exec, s[40:41]
                                        ; implicit-def: $vgpr8
.LBB6_19954:                            ;   in Loop: Header=BB6_19750 Depth=3
	s_andn2_saveexec_b64 s[40:41], s[36:37]
; %bb.19955:                            ;   in Loop: Header=BB6_19750 Depth=3
	v_or_b32_sdwa v25, v8, s86 dst_sel:DWORD dst_unused:UNUSED_PAD src0_sel:BYTE_3 src1_sel:DWORD
; %bb.19956:                            ;   in Loop: Header=BB6_19750 Depth=3
	s_or_b64 exec, exec, s[40:41]
	v_lshrrev_b16_e32 v8, 8, v10
	v_cmp_ne_u16_e32 vcc, 0, v8
	v_mov_b32_e32 v9, 0
	s_and_saveexec_b64 s[40:41], vcc
	s_cbranch_execz .LBB6_19962
; %bb.19957:                            ;   in Loop: Header=BB6_19750 Depth=3
	v_cmp_ne_u16_e32 vcc, s96, v8
	v_bfrev_b32_e32 v9, 1
	s_and_saveexec_b64 s[36:37], vcc
	s_cbranch_execz .LBB6_19961
; %bb.19958:                            ;   in Loop: Header=BB6_19750 Depth=3
	v_and_b32_e32 v18, 0x7f, v8
	v_cmp_ne_u32_e32 vcc, s86, v18
	v_mov_b32_e32 v9, 0x7f800001
	s_and_saveexec_b64 s[38:39], vcc
	s_cbranch_execz .LBB6_19960
; %bb.19959:                            ;   in Loop: Header=BB6_19750 Depth=3
	v_and_b32_e32 v19, 7, v8
	v_ffbh_u32_e32 v9, v19
	v_lshrrev_b32_e32 v20, 3, v18
	v_cmp_gt_u32_e32 vcc, 8, v18
	v_min_u32_e32 v18, 32, v9
	v_subrev_u32_e32 v9, 28, v18
	v_lshlrev_b64 v[8:9], v9, v[8:9]
	v_sub_u32_e32 v9, 29, v18
	v_and_b32_e32 v8, 7, v8
	v_cndmask_b32_e32 v9, v20, v9, vcc
	v_cndmask_b32_e32 v8, v19, v8, vcc
	v_lshlrev_b32_e32 v18, 16, v10
	v_bfrev_b32_e32 v19, 60
	v_lshlrev_b32_e32 v8, 20, v8
	v_and_b32_e32 v18, 0x80000000, v18
	v_lshl_add_u32 v9, v9, 23, v19
	v_or3_b32 v9, v18, v9, v8
.LBB6_19960:                            ;   in Loop: Header=BB6_19750 Depth=3
	s_or_b64 exec, exec, s[38:39]
.LBB6_19961:                            ;   in Loop: Header=BB6_19750 Depth=3
	s_or_b64 exec, exec, s[36:37]
.LBB6_19962:                            ;   in Loop: Header=BB6_19750 Depth=3
	s_or_b64 exec, exec, s[40:41]
	v_mul_f32_e32 v8, v24, v9
	v_and_b32_e32 v18, 0x7f800000, v8
	v_mov_b32_e32 v19, v51
	v_cmp_ne_u64_e32 vcc, s[76:77], v[18:19]
                                        ; implicit-def: $vgpr29
	s_and_saveexec_b64 s[40:41], vcc
	s_xor_b64 s[36:37], exec, s[40:41]
	s_cbranch_execz .LBB6_19976
; %bb.19963:                            ;   in Loop: Header=BB6_19750 Depth=3
	v_and_b32_e32 v18, 0x7fffffff, v8
	v_mov_b32_e32 v19, v51
	v_cmp_gt_u64_e32 vcc, s[78:79], v[18:19]
	v_and_b32_sdwa v20, v8, s96 dst_sel:DWORD dst_unused:UNUSED_PAD src0_sel:BYTE_3 src1_sel:DWORD
                                        ; implicit-def: $vgpr29
	s_and_saveexec_b64 s[40:41], vcc
	s_xor_b64 s[38:39], exec, s[40:41]
	s_cbranch_execz .LBB6_19973
; %bb.19964:                            ;   in Loop: Header=BB6_19750 Depth=3
	v_mov_b32_e32 v29, 0
	v_cmp_ne_u32_e32 vcc, 0, v8
	s_and_saveexec_b64 s[48:49], vcc
	s_cbranch_execz .LBB6_19972
; %bb.19965:                            ;   in Loop: Header=BB6_19750 Depth=3
	v_bfe_u32 v21, v8, 23, 8
	v_and_b32_e32 v9, 0x7fffff, v8
	v_cmp_gt_u32_e64 s[40:41], s97, v21
	v_sub_u32_e32 v8, 0x79, v21
	v_cmp_eq_u32_e32 vcc, 0, v21
	v_cndmask_b32_e64 v8, 0, v8, s[40:41]
	v_mov_b32_e32 v19, 0x78
	v_or_b32_e32 v18, 0x800000, v9
	v_cndmask_b32_e32 v23, v8, v19, vcc
	v_cndmask_b32_e32 v8, v18, v9, vcc
	v_add_u32_e32 v18, 20, v23
	v_lshlrev_b64 v[18:19], v18, -1
	v_mov_b32_e32 v9, v51
	v_add_u32_e32 v26, 19, v23
	v_bfi_b32 v18, v18, 0, v8
	v_lshlrev_b64 v[28:29], v26, 1
	v_lshrrev_b64 v[8:9], v23, v[8:9]
	v_bfi_b32 v19, v19, 0, 0
	v_cmp_eq_u64_e64 s[40:41], v[18:19], v[28:29]
	v_mov_b32_e32 v19, v9
	v_mov_b32_e32 v18, v8
	s_and_saveexec_b64 s[50:51], s[40:41]
; %bb.19966:                            ;   in Loop: Header=BB6_19750 Depth=3
	v_bfe_u32 v9, v8, 20, 1
	v_add_co_u32_e64 v9, s[40:41], v8, v9
	v_add_co_u32_e64 v18, s[40:41], -1, v9
; %bb.19967:                            ;   in Loop: Header=BB6_19750 Depth=3
	s_or_b64 exec, exec, s[50:51]
	v_add_u32_e32 v9, 0xffffff81, v21
	v_mov_b32_e32 v19, 0xffffff82
	v_cndmask_b32_e32 v9, v9, v19, vcc
	v_lshrrev_b32_e32 v19, 23, v8
	v_add3_u32 v21, v23, v9, v19
	v_add_u32_e32 v19, 6, v21
	v_and_b32_e32 v9, 0xfffff, v18
	v_add_u32_e32 v8, v9, v8
	v_mov_b32_e32 v9, v51
	v_cmp_ne_u32_e32 vcc, 0, v19
                                        ; implicit-def: $vgpr18
	s_and_saveexec_b64 s[40:41], vcc
	s_xor_b64 s[40:41], exec, s[40:41]
; %bb.19968:                            ;   in Loop: Header=BB6_19750 Depth=3
	v_cmp_lt_u64_e32 vcc, s[88:89], v[8:9]
	v_add_u32_e32 v18, 7, v21
	v_cndmask_b32_e32 v18, v19, v18, vcc
	v_cndmask_b32_e64 v19, 0, 1, vcc
	v_lshrrev_b64 v[8:9], v19, v[8:9]
; %bb.19969:                            ;   in Loop: Header=BB6_19750 Depth=3
	s_andn2_saveexec_b64 s[40:41], s[40:41]
; %bb.19970:                            ;   in Loop: Header=BB6_19750 Depth=3
	v_bfe_u32 v18, v8, 23, 1
; %bb.19971:                            ;   in Loop: Header=BB6_19750 Depth=3
	s_or_b64 exec, exec, s[40:41]
	v_lshrrev_b64 v[8:9], 20, v[8:9]
	v_cmp_gt_i32_e32 vcc, 16, v18
	v_cndmask_b32_e32 v9, 0, v9, vcc
	v_cndmask_b32_e32 v8, 7, v8, vcc
	v_cmp_eq_u64_e64 s[40:41], 0, v[8:9]
	v_min_i32_e32 v9, 15, v18
	v_lshlrev_b32_e32 v9, 3, v9
	v_cmp_eq_u32_e32 vcc, 0, v18
	v_and_b32_e32 v9, 0xf8, v9
	v_and_or_b32 v8, v8, 7, v9
	s_and_b64 s[40:41], vcc, s[40:41]
	v_cndmask_b32_e64 v8, v8, 0, s[40:41]
	v_or_b32_e32 v29, v8, v20
.LBB6_19972:                            ;   in Loop: Header=BB6_19750 Depth=3
	s_or_b64 exec, exec, s[48:49]
                                        ; implicit-def: $vgpr20
.LBB6_19973:                            ;   in Loop: Header=BB6_19750 Depth=3
	s_andn2_saveexec_b64 s[40:41], s[38:39]
; %bb.19974:                            ;   in Loop: Header=BB6_19750 Depth=3
	v_or_b32_e32 v29, 0x7e, v20
; %bb.19975:                            ;   in Loop: Header=BB6_19750 Depth=3
	s_or_b64 exec, exec, s[40:41]
                                        ; implicit-def: $vgpr8
.LBB6_19976:                            ;   in Loop: Header=BB6_19750 Depth=3
	s_andn2_saveexec_b64 s[40:41], s[36:37]
; %bb.19977:                            ;   in Loop: Header=BB6_19750 Depth=3
	v_or_b32_sdwa v29, v8, s86 dst_sel:DWORD dst_unused:UNUSED_PAD src0_sel:BYTE_3 src1_sel:DWORD
; %bb.19978:                            ;   in Loop: Header=BB6_19750 Depth=3
	s_or_b64 exec, exec, s[40:41]
	v_lshrrev_b32_e32 v8, 16, v10
	v_cmp_ne_u16_sdwa vcc, v8, v51 src0_sel:BYTE_0 src1_sel:DWORD
	v_mov_b32_e32 v9, 0
	s_and_saveexec_b64 s[40:41], vcc
	s_cbranch_execz .LBB6_19984
; %bb.19979:                            ;   in Loop: Header=BB6_19750 Depth=3
	v_cmp_ne_u16_sdwa vcc, v8, s96 src0_sel:BYTE_0 src1_sel:DWORD
	v_bfrev_b32_e32 v9, 1
	s_and_saveexec_b64 s[36:37], vcc
	s_cbranch_execz .LBB6_19983
; %bb.19980:                            ;   in Loop: Header=BB6_19750 Depth=3
	v_bfe_u32 v18, v10, 16, 7
	v_cmp_ne_u32_e32 vcc, s86, v18
	v_mov_b32_e32 v9, 0x7f800001
	s_and_saveexec_b64 s[38:39], vcc
	s_cbranch_execz .LBB6_19982
; %bb.19981:                            ;   in Loop: Header=BB6_19750 Depth=3
	v_and_b32_e32 v9, 7, v8
	v_lshrrev_b32_e32 v20, 3, v18
	v_cmp_gt_u32_e32 vcc, 8, v18
	v_ffbh_u32_e32 v18, v9
	v_min_u32_e32 v21, 32, v18
	v_subrev_u32_e32 v18, 28, v21
	v_lshlrev_b64 v[18:19], v18, v[8:9]
	v_sub_u32_e32 v19, 29, v21
	v_and_b32_e32 v18, 7, v18
	v_cndmask_b32_e32 v19, v20, v19, vcc
	v_cndmask_b32_e32 v9, v9, v18, vcc
	v_lshlrev_b32_e32 v8, 24, v8
	v_bfrev_b32_e32 v18, 60
	v_lshlrev_b32_e32 v9, 20, v9
	v_and_b32_e32 v8, 0x80000000, v8
	v_lshl_add_u32 v18, v19, 23, v18
	v_or3_b32 v9, v8, v18, v9
.LBB6_19982:                            ;   in Loop: Header=BB6_19750 Depth=3
	s_or_b64 exec, exec, s[38:39]
.LBB6_19983:                            ;   in Loop: Header=BB6_19750 Depth=3
	s_or_b64 exec, exec, s[36:37]
.LBB6_19984:                            ;   in Loop: Header=BB6_19750 Depth=3
	s_or_b64 exec, exec, s[40:41]
	v_mul_f32_e32 v8, v24, v9
	v_and_b32_e32 v18, 0x7f800000, v8
	v_mov_b32_e32 v19, v51
	v_cmp_ne_u64_e32 vcc, s[76:77], v[18:19]
                                        ; implicit-def: $vgpr32
	s_and_saveexec_b64 s[40:41], vcc
	s_xor_b64 s[36:37], exec, s[40:41]
	s_cbranch_execz .LBB6_19998
; %bb.19985:                            ;   in Loop: Header=BB6_19750 Depth=3
	v_and_b32_e32 v18, 0x7fffffff, v8
	v_mov_b32_e32 v19, v51
	v_cmp_gt_u64_e32 vcc, s[78:79], v[18:19]
	v_and_b32_sdwa v20, v8, s96 dst_sel:DWORD dst_unused:UNUSED_PAD src0_sel:BYTE_3 src1_sel:DWORD
                                        ; implicit-def: $vgpr32
	s_and_saveexec_b64 s[40:41], vcc
	s_xor_b64 s[38:39], exec, s[40:41]
	s_cbranch_execz .LBB6_19995
; %bb.19986:                            ;   in Loop: Header=BB6_19750 Depth=3
	v_mov_b32_e32 v32, 0
	v_cmp_ne_u32_e32 vcc, 0, v8
	s_and_saveexec_b64 s[48:49], vcc
	s_cbranch_execz .LBB6_19994
; %bb.19987:                            ;   in Loop: Header=BB6_19750 Depth=3
	v_bfe_u32 v21, v8, 23, 8
	v_and_b32_e32 v9, 0x7fffff, v8
	v_cmp_gt_u32_e64 s[40:41], s97, v21
	v_sub_u32_e32 v8, 0x79, v21
	v_cmp_eq_u32_e32 vcc, 0, v21
	v_cndmask_b32_e64 v8, 0, v8, s[40:41]
	v_mov_b32_e32 v19, 0x78
	v_or_b32_e32 v18, 0x800000, v9
	v_cndmask_b32_e32 v23, v8, v19, vcc
	v_cndmask_b32_e32 v8, v18, v9, vcc
	v_add_u32_e32 v18, 20, v23
	v_lshlrev_b64 v[18:19], v18, -1
	v_mov_b32_e32 v9, v51
	v_add_u32_e32 v26, 19, v23
	v_bfi_b32 v18, v18, 0, v8
	v_lshlrev_b64 v[31:32], v26, 1
	v_lshrrev_b64 v[8:9], v23, v[8:9]
	v_bfi_b32 v19, v19, 0, 0
	v_cmp_eq_u64_e64 s[40:41], v[18:19], v[31:32]
	v_mov_b32_e32 v19, v9
	v_mov_b32_e32 v18, v8
	s_and_saveexec_b64 s[50:51], s[40:41]
; %bb.19988:                            ;   in Loop: Header=BB6_19750 Depth=3
	v_bfe_u32 v9, v8, 20, 1
	v_add_co_u32_e64 v9, s[40:41], v8, v9
	v_add_co_u32_e64 v18, s[40:41], -1, v9
; %bb.19989:                            ;   in Loop: Header=BB6_19750 Depth=3
	s_or_b64 exec, exec, s[50:51]
	v_add_u32_e32 v9, 0xffffff81, v21
	v_mov_b32_e32 v19, 0xffffff82
	v_cndmask_b32_e32 v9, v9, v19, vcc
	v_lshrrev_b32_e32 v19, 23, v8
	v_add3_u32 v21, v23, v9, v19
	v_add_u32_e32 v19, 6, v21
	v_and_b32_e32 v9, 0xfffff, v18
	v_add_u32_e32 v8, v9, v8
	v_mov_b32_e32 v9, v51
	v_cmp_ne_u32_e32 vcc, 0, v19
                                        ; implicit-def: $vgpr18
	s_and_saveexec_b64 s[40:41], vcc
	s_xor_b64 s[40:41], exec, s[40:41]
; %bb.19990:                            ;   in Loop: Header=BB6_19750 Depth=3
	v_cmp_lt_u64_e32 vcc, s[88:89], v[8:9]
	v_add_u32_e32 v18, 7, v21
	v_cndmask_b32_e32 v18, v19, v18, vcc
	v_cndmask_b32_e64 v19, 0, 1, vcc
	v_lshrrev_b64 v[8:9], v19, v[8:9]
; %bb.19991:                            ;   in Loop: Header=BB6_19750 Depth=3
	s_andn2_saveexec_b64 s[40:41], s[40:41]
; %bb.19992:                            ;   in Loop: Header=BB6_19750 Depth=3
	v_bfe_u32 v18, v8, 23, 1
; %bb.19993:                            ;   in Loop: Header=BB6_19750 Depth=3
	s_or_b64 exec, exec, s[40:41]
	v_lshrrev_b64 v[8:9], 20, v[8:9]
	v_cmp_gt_i32_e32 vcc, 16, v18
	v_cndmask_b32_e32 v9, 0, v9, vcc
	v_cndmask_b32_e32 v8, 7, v8, vcc
	v_cmp_eq_u64_e64 s[40:41], 0, v[8:9]
	v_min_i32_e32 v9, 15, v18
	v_lshlrev_b32_e32 v9, 3, v9
	v_cmp_eq_u32_e32 vcc, 0, v18
	v_and_b32_e32 v9, 0xf8, v9
	v_and_or_b32 v8, v8, 7, v9
	s_and_b64 s[40:41], vcc, s[40:41]
	v_cndmask_b32_e64 v8, v8, 0, s[40:41]
	v_or_b32_e32 v32, v8, v20
.LBB6_19994:                            ;   in Loop: Header=BB6_19750 Depth=3
	s_or_b64 exec, exec, s[48:49]
                                        ; implicit-def: $vgpr20
.LBB6_19995:                            ;   in Loop: Header=BB6_19750 Depth=3
	s_andn2_saveexec_b64 s[40:41], s[38:39]
; %bb.19996:                            ;   in Loop: Header=BB6_19750 Depth=3
	v_or_b32_e32 v32, 0x7e, v20
; %bb.19997:                            ;   in Loop: Header=BB6_19750 Depth=3
	s_or_b64 exec, exec, s[40:41]
                                        ; implicit-def: $vgpr8
.LBB6_19998:                            ;   in Loop: Header=BB6_19750 Depth=3
	s_andn2_saveexec_b64 s[40:41], s[36:37]
; %bb.19999:                            ;   in Loop: Header=BB6_19750 Depth=3
	v_or_b32_sdwa v32, v8, s86 dst_sel:DWORD dst_unused:UNUSED_PAD src0_sel:BYTE_3 src1_sel:DWORD
; %bb.20000:                            ;   in Loop: Header=BB6_19750 Depth=3
	s_or_b64 exec, exec, s[40:41]
	v_cmp_lt_u32_e32 vcc, s57, v10
	v_mov_b32_e32 v9, 0
	s_and_saveexec_b64 s[40:41], vcc
	s_cbranch_execz .LBB6_20006
; %bb.20001:                            ;   in Loop: Header=BB6_19750 Depth=3
	v_lshrrev_b32_e32 v8, 24, v10
	v_cmp_ne_u32_e32 vcc, s96, v8
	v_bfrev_b32_e32 v9, 1
	s_and_saveexec_b64 s[36:37], vcc
	s_cbranch_execz .LBB6_20005
; %bb.20002:                            ;   in Loop: Header=BB6_19750 Depth=3
	v_bfe_u32 v18, v10, 24, 7
	v_cmp_ne_u32_e32 vcc, s86, v18
	v_mov_b32_e32 v9, 0x7f800001
	s_and_saveexec_b64 s[38:39], vcc
	s_cbranch_execz .LBB6_20004
; %bb.20003:                            ;   in Loop: Header=BB6_19750 Depth=3
	v_and_b32_e32 v9, 7, v8
	v_lshrrev_b32_e32 v20, 3, v18
	v_cmp_gt_u32_e32 vcc, 8, v18
	v_ffbh_u32_e32 v18, v9
	v_min_u32_e32 v21, 32, v18
	v_subrev_u32_e32 v18, 28, v21
	v_lshlrev_b64 v[18:19], v18, v[8:9]
	v_sub_u32_e32 v19, 29, v21
	v_and_b32_e32 v18, 7, v18
	v_cndmask_b32_e32 v19, v20, v19, vcc
	v_cndmask_b32_e32 v9, v9, v18, vcc
	v_lshlrev_b32_e32 v8, 24, v8
	v_bfrev_b32_e32 v18, 60
	v_lshlrev_b32_e32 v9, 20, v9
	v_and_b32_e32 v8, 0x80000000, v8
	v_lshl_add_u32 v18, v19, 23, v18
	v_or3_b32 v9, v8, v18, v9
.LBB6_20004:                            ;   in Loop: Header=BB6_19750 Depth=3
	s_or_b64 exec, exec, s[38:39]
.LBB6_20005:                            ;   in Loop: Header=BB6_19750 Depth=3
	s_or_b64 exec, exec, s[36:37]
.LBB6_20006:                            ;   in Loop: Header=BB6_19750 Depth=3
	s_or_b64 exec, exec, s[40:41]
	v_mul_f32_e32 v8, v24, v9
	v_and_b32_e32 v18, 0x7f800000, v8
	v_mov_b32_e32 v19, v51
	v_cmp_ne_u64_e32 vcc, s[76:77], v[18:19]
                                        ; implicit-def: $vgpr34
	s_and_saveexec_b64 s[40:41], vcc
	s_xor_b64 s[36:37], exec, s[40:41]
	s_cbranch_execz .LBB6_20020
; %bb.20007:                            ;   in Loop: Header=BB6_19750 Depth=3
	v_and_b32_e32 v18, 0x7fffffff, v8
	v_mov_b32_e32 v19, v51
	v_cmp_gt_u64_e32 vcc, s[78:79], v[18:19]
	v_and_b32_sdwa v20, v8, s96 dst_sel:DWORD dst_unused:UNUSED_PAD src0_sel:BYTE_3 src1_sel:DWORD
                                        ; implicit-def: $vgpr34
	s_and_saveexec_b64 s[40:41], vcc
	s_xor_b64 s[38:39], exec, s[40:41]
	s_cbranch_execz .LBB6_20017
; %bb.20008:                            ;   in Loop: Header=BB6_19750 Depth=3
	v_mov_b32_e32 v34, 0
	v_cmp_ne_u32_e32 vcc, 0, v8
	s_and_saveexec_b64 s[48:49], vcc
	s_cbranch_execz .LBB6_20016
; %bb.20009:                            ;   in Loop: Header=BB6_19750 Depth=3
	v_bfe_u32 v21, v8, 23, 8
	v_and_b32_e32 v9, 0x7fffff, v8
	v_cmp_gt_u32_e64 s[40:41], s97, v21
	v_sub_u32_e32 v8, 0x79, v21
	v_cmp_eq_u32_e32 vcc, 0, v21
	v_cndmask_b32_e64 v8, 0, v8, s[40:41]
	v_mov_b32_e32 v19, 0x78
	v_or_b32_e32 v18, 0x800000, v9
	v_cndmask_b32_e32 v23, v8, v19, vcc
	v_cndmask_b32_e32 v8, v18, v9, vcc
	v_add_u32_e32 v18, 20, v23
	v_lshlrev_b64 v[18:19], v18, -1
	v_mov_b32_e32 v9, v51
	v_add_u32_e32 v26, 19, v23
	v_bfi_b32 v18, v18, 0, v8
	v_lshlrev_b64 v[38:39], v26, 1
	v_lshrrev_b64 v[8:9], v23, v[8:9]
	v_bfi_b32 v19, v19, 0, 0
	v_cmp_eq_u64_e64 s[40:41], v[18:19], v[38:39]
	v_mov_b32_e32 v19, v9
	v_mov_b32_e32 v18, v8
	s_and_saveexec_b64 s[50:51], s[40:41]
; %bb.20010:                            ;   in Loop: Header=BB6_19750 Depth=3
	v_bfe_u32 v9, v8, 20, 1
	v_add_co_u32_e64 v9, s[40:41], v8, v9
	v_add_co_u32_e64 v18, s[40:41], -1, v9
; %bb.20011:                            ;   in Loop: Header=BB6_19750 Depth=3
	s_or_b64 exec, exec, s[50:51]
	v_add_u32_e32 v9, 0xffffff81, v21
	v_mov_b32_e32 v19, 0xffffff82
	v_cndmask_b32_e32 v9, v9, v19, vcc
	v_lshrrev_b32_e32 v19, 23, v8
	v_add3_u32 v21, v23, v9, v19
	v_add_u32_e32 v19, 6, v21
	v_and_b32_e32 v9, 0xfffff, v18
	v_add_u32_e32 v8, v9, v8
	v_mov_b32_e32 v9, v51
	v_cmp_ne_u32_e32 vcc, 0, v19
                                        ; implicit-def: $vgpr18
	s_and_saveexec_b64 s[40:41], vcc
	s_xor_b64 s[40:41], exec, s[40:41]
; %bb.20012:                            ;   in Loop: Header=BB6_19750 Depth=3
	v_cmp_lt_u64_e32 vcc, s[88:89], v[8:9]
	v_add_u32_e32 v18, 7, v21
	v_cndmask_b32_e32 v18, v19, v18, vcc
	v_cndmask_b32_e64 v19, 0, 1, vcc
	v_lshrrev_b64 v[8:9], v19, v[8:9]
; %bb.20013:                            ;   in Loop: Header=BB6_19750 Depth=3
	s_andn2_saveexec_b64 s[40:41], s[40:41]
; %bb.20014:                            ;   in Loop: Header=BB6_19750 Depth=3
	v_bfe_u32 v18, v8, 23, 1
; %bb.20015:                            ;   in Loop: Header=BB6_19750 Depth=3
	s_or_b64 exec, exec, s[40:41]
	v_lshrrev_b64 v[8:9], 20, v[8:9]
	v_cmp_gt_i32_e32 vcc, 16, v18
	v_cndmask_b32_e32 v9, 0, v9, vcc
	v_cndmask_b32_e32 v8, 7, v8, vcc
	v_cmp_eq_u64_e64 s[40:41], 0, v[8:9]
	v_min_i32_e32 v9, 15, v18
	v_lshlrev_b32_e32 v9, 3, v9
	v_cmp_eq_u32_e32 vcc, 0, v18
	v_and_b32_e32 v9, 0xf8, v9
	v_and_or_b32 v8, v8, 7, v9
	s_and_b64 s[40:41], vcc, s[40:41]
	v_cndmask_b32_e64 v8, v8, 0, s[40:41]
	v_or_b32_e32 v34, v8, v20
.LBB6_20016:                            ;   in Loop: Header=BB6_19750 Depth=3
	s_or_b64 exec, exec, s[48:49]
                                        ; implicit-def: $vgpr20
.LBB6_20017:                            ;   in Loop: Header=BB6_19750 Depth=3
	s_andn2_saveexec_b64 s[40:41], s[38:39]
; %bb.20018:                            ;   in Loop: Header=BB6_19750 Depth=3
	v_or_b32_e32 v34, 0x7e, v20
; %bb.20019:                            ;   in Loop: Header=BB6_19750 Depth=3
	s_or_b64 exec, exec, s[40:41]
                                        ; implicit-def: $vgpr8
.LBB6_20020:                            ;   in Loop: Header=BB6_19750 Depth=3
	s_andn2_saveexec_b64 s[40:41], s[36:37]
; %bb.20021:                            ;   in Loop: Header=BB6_19750 Depth=3
	v_or_b32_sdwa v34, v8, s86 dst_sel:DWORD dst_unused:UNUSED_PAD src0_sel:BYTE_3 src1_sel:DWORD
; %bb.20022:                            ;   in Loop: Header=BB6_19750 Depth=3
	s_or_b64 exec, exec, s[40:41]
	v_mov_b32_e32 v8, v11
	v_mov_b32_e32 v9, v51
	v_cmp_ne_u16_sdwa vcc, v11, v51 src0_sel:BYTE_0 src1_sel:DWORD
	v_mov_b32_e32 v18, 0
	s_and_saveexec_b64 s[40:41], vcc
	s_cbranch_execz .LBB6_20028
; %bb.20023:                            ;   in Loop: Header=BB6_19750 Depth=3
	v_cmp_ne_u16_sdwa vcc, v11, s96 src0_sel:BYTE_0 src1_sel:DWORD
	v_bfrev_b32_e32 v18, 1
	s_and_saveexec_b64 s[36:37], vcc
	s_cbranch_execz .LBB6_20027
; %bb.20024:                            ;   in Loop: Header=BB6_19750 Depth=3
	v_and_b32_e32 v19, 0x7f, v11
	v_cmp_ne_u32_e32 vcc, s86, v19
	v_mov_b32_e32 v18, 0x7f800001
	s_and_saveexec_b64 s[38:39], vcc
	s_cbranch_execz .LBB6_20026
; %bb.20025:                            ;   in Loop: Header=BB6_19750 Depth=3
	v_and_b32_e32 v18, 7, v11
	v_ffbh_u32_e32 v18, v18
	v_min_u32_e32 v18, 32, v18
	v_lshrrev_b32_e32 v20, 3, v19
	v_cmp_gt_u32_e32 vcc, 8, v19
	v_subrev_u32_e32 v19, 28, v18
	v_sub_u32_e32 v18, 29, v18
	v_cndmask_b32_e32 v20, v20, v18, vcc
	v_cndmask_b32_e32 v18, 0, v19, vcc
	v_lshlrev_b64 v[18:19], v18, v[8:9]
	v_bfrev_b32_e32 v19, 60
	v_lshlrev_b32_e32 v9, 20, v18
	v_lshlrev_b32_e32 v18, 24, v8
	v_and_b32_e32 v9, 0x700000, v9
	v_and_b32_e32 v18, 0x80000000, v18
	v_lshl_add_u32 v19, v20, 23, v19
	v_or3_b32 v18, v18, v19, v9
.LBB6_20026:                            ;   in Loop: Header=BB6_19750 Depth=3
	s_or_b64 exec, exec, s[38:39]
.LBB6_20027:                            ;   in Loop: Header=BB6_19750 Depth=3
	s_or_b64 exec, exec, s[36:37]
.LBB6_20028:                            ;   in Loop: Header=BB6_19750 Depth=3
	s_or_b64 exec, exec, s[40:41]
	v_mul_f32_e32 v18, v24, v18
	v_and_b32_e32 v19, 0x7f800000, v18
	v_mov_b32_e32 v20, v51
	v_cmp_ne_u64_e32 vcc, s[76:77], v[19:20]
                                        ; implicit-def: $vgpr23
	s_and_saveexec_b64 s[40:41], vcc
	s_xor_b64 s[36:37], exec, s[40:41]
	s_cbranch_execz .LBB6_20042
; %bb.20029:                            ;   in Loop: Header=BB6_19750 Depth=3
	v_and_b32_e32 v19, 0x7fffffff, v18
	v_mov_b32_e32 v20, v51
	v_cmp_gt_u64_e32 vcc, s[78:79], v[19:20]
	v_and_b32_sdwa v9, v18, s96 dst_sel:DWORD dst_unused:UNUSED_PAD src0_sel:BYTE_3 src1_sel:DWORD
                                        ; implicit-def: $vgpr23
	s_and_saveexec_b64 s[40:41], vcc
	s_xor_b64 s[38:39], exec, s[40:41]
	s_cbranch_execz .LBB6_20039
; %bb.20030:                            ;   in Loop: Header=BB6_19750 Depth=3
	v_mov_b32_e32 v23, 0
	v_cmp_ne_u32_e32 vcc, 0, v18
	s_and_saveexec_b64 s[48:49], vcc
	s_cbranch_execz .LBB6_20038
; %bb.20031:                            ;   in Loop: Header=BB6_19750 Depth=3
	v_bfe_u32 v21, v18, 23, 8
	v_and_b32_e32 v19, 0x7fffff, v18
	v_cmp_gt_u32_e64 s[40:41], s97, v21
	v_sub_u32_e32 v18, 0x79, v21
	v_cmp_eq_u32_e32 vcc, 0, v21
	v_cndmask_b32_e64 v18, 0, v18, s[40:41]
	v_mov_b32_e32 v23, 0x78
	v_or_b32_e32 v20, 0x800000, v19
	v_cndmask_b32_e32 v23, v18, v23, vcc
	v_cndmask_b32_e32 v18, v20, v19, vcc
	v_add_u32_e32 v20, 20, v23
	v_lshlrev_b64 v[38:39], v20, -1
	v_mov_b32_e32 v19, v51
	v_add_u32_e32 v20, 19, v23
	v_bfi_b32 v38, v38, 0, v18
	v_lshlrev_b64 v[48:49], v20, 1
	v_lshrrev_b64 v[18:19], v23, v[18:19]
	v_bfi_b32 v39, v39, 0, 0
	v_cmp_eq_u64_e64 s[40:41], v[38:39], v[48:49]
	v_mov_b32_e32 v20, v19
	v_mov_b32_e32 v19, v18
	s_and_saveexec_b64 s[50:51], s[40:41]
; %bb.20032:                            ;   in Loop: Header=BB6_19750 Depth=3
	v_bfe_u32 v19, v18, 20, 1
	v_add_co_u32_e64 v19, s[40:41], v18, v19
	v_add_co_u32_e64 v19, s[40:41], -1, v19
; %bb.20033:                            ;   in Loop: Header=BB6_19750 Depth=3
	s_or_b64 exec, exec, s[50:51]
	v_add_u32_e32 v20, 0xffffff81, v21
	v_mov_b32_e32 v21, 0xffffff82
	v_cndmask_b32_e32 v20, v20, v21, vcc
	v_lshrrev_b32_e32 v21, 23, v18
	v_add3_u32 v23, v23, v20, v21
	v_add_u32_e32 v21, 6, v23
	v_and_b32_e32 v19, 0xfffff, v19
	v_add_u32_e32 v18, v19, v18
	v_mov_b32_e32 v19, v51
	v_cmp_ne_u32_e32 vcc, 0, v21
                                        ; implicit-def: $vgpr20
	s_and_saveexec_b64 s[40:41], vcc
	s_xor_b64 s[40:41], exec, s[40:41]
; %bb.20034:                            ;   in Loop: Header=BB6_19750 Depth=3
	v_cmp_lt_u64_e32 vcc, s[88:89], v[18:19]
	v_add_u32_e32 v20, 7, v23
	v_cndmask_b32_e32 v20, v21, v20, vcc
	v_cndmask_b32_e64 v21, 0, 1, vcc
	v_lshrrev_b64 v[18:19], v21, v[18:19]
; %bb.20035:                            ;   in Loop: Header=BB6_19750 Depth=3
	s_andn2_saveexec_b64 s[40:41], s[40:41]
; %bb.20036:                            ;   in Loop: Header=BB6_19750 Depth=3
	v_bfe_u32 v20, v18, 23, 1
; %bb.20037:                            ;   in Loop: Header=BB6_19750 Depth=3
	s_or_b64 exec, exec, s[40:41]
	v_lshrrev_b64 v[18:19], 20, v[18:19]
	v_cmp_gt_i32_e32 vcc, 16, v20
	v_cndmask_b32_e32 v19, 0, v19, vcc
	v_cndmask_b32_e32 v18, 7, v18, vcc
	v_cmp_eq_u64_e64 s[40:41], 0, v[18:19]
	v_min_i32_e32 v19, 15, v20
	v_lshlrev_b32_e32 v19, 3, v19
	v_cmp_eq_u32_e32 vcc, 0, v20
	v_and_b32_e32 v19, 0xf8, v19
	v_and_or_b32 v18, v18, 7, v19
	s_and_b64 s[40:41], vcc, s[40:41]
	v_cndmask_b32_e64 v18, v18, 0, s[40:41]
	v_or_b32_e32 v23, v18, v9
.LBB6_20038:                            ;   in Loop: Header=BB6_19750 Depth=3
	s_or_b64 exec, exec, s[48:49]
                                        ; implicit-def: $vgpr9
.LBB6_20039:                            ;   in Loop: Header=BB6_19750 Depth=3
	s_andn2_saveexec_b64 s[40:41], s[38:39]
; %bb.20040:                            ;   in Loop: Header=BB6_19750 Depth=3
	v_or_b32_e32 v23, 0x7e, v9
; %bb.20041:                            ;   in Loop: Header=BB6_19750 Depth=3
	s_or_b64 exec, exec, s[40:41]
                                        ; implicit-def: $vgpr18
.LBB6_20042:                            ;   in Loop: Header=BB6_19750 Depth=3
	s_andn2_saveexec_b64 s[40:41], s[36:37]
; %bb.20043:                            ;   in Loop: Header=BB6_19750 Depth=3
	v_or_b32_sdwa v23, v18, s86 dst_sel:DWORD dst_unused:UNUSED_PAD src0_sel:BYTE_3 src1_sel:DWORD
; %bb.20044:                            ;   in Loop: Header=BB6_19750 Depth=3
	s_or_b64 exec, exec, s[40:41]
	v_lshrrev_b16_e32 v9, 8, v8
	v_cmp_ne_u16_e32 vcc, 0, v9
	v_mov_b32_e32 v18, 0
	s_and_saveexec_b64 s[40:41], vcc
	s_cbranch_execz .LBB6_20050
; %bb.20045:                            ;   in Loop: Header=BB6_19750 Depth=3
	v_cmp_ne_u16_e32 vcc, s96, v9
	v_bfrev_b32_e32 v18, 1
	s_and_saveexec_b64 s[36:37], vcc
	s_cbranch_execz .LBB6_20049
; %bb.20046:                            ;   in Loop: Header=BB6_19750 Depth=3
	v_and_b32_e32 v19, 0x7f, v9
	v_cmp_ne_u32_e32 vcc, s86, v19
	v_mov_b32_e32 v18, 0x7f800001
	s_and_saveexec_b64 s[38:39], vcc
	s_cbranch_execz .LBB6_20048
; %bb.20047:                            ;   in Loop: Header=BB6_19750 Depth=3
	v_and_b32_e32 v20, 7, v9
	v_ffbh_u32_e32 v18, v20
	v_min_u32_e32 v26, 32, v18
	v_subrev_u32_e32 v18, 28, v26
	v_lshrrev_b32_e32 v21, 3, v19
	v_cmp_gt_u32_e32 vcc, 8, v19
	v_lshlrev_b64 v[18:19], v18, v[9:10]
	v_sub_u32_e32 v9, 29, v26
	v_and_b32_e32 v18, 7, v18
	v_cndmask_b32_e32 v9, v21, v9, vcc
	v_cndmask_b32_e32 v18, v20, v18, vcc
	v_lshlrev_b32_e32 v8, 16, v8
	v_bfrev_b32_e32 v19, 60
	v_lshlrev_b32_e32 v18, 20, v18
	v_and_b32_e32 v8, 0x80000000, v8
	v_lshl_add_u32 v9, v9, 23, v19
	v_or3_b32 v18, v8, v9, v18
.LBB6_20048:                            ;   in Loop: Header=BB6_19750 Depth=3
	s_or_b64 exec, exec, s[38:39]
.LBB6_20049:                            ;   in Loop: Header=BB6_19750 Depth=3
	s_or_b64 exec, exec, s[36:37]
.LBB6_20050:                            ;   in Loop: Header=BB6_19750 Depth=3
	s_or_b64 exec, exec, s[40:41]
	v_mul_f32_e32 v8, v24, v18
	v_and_b32_e32 v18, 0x7f800000, v8
	v_mov_b32_e32 v19, v51
	v_cmp_ne_u64_e32 vcc, s[76:77], v[18:19]
                                        ; implicit-def: $vgpr26
	s_and_saveexec_b64 s[40:41], vcc
	s_xor_b64 s[36:37], exec, s[40:41]
	s_cbranch_execz .LBB6_20064
; %bb.20051:                            ;   in Loop: Header=BB6_19750 Depth=3
	v_and_b32_e32 v18, 0x7fffffff, v8
	v_mov_b32_e32 v19, v51
	v_cmp_gt_u64_e32 vcc, s[78:79], v[18:19]
	v_and_b32_sdwa v20, v8, s96 dst_sel:DWORD dst_unused:UNUSED_PAD src0_sel:BYTE_3 src1_sel:DWORD
                                        ; implicit-def: $vgpr26
	s_and_saveexec_b64 s[40:41], vcc
	s_xor_b64 s[38:39], exec, s[40:41]
	s_cbranch_execz .LBB6_20061
; %bb.20052:                            ;   in Loop: Header=BB6_19750 Depth=3
	v_mov_b32_e32 v26, 0
	v_cmp_ne_u32_e32 vcc, 0, v8
	s_and_saveexec_b64 s[48:49], vcc
	s_cbranch_execz .LBB6_20060
; %bb.20053:                            ;   in Loop: Header=BB6_19750 Depth=3
	v_bfe_u32 v21, v8, 23, 8
	v_and_b32_e32 v9, 0x7fffff, v8
	v_cmp_gt_u32_e64 s[40:41], s97, v21
	v_sub_u32_e32 v8, 0x79, v21
	v_cmp_eq_u32_e32 vcc, 0, v21
	v_cndmask_b32_e64 v8, 0, v8, s[40:41]
	v_mov_b32_e32 v19, 0x78
	v_or_b32_e32 v18, 0x800000, v9
	v_cndmask_b32_e32 v26, v8, v19, vcc
	v_cndmask_b32_e32 v8, v18, v9, vcc
	v_add_u32_e32 v18, 20, v26
	v_lshlrev_b64 v[18:19], v18, -1
	v_mov_b32_e32 v9, v51
	v_add_u32_e32 v28, 19, v26
	v_bfi_b32 v18, v18, 0, v8
	v_lshlrev_b64 v[38:39], v28, 1
	v_lshrrev_b64 v[8:9], v26, v[8:9]
	v_bfi_b32 v19, v19, 0, 0
	v_cmp_eq_u64_e64 s[40:41], v[18:19], v[38:39]
	v_mov_b32_e32 v19, v9
	v_mov_b32_e32 v18, v8
	s_and_saveexec_b64 s[50:51], s[40:41]
; %bb.20054:                            ;   in Loop: Header=BB6_19750 Depth=3
	v_bfe_u32 v9, v8, 20, 1
	v_add_co_u32_e64 v9, s[40:41], v8, v9
	v_add_co_u32_e64 v18, s[40:41], -1, v9
; %bb.20055:                            ;   in Loop: Header=BB6_19750 Depth=3
	s_or_b64 exec, exec, s[50:51]
	v_add_u32_e32 v9, 0xffffff81, v21
	v_mov_b32_e32 v19, 0xffffff82
	v_cndmask_b32_e32 v9, v9, v19, vcc
	v_lshrrev_b32_e32 v19, 23, v8
	v_add3_u32 v21, v26, v9, v19
	v_add_u32_e32 v19, 6, v21
	v_and_b32_e32 v9, 0xfffff, v18
	v_add_u32_e32 v8, v9, v8
	v_mov_b32_e32 v9, v51
	v_cmp_ne_u32_e32 vcc, 0, v19
                                        ; implicit-def: $vgpr18
	s_and_saveexec_b64 s[40:41], vcc
	s_xor_b64 s[40:41], exec, s[40:41]
; %bb.20056:                            ;   in Loop: Header=BB6_19750 Depth=3
	v_cmp_lt_u64_e32 vcc, s[88:89], v[8:9]
	v_add_u32_e32 v18, 7, v21
	v_cndmask_b32_e32 v18, v19, v18, vcc
	v_cndmask_b32_e64 v19, 0, 1, vcc
	v_lshrrev_b64 v[8:9], v19, v[8:9]
; %bb.20057:                            ;   in Loop: Header=BB6_19750 Depth=3
	s_andn2_saveexec_b64 s[40:41], s[40:41]
; %bb.20058:                            ;   in Loop: Header=BB6_19750 Depth=3
	v_bfe_u32 v18, v8, 23, 1
; %bb.20059:                            ;   in Loop: Header=BB6_19750 Depth=3
	s_or_b64 exec, exec, s[40:41]
	v_lshrrev_b64 v[8:9], 20, v[8:9]
	v_cmp_gt_i32_e32 vcc, 16, v18
	v_cndmask_b32_e32 v9, 0, v9, vcc
	v_cndmask_b32_e32 v8, 7, v8, vcc
	v_cmp_eq_u64_e64 s[40:41], 0, v[8:9]
	v_min_i32_e32 v9, 15, v18
	v_lshlrev_b32_e32 v9, 3, v9
	v_cmp_eq_u32_e32 vcc, 0, v18
	v_and_b32_e32 v9, 0xf8, v9
	v_and_or_b32 v8, v8, 7, v9
	s_and_b64 s[40:41], vcc, s[40:41]
	v_cndmask_b32_e64 v8, v8, 0, s[40:41]
	v_or_b32_e32 v26, v8, v20
.LBB6_20060:                            ;   in Loop: Header=BB6_19750 Depth=3
	s_or_b64 exec, exec, s[48:49]
                                        ; implicit-def: $vgpr20
.LBB6_20061:                            ;   in Loop: Header=BB6_19750 Depth=3
	s_andn2_saveexec_b64 s[40:41], s[38:39]
; %bb.20062:                            ;   in Loop: Header=BB6_19750 Depth=3
	v_or_b32_e32 v26, 0x7e, v20
; %bb.20063:                            ;   in Loop: Header=BB6_19750 Depth=3
	s_or_b64 exec, exec, s[40:41]
                                        ; implicit-def: $vgpr8
.LBB6_20064:                            ;   in Loop: Header=BB6_19750 Depth=3
	s_andn2_saveexec_b64 s[40:41], s[36:37]
; %bb.20065:                            ;   in Loop: Header=BB6_19750 Depth=3
	v_or_b32_sdwa v26, v8, s86 dst_sel:DWORD dst_unused:UNUSED_PAD src0_sel:BYTE_3 src1_sel:DWORD
; %bb.20066:                            ;   in Loop: Header=BB6_19750 Depth=3
	s_or_b64 exec, exec, s[40:41]
	v_lshrrev_b32_e32 v8, 16, v11
	v_cmp_ne_u16_sdwa vcc, v8, v51 src0_sel:BYTE_0 src1_sel:DWORD
	v_mov_b32_e32 v9, 0
	s_and_saveexec_b64 s[40:41], vcc
	s_cbranch_execz .LBB6_20072
; %bb.20067:                            ;   in Loop: Header=BB6_19750 Depth=3
	v_cmp_ne_u16_sdwa vcc, v8, s96 src0_sel:BYTE_0 src1_sel:DWORD
	v_bfrev_b32_e32 v9, 1
	s_and_saveexec_b64 s[36:37], vcc
	s_cbranch_execz .LBB6_20071
; %bb.20068:                            ;   in Loop: Header=BB6_19750 Depth=3
	v_bfe_u32 v18, v11, 16, 7
	v_cmp_ne_u32_e32 vcc, s86, v18
	v_mov_b32_e32 v9, 0x7f800001
	s_and_saveexec_b64 s[38:39], vcc
	s_cbranch_execz .LBB6_20070
; %bb.20069:                            ;   in Loop: Header=BB6_19750 Depth=3
	v_and_b32_e32 v9, 7, v8
	v_lshrrev_b32_e32 v20, 3, v18
	v_cmp_gt_u32_e32 vcc, 8, v18
	v_ffbh_u32_e32 v18, v9
	v_min_u32_e32 v21, 32, v18
	v_subrev_u32_e32 v18, 28, v21
	v_lshlrev_b64 v[18:19], v18, v[8:9]
	v_sub_u32_e32 v19, 29, v21
	v_and_b32_e32 v18, 7, v18
	v_cndmask_b32_e32 v19, v20, v19, vcc
	v_cndmask_b32_e32 v9, v9, v18, vcc
	v_lshlrev_b32_e32 v8, 24, v8
	v_bfrev_b32_e32 v18, 60
	v_lshlrev_b32_e32 v9, 20, v9
	v_and_b32_e32 v8, 0x80000000, v8
	v_lshl_add_u32 v18, v19, 23, v18
	v_or3_b32 v9, v8, v18, v9
.LBB6_20070:                            ;   in Loop: Header=BB6_19750 Depth=3
	s_or_b64 exec, exec, s[38:39]
.LBB6_20071:                            ;   in Loop: Header=BB6_19750 Depth=3
	s_or_b64 exec, exec, s[36:37]
.LBB6_20072:                            ;   in Loop: Header=BB6_19750 Depth=3
	s_or_b64 exec, exec, s[40:41]
	v_mul_f32_e32 v8, v24, v9
	v_and_b32_e32 v18, 0x7f800000, v8
	v_mov_b32_e32 v19, v51
	v_cmp_ne_u64_e32 vcc, s[76:77], v[18:19]
                                        ; implicit-def: $vgpr28
	s_and_saveexec_b64 s[40:41], vcc
	s_xor_b64 s[36:37], exec, s[40:41]
	s_cbranch_execz .LBB6_20086
; %bb.20073:                            ;   in Loop: Header=BB6_19750 Depth=3
	v_and_b32_e32 v18, 0x7fffffff, v8
	v_mov_b32_e32 v19, v51
	v_cmp_gt_u64_e32 vcc, s[78:79], v[18:19]
	v_and_b32_sdwa v20, v8, s96 dst_sel:DWORD dst_unused:UNUSED_PAD src0_sel:BYTE_3 src1_sel:DWORD
                                        ; implicit-def: $vgpr28
	s_and_saveexec_b64 s[40:41], vcc
	s_xor_b64 s[38:39], exec, s[40:41]
	s_cbranch_execz .LBB6_20083
; %bb.20074:                            ;   in Loop: Header=BB6_19750 Depth=3
	v_mov_b32_e32 v28, 0
	v_cmp_ne_u32_e32 vcc, 0, v8
	s_and_saveexec_b64 s[48:49], vcc
	s_cbranch_execz .LBB6_20082
; %bb.20075:                            ;   in Loop: Header=BB6_19750 Depth=3
	v_bfe_u32 v21, v8, 23, 8
	v_and_b32_e32 v9, 0x7fffff, v8
	v_cmp_gt_u32_e64 s[40:41], s97, v21
	v_sub_u32_e32 v8, 0x79, v21
	v_cmp_eq_u32_e32 vcc, 0, v21
	v_cndmask_b32_e64 v8, 0, v8, s[40:41]
	v_mov_b32_e32 v19, 0x78
	v_or_b32_e32 v18, 0x800000, v9
	v_cndmask_b32_e32 v28, v8, v19, vcc
	v_cndmask_b32_e32 v8, v18, v9, vcc
	v_add_u32_e32 v18, 20, v28
	v_lshlrev_b64 v[18:19], v18, -1
	v_mov_b32_e32 v9, v51
	v_add_u32_e32 v31, 19, v28
	v_bfi_b32 v18, v18, 0, v8
	v_lshlrev_b64 v[38:39], v31, 1
	v_lshrrev_b64 v[8:9], v28, v[8:9]
	v_bfi_b32 v19, v19, 0, 0
	v_cmp_eq_u64_e64 s[40:41], v[18:19], v[38:39]
	v_mov_b32_e32 v19, v9
	v_mov_b32_e32 v18, v8
	s_and_saveexec_b64 s[50:51], s[40:41]
; %bb.20076:                            ;   in Loop: Header=BB6_19750 Depth=3
	v_bfe_u32 v9, v8, 20, 1
	v_add_co_u32_e64 v9, s[40:41], v8, v9
	v_add_co_u32_e64 v18, s[40:41], -1, v9
; %bb.20077:                            ;   in Loop: Header=BB6_19750 Depth=3
	s_or_b64 exec, exec, s[50:51]
	v_add_u32_e32 v9, 0xffffff81, v21
	v_mov_b32_e32 v19, 0xffffff82
	v_cndmask_b32_e32 v9, v9, v19, vcc
	v_lshrrev_b32_e32 v19, 23, v8
	v_add3_u32 v21, v28, v9, v19
	v_add_u32_e32 v19, 6, v21
	v_and_b32_e32 v9, 0xfffff, v18
	v_add_u32_e32 v8, v9, v8
	v_mov_b32_e32 v9, v51
	v_cmp_ne_u32_e32 vcc, 0, v19
                                        ; implicit-def: $vgpr18
	s_and_saveexec_b64 s[40:41], vcc
	s_xor_b64 s[40:41], exec, s[40:41]
; %bb.20078:                            ;   in Loop: Header=BB6_19750 Depth=3
	v_cmp_lt_u64_e32 vcc, s[88:89], v[8:9]
	v_add_u32_e32 v18, 7, v21
	v_cndmask_b32_e32 v18, v19, v18, vcc
	v_cndmask_b32_e64 v19, 0, 1, vcc
	v_lshrrev_b64 v[8:9], v19, v[8:9]
; %bb.20079:                            ;   in Loop: Header=BB6_19750 Depth=3
	s_andn2_saveexec_b64 s[40:41], s[40:41]
; %bb.20080:                            ;   in Loop: Header=BB6_19750 Depth=3
	v_bfe_u32 v18, v8, 23, 1
; %bb.20081:                            ;   in Loop: Header=BB6_19750 Depth=3
	s_or_b64 exec, exec, s[40:41]
	v_lshrrev_b64 v[8:9], 20, v[8:9]
	v_cmp_gt_i32_e32 vcc, 16, v18
	v_cndmask_b32_e32 v9, 0, v9, vcc
	v_cndmask_b32_e32 v8, 7, v8, vcc
	v_cmp_eq_u64_e64 s[40:41], 0, v[8:9]
	v_min_i32_e32 v9, 15, v18
	v_lshlrev_b32_e32 v9, 3, v9
	v_cmp_eq_u32_e32 vcc, 0, v18
	v_and_b32_e32 v9, 0xf8, v9
	v_and_or_b32 v8, v8, 7, v9
	s_and_b64 s[40:41], vcc, s[40:41]
	v_cndmask_b32_e64 v8, v8, 0, s[40:41]
	v_or_b32_e32 v28, v8, v20
.LBB6_20082:                            ;   in Loop: Header=BB6_19750 Depth=3
	s_or_b64 exec, exec, s[48:49]
                                        ; implicit-def: $vgpr20
.LBB6_20083:                            ;   in Loop: Header=BB6_19750 Depth=3
	s_andn2_saveexec_b64 s[40:41], s[38:39]
; %bb.20084:                            ;   in Loop: Header=BB6_19750 Depth=3
	v_or_b32_e32 v28, 0x7e, v20
; %bb.20085:                            ;   in Loop: Header=BB6_19750 Depth=3
	s_or_b64 exec, exec, s[40:41]
                                        ; implicit-def: $vgpr8
.LBB6_20086:                            ;   in Loop: Header=BB6_19750 Depth=3
	s_andn2_saveexec_b64 s[40:41], s[36:37]
; %bb.20087:                            ;   in Loop: Header=BB6_19750 Depth=3
	v_or_b32_sdwa v28, v8, s86 dst_sel:DWORD dst_unused:UNUSED_PAD src0_sel:BYTE_3 src1_sel:DWORD
; %bb.20088:                            ;   in Loop: Header=BB6_19750 Depth=3
	s_or_b64 exec, exec, s[40:41]
	v_cmp_lt_u64_e32 vcc, s[56:57], v[10:11]
	v_mov_b32_e32 v9, 0
	s_and_saveexec_b64 s[40:41], vcc
	s_cbranch_execz .LBB6_20094
; %bb.20089:                            ;   in Loop: Header=BB6_19750 Depth=3
	v_lshrrev_b32_e32 v8, 24, v11
	v_cmp_ne_u32_e32 vcc, s96, v8
	v_bfrev_b32_e32 v9, 1
	s_and_saveexec_b64 s[36:37], vcc
	s_cbranch_execz .LBB6_20093
; %bb.20090:                            ;   in Loop: Header=BB6_19750 Depth=3
	v_bfe_u32 v10, v11, 24, 7
	v_cmp_ne_u32_e32 vcc, s86, v10
	v_mov_b32_e32 v9, 0x7f800001
	s_and_saveexec_b64 s[38:39], vcc
	s_cbranch_execz .LBB6_20092
; %bb.20091:                            ;   in Loop: Header=BB6_19750 Depth=3
	v_and_b32_e32 v11, 7, v8
	v_ffbh_u32_e32 v9, v11
	v_min_u32_e32 v19, 32, v9
	v_subrev_u32_e32 v9, 28, v19
	v_lshrrev_b32_e32 v18, 3, v10
	v_cmp_gt_u32_e32 vcc, 8, v10
	v_lshlrev_b64 v[9:10], v9, v[8:9]
	v_sub_u32_e32 v10, 29, v19
	v_and_b32_e32 v9, 7, v9
	v_cndmask_b32_e32 v10, v18, v10, vcc
	v_cndmask_b32_e32 v9, v11, v9, vcc
	v_lshlrev_b32_e32 v8, 24, v8
	v_bfrev_b32_e32 v11, 60
	v_lshlrev_b32_e32 v9, 20, v9
	v_and_b32_e32 v8, 0x80000000, v8
	v_lshl_add_u32 v10, v10, 23, v11
	v_or3_b32 v9, v8, v10, v9
.LBB6_20092:                            ;   in Loop: Header=BB6_19750 Depth=3
	s_or_b64 exec, exec, s[38:39]
.LBB6_20093:                            ;   in Loop: Header=BB6_19750 Depth=3
	s_or_b64 exec, exec, s[36:37]
.LBB6_20094:                            ;   in Loop: Header=BB6_19750 Depth=3
	s_or_b64 exec, exec, s[40:41]
	v_mul_f32_e32 v8, v24, v9
	v_and_b32_e32 v9, 0x7f800000, v8
	v_mov_b32_e32 v10, v51
	v_cmp_ne_u64_e32 vcc, s[76:77], v[9:10]
                                        ; implicit-def: $vgpr31
	s_and_saveexec_b64 s[40:41], vcc
	s_xor_b64 s[36:37], exec, s[40:41]
	s_cbranch_execz .LBB6_20108
; %bb.20095:                            ;   in Loop: Header=BB6_19750 Depth=3
	v_and_b32_e32 v9, 0x7fffffff, v8
	v_mov_b32_e32 v10, v51
	v_cmp_gt_u64_e32 vcc, s[78:79], v[9:10]
	v_and_b32_sdwa v11, v8, s96 dst_sel:DWORD dst_unused:UNUSED_PAD src0_sel:BYTE_3 src1_sel:DWORD
                                        ; implicit-def: $vgpr31
	s_and_saveexec_b64 s[40:41], vcc
	s_xor_b64 s[38:39], exec, s[40:41]
	s_cbranch_execz .LBB6_20105
; %bb.20096:                            ;   in Loop: Header=BB6_19750 Depth=3
	v_mov_b32_e32 v31, 0
	v_cmp_ne_u32_e32 vcc, 0, v8
	s_and_saveexec_b64 s[48:49], vcc
	s_cbranch_execz .LBB6_20104
; %bb.20097:                            ;   in Loop: Header=BB6_19750 Depth=3
	v_bfe_u32 v18, v8, 23, 8
	v_and_b32_e32 v9, 0x7fffff, v8
	v_cmp_gt_u32_e64 s[40:41], s97, v18
	v_sub_u32_e32 v8, 0x79, v18
	v_cmp_eq_u32_e32 vcc, 0, v18
	v_cndmask_b32_e64 v8, 0, v8, s[40:41]
	v_mov_b32_e32 v19, 0x78
	v_or_b32_e32 v10, 0x800000, v9
	v_cndmask_b32_e32 v19, v8, v19, vcc
	v_cndmask_b32_e32 v8, v10, v9, vcc
	v_add_u32_e32 v10, 20, v19
	v_lshlrev_b64 v[20:21], v10, -1
	v_mov_b32_e32 v9, v51
	v_add_u32_e32 v10, 19, v19
	v_bfi_b32 v20, v20, 0, v8
	v_lshlrev_b64 v[38:39], v10, 1
	v_lshrrev_b64 v[8:9], v19, v[8:9]
	v_bfi_b32 v21, v21, 0, 0
	v_cmp_eq_u64_e64 s[40:41], v[20:21], v[38:39]
	v_mov_b32_e32 v10, v9
	v_mov_b32_e32 v9, v8
	s_and_saveexec_b64 s[50:51], s[40:41]
; %bb.20098:                            ;   in Loop: Header=BB6_19750 Depth=3
	v_bfe_u32 v9, v8, 20, 1
	v_add_co_u32_e64 v9, s[40:41], v8, v9
	v_add_co_u32_e64 v9, s[40:41], -1, v9
; %bb.20099:                            ;   in Loop: Header=BB6_19750 Depth=3
	s_or_b64 exec, exec, s[50:51]
	v_add_u32_e32 v10, 0xffffff81, v18
	v_mov_b32_e32 v18, 0xffffff82
	v_cndmask_b32_e32 v10, v10, v18, vcc
	v_lshrrev_b32_e32 v18, 23, v8
	v_add3_u32 v19, v19, v10, v18
	v_add_u32_e32 v18, 6, v19
	v_and_b32_e32 v9, 0xfffff, v9
	v_add_u32_e32 v8, v9, v8
	v_mov_b32_e32 v9, v51
	v_cmp_ne_u32_e32 vcc, 0, v18
                                        ; implicit-def: $vgpr10
	s_and_saveexec_b64 s[40:41], vcc
	s_xor_b64 s[40:41], exec, s[40:41]
; %bb.20100:                            ;   in Loop: Header=BB6_19750 Depth=3
	v_cmp_lt_u64_e32 vcc, s[88:89], v[8:9]
	v_add_u32_e32 v10, 7, v19
	v_cndmask_b32_e32 v10, v18, v10, vcc
	v_cndmask_b32_e64 v18, 0, 1, vcc
	v_lshrrev_b64 v[8:9], v18, v[8:9]
; %bb.20101:                            ;   in Loop: Header=BB6_19750 Depth=3
	s_andn2_saveexec_b64 s[40:41], s[40:41]
; %bb.20102:                            ;   in Loop: Header=BB6_19750 Depth=3
	v_bfe_u32 v10, v8, 23, 1
; %bb.20103:                            ;   in Loop: Header=BB6_19750 Depth=3
	s_or_b64 exec, exec, s[40:41]
	v_lshrrev_b64 v[8:9], 20, v[8:9]
	v_cmp_gt_i32_e32 vcc, 16, v10
	v_cndmask_b32_e32 v9, 0, v9, vcc
	v_cndmask_b32_e32 v8, 7, v8, vcc
	v_cmp_eq_u64_e64 s[40:41], 0, v[8:9]
	v_min_i32_e32 v9, 15, v10
	v_lshlrev_b32_e32 v9, 3, v9
	v_cmp_eq_u32_e32 vcc, 0, v10
	v_and_b32_e32 v9, 0xf8, v9
	v_and_or_b32 v8, v8, 7, v9
	s_and_b64 s[40:41], vcc, s[40:41]
	v_cndmask_b32_e64 v8, v8, 0, s[40:41]
	v_or_b32_e32 v31, v8, v11
.LBB6_20104:                            ;   in Loop: Header=BB6_19750 Depth=3
	s_or_b64 exec, exec, s[48:49]
                                        ; implicit-def: $vgpr11
.LBB6_20105:                            ;   in Loop: Header=BB6_19750 Depth=3
	s_andn2_saveexec_b64 s[40:41], s[38:39]
; %bb.20106:                            ;   in Loop: Header=BB6_19750 Depth=3
	v_or_b32_e32 v31, 0x7e, v11
; %bb.20107:                            ;   in Loop: Header=BB6_19750 Depth=3
	s_or_b64 exec, exec, s[40:41]
                                        ; implicit-def: $vgpr8
.LBB6_20108:                            ;   in Loop: Header=BB6_19750 Depth=3
	s_andn2_saveexec_b64 s[40:41], s[36:37]
; %bb.20109:                            ;   in Loop: Header=BB6_19750 Depth=3
	v_or_b32_sdwa v31, v8, s86 dst_sel:DWORD dst_unused:UNUSED_PAD src0_sel:BYTE_3 src1_sel:DWORD
; %bb.20110:                            ;   in Loop: Header=BB6_19750 Depth=3
	s_or_b64 exec, exec, s[40:41]
	global_load_dwordx4 v[8:11], v[14:15], off glc slc
	v_lshl_or_b32 v24, v27, 8, v7
	v_lshlrev_b32_e32 v18, 16, v30
	v_lshlrev_b32_e32 v19, 24, v37
	v_or3_b32 v18, v18, v19, v24
	v_mov_b32_e32 v19, v51
	v_cmp_ne_u32_e32 vcc, 0, v7
	v_mov_b32_e32 v20, 0
	s_and_saveexec_b64 s[40:41], vcc
	s_cbranch_execz .LBB6_20116
; %bb.20111:                            ;   in Loop: Header=BB6_19750 Depth=3
	v_cmp_ne_u32_e32 vcc, s96, v7
	v_bfrev_b32_e32 v20, 1
	s_and_saveexec_b64 s[36:37], vcc
	s_cbranch_execz .LBB6_20115
; %bb.20112:                            ;   in Loop: Header=BB6_19750 Depth=3
	v_and_b32_e32 v21, 0x7f, v7
	v_cmp_ne_u32_e32 vcc, s86, v21
	v_mov_b32_e32 v20, 0x7f800001
	s_and_saveexec_b64 s[38:39], vcc
	s_cbranch_execz .LBB6_20114
; %bb.20113:                            ;   in Loop: Header=BB6_19750 Depth=3
	v_and_b32_e32 v7, 7, v7
	v_ffbh_u32_e32 v7, v7
	v_min_u32_e32 v7, 32, v7
	v_lshrrev_b32_e32 v20, 3, v21
	v_cmp_gt_u32_e32 vcc, 8, v21
	v_subrev_u32_e32 v21, 28, v7
	v_sub_u32_e32 v7, 29, v7
	v_cndmask_b32_e32 v7, v20, v7, vcc
	v_cndmask_b32_e32 v20, 0, v21, vcc
	v_lshlrev_b64 v[19:20], v20, v[18:19]
	v_lshlrev_b32_e32 v20, 24, v18
	v_lshlrev_b32_e32 v19, 20, v19
	v_bfrev_b32_e32 v21, 60
	v_and_b32_e32 v19, 0x700000, v19
	v_and_b32_e32 v20, 0x80000000, v20
	v_lshl_add_u32 v7, v7, 23, v21
	v_or3_b32 v20, v20, v7, v19
.LBB6_20114:                            ;   in Loop: Header=BB6_19750 Depth=3
	s_or_b64 exec, exec, s[38:39]
.LBB6_20115:                            ;   in Loop: Header=BB6_19750 Depth=3
	s_or_b64 exec, exec, s[36:37]
.LBB6_20116:                            ;   in Loop: Header=BB6_19750 Depth=3
	s_or_b64 exec, exec, s[40:41]
	s_waitcnt vmcnt(0)
	v_cmp_gt_i16_sdwa vcc, v8, s86 src0_sel:BYTE_0 src1_sel:DWORD
	s_mov_b64 s[40:41], 0
	s_and_saveexec_b64 s[36:37], vcc
	s_xor_b64 vcc, exec, s[36:37]
	s_cbranch_execz .LBB6_20538
; %bb.20117:                            ;   in Loop: Header=BB6_19750 Depth=3
	v_cmp_eq_u16_sdwa s[38:39], v8, s96 src0_sel:BYTE_0 src1_sel:DWORD
	s_mov_b64 s[40:41], -1
	s_and_saveexec_b64 s[36:37], s[38:39]
; %bb.20118:                            ;   in Loop: Header=BB6_19750 Depth=3
	s_xor_b64 s[40:41], exec, -1
; %bb.20119:                            ;   in Loop: Header=BB6_19750 Depth=3
	s_or_b64 exec, exec, s[36:37]
	s_and_b64 s[40:41], s[40:41], exec
	s_or_saveexec_b64 vcc, vcc
	v_bfrev_b32_e32 v7, 1
	s_xor_b64 exec, exec, vcc
	s_cbranch_execnz .LBB6_20539
.LBB6_20120:                            ;   in Loop: Header=BB6_19750 Depth=3
	s_or_b64 exec, exec, vcc
	s_and_saveexec_b64 s[36:37], s[40:41]
	s_cbranch_execz .LBB6_20122
.LBB6_20121:                            ;   in Loop: Header=BB6_19750 Depth=3
	v_and_b32_e32 v7, 7, v8
	v_ffbh_u32_e32 v7, v7
	v_and_b32_e32 v19, 0x7f, v8
	v_min_u32_e32 v7, 32, v7
	v_bfe_u32 v21, v8, 3, 4
	v_subrev_u32_e32 v27, 28, v7
	v_sub_u32_e32 v7, 29, v7
	v_cmp_gt_u32_e32 vcc, 8, v19
	v_cndmask_b32_e32 v7, v21, v7, vcc
	v_cndmask_b32_e32 v21, 0, v27, vcc
	v_lshlrev_b64 v[37:38], v21, v[8:9]
	v_lshlrev_b32_e32 v27, 24, v8
	v_lshlrev_b32_e32 v21, 20, v37
	v_bfrev_b32_e32 v30, 60
	v_and_b32_e32 v21, 0x700000, v21
	v_and_b32_e32 v27, 0x80000000, v27
	v_lshl_add_u32 v7, v7, 23, v30
	v_or3_b32 v7, v27, v7, v21
	v_cmp_ne_u32_e32 vcc, s86, v19
	v_mov_b32_e32 v19, 0x7f800001
	v_cndmask_b32_e32 v7, v19, v7, vcc
.LBB6_20122:                            ;   in Loop: Header=BB6_19750 Depth=3
	s_or_b64 exec, exec, s[36:37]
	v_add_f32_e32 v19, v20, v7
	v_and_b32_e32 v20, 0x7f800000, v19
	v_mov_b32_e32 v21, v51
	v_cmp_ne_u64_e32 vcc, s[76:77], v[20:21]
                                        ; implicit-def: $vgpr7
	s_and_saveexec_b64 s[40:41], vcc
	s_xor_b64 s[36:37], exec, s[40:41]
	s_cbranch_execz .LBB6_20136
; %bb.20123:                            ;   in Loop: Header=BB6_19750 Depth=3
	v_and_b32_e32 v20, 0x7fffffff, v19
	v_mov_b32_e32 v21, v51
	v_cmp_gt_u64_e32 vcc, s[78:79], v[20:21]
	v_and_b32_sdwa v27, v19, s96 dst_sel:DWORD dst_unused:UNUSED_PAD src0_sel:BYTE_3 src1_sel:DWORD
                                        ; implicit-def: $vgpr7
	s_and_saveexec_b64 s[40:41], vcc
	s_xor_b64 s[38:39], exec, s[40:41]
	s_cbranch_execz .LBB6_20133
; %bb.20124:                            ;   in Loop: Header=BB6_19750 Depth=3
	v_mov_b32_e32 v7, 0
	v_cmp_ne_u32_e32 vcc, 0, v19
	s_and_saveexec_b64 s[48:49], vcc
	s_cbranch_execz .LBB6_20132
; %bb.20125:                            ;   in Loop: Header=BB6_19750 Depth=3
	v_bfe_u32 v7, v19, 23, 8
	v_and_b32_e32 v20, 0x7fffff, v19
	v_cmp_gt_u32_e64 s[40:41], s97, v7
	v_sub_u32_e32 v19, 0x79, v7
	v_cmp_eq_u32_e32 vcc, 0, v7
	v_cndmask_b32_e64 v19, 0, v19, s[40:41]
	v_mov_b32_e32 v30, 0x78
	v_or_b32_e32 v21, 0x800000, v20
	v_cndmask_b32_e32 v30, v19, v30, vcc
	v_cndmask_b32_e32 v19, v21, v20, vcc
	v_add_u32_e32 v21, 20, v30
	v_lshlrev_b64 v[37:38], v21, -1
	v_mov_b32_e32 v20, v51
	v_add_u32_e32 v21, 19, v30
	v_bfi_b32 v37, v37, 0, v19
	v_lshlrev_b64 v[48:49], v21, 1
	v_lshrrev_b64 v[19:20], v30, v[19:20]
	v_bfi_b32 v38, v38, 0, 0
	v_cmp_eq_u64_e64 s[40:41], v[37:38], v[48:49]
	v_mov_b32_e32 v21, v20
	v_mov_b32_e32 v20, v19
	s_and_saveexec_b64 s[50:51], s[40:41]
; %bb.20126:                            ;   in Loop: Header=BB6_19750 Depth=3
	v_bfe_u32 v20, v19, 20, 1
	v_add_co_u32_e64 v20, s[40:41], v19, v20
	v_add_co_u32_e64 v20, s[40:41], -1, v20
; %bb.20127:                            ;   in Loop: Header=BB6_19750 Depth=3
	s_or_b64 exec, exec, s[50:51]
	v_add_u32_e32 v7, 0xffffff81, v7
	v_mov_b32_e32 v21, 0xffffff82
	v_cndmask_b32_e32 v7, v7, v21, vcc
	v_lshrrev_b32_e32 v21, 23, v19
	v_add3_u32 v30, v30, v7, v21
	v_add_u32_e32 v21, 6, v30
	v_and_b32_e32 v7, 0xfffff, v20
	v_add_u32_e32 v19, v7, v19
	v_mov_b32_e32 v20, v51
	v_cmp_ne_u32_e32 vcc, 0, v21
                                        ; implicit-def: $vgpr7
	s_and_saveexec_b64 s[40:41], vcc
	s_xor_b64 s[40:41], exec, s[40:41]
; %bb.20128:                            ;   in Loop: Header=BB6_19750 Depth=3
	v_cmp_lt_u64_e32 vcc, s[88:89], v[19:20]
	v_add_u32_e32 v7, 7, v30
	v_cndmask_b32_e32 v7, v21, v7, vcc
	v_cndmask_b32_e64 v21, 0, 1, vcc
	v_lshrrev_b64 v[19:20], v21, v[19:20]
; %bb.20129:                            ;   in Loop: Header=BB6_19750 Depth=3
	s_andn2_saveexec_b64 s[40:41], s[40:41]
; %bb.20130:                            ;   in Loop: Header=BB6_19750 Depth=3
	v_bfe_u32 v7, v19, 23, 1
; %bb.20131:                            ;   in Loop: Header=BB6_19750 Depth=3
	s_or_b64 exec, exec, s[40:41]
	v_lshrrev_b64 v[19:20], 20, v[19:20]
	v_cmp_gt_i32_e32 vcc, 16, v7
	v_cndmask_b32_e32 v20, 0, v20, vcc
	v_cndmask_b32_e32 v19, 7, v19, vcc
	v_cmp_eq_u32_e32 vcc, 0, v7
	v_min_i32_e32 v7, 15, v7
	v_cmp_eq_u64_e64 s[40:41], 0, v[19:20]
	v_lshlrev_b32_e32 v7, 3, v7
	v_and_b32_e32 v7, 0xf8, v7
	v_and_or_b32 v7, v19, 7, v7
	s_and_b64 s[40:41], vcc, s[40:41]
	v_cndmask_b32_e64 v7, v7, 0, s[40:41]
	v_or_b32_e32 v7, v7, v27
.LBB6_20132:                            ;   in Loop: Header=BB6_19750 Depth=3
	s_or_b64 exec, exec, s[48:49]
                                        ; implicit-def: $vgpr27
.LBB6_20133:                            ;   in Loop: Header=BB6_19750 Depth=3
	s_andn2_saveexec_b64 s[40:41], s[38:39]
; %bb.20134:                            ;   in Loop: Header=BB6_19750 Depth=3
	v_or_b32_e32 v7, 0x7e, v27
; %bb.20135:                            ;   in Loop: Header=BB6_19750 Depth=3
	s_or_b64 exec, exec, s[40:41]
                                        ; implicit-def: $vgpr19
.LBB6_20136:                            ;   in Loop: Header=BB6_19750 Depth=3
	s_andn2_saveexec_b64 s[40:41], s[36:37]
; %bb.20137:                            ;   in Loop: Header=BB6_19750 Depth=3
	v_or_b32_sdwa v7, v19, s86 dst_sel:DWORD dst_unused:UNUSED_PAD src0_sel:BYTE_3 src1_sel:DWORD
; %bb.20138:                            ;   in Loop: Header=BB6_19750 Depth=3
	s_or_b64 exec, exec, s[40:41]
	v_lshrrev_b16_e32 v19, 8, v24
	v_cmp_ne_u16_e32 vcc, 0, v19
	v_mov_b32_e32 v21, 0
	s_and_saveexec_b64 s[40:41], vcc
	s_cbranch_execz .LBB6_20144
; %bb.20139:                            ;   in Loop: Header=BB6_19750 Depth=3
	v_cmp_ne_u16_e32 vcc, s96, v19
	v_bfrev_b32_e32 v21, 1
	s_and_saveexec_b64 s[36:37], vcc
	s_cbranch_execz .LBB6_20143
; %bb.20140:                            ;   in Loop: Header=BB6_19750 Depth=3
	v_and_b32_e32 v20, 0x7f, v19
	v_cmp_ne_u32_e32 vcc, s86, v20
	v_mov_b32_e32 v21, 0x7f800001
	s_and_saveexec_b64 s[38:39], vcc
	s_cbranch_execz .LBB6_20142
; %bb.20141:                            ;   in Loop: Header=BB6_19750 Depth=3
	v_and_b32_e32 v21, 7, v19
	v_lshrrev_b32_e32 v27, 3, v20
	v_cmp_gt_u32_e32 vcc, 8, v20
	v_ffbh_u32_e32 v20, v21
	v_min_u32_e32 v30, 32, v20
	v_subrev_u32_e32 v20, 28, v30
	v_lshlrev_b64 v[19:20], v20, v[19:20]
	v_sub_u32_e32 v20, 29, v30
	v_and_b32_e32 v19, 7, v19
	v_cndmask_b32_e32 v20, v27, v20, vcc
	v_cndmask_b32_e32 v19, v21, v19, vcc
	v_lshlrev_b32_e32 v21, 16, v24
	v_bfrev_b32_e32 v24, 60
	v_lshlrev_b32_e32 v19, 20, v19
	v_and_b32_e32 v21, 0x80000000, v21
	v_lshl_add_u32 v20, v20, 23, v24
	v_or3_b32 v21, v21, v20, v19
.LBB6_20142:                            ;   in Loop: Header=BB6_19750 Depth=3
	s_or_b64 exec, exec, s[38:39]
.LBB6_20143:                            ;   in Loop: Header=BB6_19750 Depth=3
	s_or_b64 exec, exec, s[36:37]
.LBB6_20144:                            ;   in Loop: Header=BB6_19750 Depth=3
	s_or_b64 exec, exec, s[40:41]
	v_lshrrev_b16_e32 v19, 8, v8
	v_cmp_lt_i16_e32 vcc, s86, v19
	s_mov_b64 s[40:41], 0
	s_and_saveexec_b64 s[36:37], vcc
	s_xor_b64 s[36:37], exec, s[36:37]
	s_cbranch_execz .LBB6_20540
; %bb.20145:                            ;   in Loop: Header=BB6_19750 Depth=3
	v_cmp_eq_u16_e32 vcc, s96, v19
	s_mov_b64 s[40:41], -1
	s_and_saveexec_b64 s[38:39], vcc
; %bb.20146:                            ;   in Loop: Header=BB6_19750 Depth=3
	s_xor_b64 s[40:41], exec, -1
; %bb.20147:                            ;   in Loop: Header=BB6_19750 Depth=3
	s_or_b64 exec, exec, s[38:39]
	s_and_b64 s[40:41], s[40:41], exec
	s_or_saveexec_b64 s[36:37], s[36:37]
	v_bfrev_b32_e32 v20, 1
	s_xor_b64 exec, exec, s[36:37]
	s_cbranch_execnz .LBB6_20541
.LBB6_20148:                            ;   in Loop: Header=BB6_19750 Depth=3
	s_or_b64 exec, exec, s[36:37]
	s_and_saveexec_b64 s[36:37], s[40:41]
	s_cbranch_execz .LBB6_20150
.LBB6_20149:                            ;   in Loop: Header=BB6_19750 Depth=3
	v_and_b32_e32 v24, 7, v19
	v_ffbh_u32_e32 v37, v24
	v_min_u32_e32 v39, 32, v37
	v_mov_b32_e32 v20, v51
	v_subrev_u32_e32 v37, 28, v39
	v_lshlrev_b64 v[37:38], v37, v[19:20]
	v_and_b32_e32 v27, 0x7f, v19
	v_bfe_u32 v30, v19, 3, 4
	v_sub_u32_e32 v20, 29, v39
	v_and_b32_e32 v37, 7, v37
	v_cmp_gt_u32_e32 vcc, 8, v27
	v_cndmask_b32_e32 v20, v30, v20, vcc
	v_cndmask_b32_e32 v24, v24, v37, vcc
	v_lshlrev_b32_e32 v19, 24, v19
	v_bfrev_b32_e32 v30, 60
	v_lshlrev_b32_e32 v24, 20, v24
	v_and_b32_e32 v19, 0x80000000, v19
	v_lshl_add_u32 v20, v20, 23, v30
	v_or3_b32 v19, v19, v20, v24
	v_cmp_ne_u32_e32 vcc, s86, v27
	v_mov_b32_e32 v20, 0x7f800001
	v_cndmask_b32_e32 v20, v20, v19, vcc
.LBB6_20150:                            ;   in Loop: Header=BB6_19750 Depth=3
	s_or_b64 exec, exec, s[36:37]
	v_add_f32_e32 v19, v21, v20
	v_and_b32_e32 v20, 0x7f800000, v19
	v_mov_b32_e32 v21, v51
	v_cmp_ne_u64_e32 vcc, s[76:77], v[20:21]
                                        ; implicit-def: $vgpr24
	s_and_saveexec_b64 s[40:41], vcc
	s_xor_b64 s[36:37], exec, s[40:41]
	s_cbranch_execz .LBB6_20164
; %bb.20151:                            ;   in Loop: Header=BB6_19750 Depth=3
	v_and_b32_e32 v20, 0x7fffffff, v19
	v_mov_b32_e32 v21, v51
	v_cmp_gt_u64_e32 vcc, s[78:79], v[20:21]
	v_and_b32_sdwa v27, v19, s96 dst_sel:DWORD dst_unused:UNUSED_PAD src0_sel:BYTE_3 src1_sel:DWORD
                                        ; implicit-def: $vgpr24
	s_and_saveexec_b64 s[40:41], vcc
	s_xor_b64 s[38:39], exec, s[40:41]
	s_cbranch_execz .LBB6_20161
; %bb.20152:                            ;   in Loop: Header=BB6_19750 Depth=3
	v_mov_b32_e32 v24, 0
	v_cmp_ne_u32_e32 vcc, 0, v19
	s_and_saveexec_b64 s[48:49], vcc
	s_cbranch_execz .LBB6_20160
; %bb.20153:                            ;   in Loop: Header=BB6_19750 Depth=3
	v_bfe_u32 v24, v19, 23, 8
	v_and_b32_e32 v20, 0x7fffff, v19
	v_cmp_gt_u32_e64 s[40:41], s97, v24
	v_sub_u32_e32 v19, 0x79, v24
	v_cmp_eq_u32_e32 vcc, 0, v24
	v_cndmask_b32_e64 v19, 0, v19, s[40:41]
	v_mov_b32_e32 v30, 0x78
	v_or_b32_e32 v21, 0x800000, v20
	v_cndmask_b32_e32 v30, v19, v30, vcc
	v_cndmask_b32_e32 v19, v21, v20, vcc
	v_add_u32_e32 v21, 20, v30
	v_lshlrev_b64 v[37:38], v21, -1
	v_mov_b32_e32 v20, v51
	v_add_u32_e32 v21, 19, v30
	v_bfi_b32 v37, v37, 0, v19
	v_lshlrev_b64 v[48:49], v21, 1
	v_lshrrev_b64 v[19:20], v30, v[19:20]
	v_bfi_b32 v38, v38, 0, 0
	v_cmp_eq_u64_e64 s[40:41], v[37:38], v[48:49]
	v_mov_b32_e32 v21, v20
	v_mov_b32_e32 v20, v19
	s_and_saveexec_b64 s[50:51], s[40:41]
; %bb.20154:                            ;   in Loop: Header=BB6_19750 Depth=3
	v_bfe_u32 v20, v19, 20, 1
	v_add_co_u32_e64 v20, s[40:41], v19, v20
	v_add_co_u32_e64 v20, s[40:41], -1, v20
; %bb.20155:                            ;   in Loop: Header=BB6_19750 Depth=3
	s_or_b64 exec, exec, s[50:51]
	v_add_u32_e32 v21, 0xffffff81, v24
	v_mov_b32_e32 v24, 0xffffff82
	v_cndmask_b32_e32 v21, v21, v24, vcc
	v_lshrrev_b32_e32 v24, 23, v19
	v_add3_u32 v30, v30, v21, v24
	v_add_u32_e32 v24, 6, v30
	v_and_b32_e32 v20, 0xfffff, v20
	v_add_u32_e32 v19, v20, v19
	v_mov_b32_e32 v20, v51
	v_cmp_ne_u32_e32 vcc, 0, v24
                                        ; implicit-def: $vgpr21
	s_and_saveexec_b64 s[40:41], vcc
	s_xor_b64 s[40:41], exec, s[40:41]
; %bb.20156:                            ;   in Loop: Header=BB6_19750 Depth=3
	v_cmp_lt_u64_e32 vcc, s[88:89], v[19:20]
	v_add_u32_e32 v21, 7, v30
	v_cndmask_b32_e32 v21, v24, v21, vcc
	v_cndmask_b32_e64 v24, 0, 1, vcc
	v_lshrrev_b64 v[19:20], v24, v[19:20]
; %bb.20157:                            ;   in Loop: Header=BB6_19750 Depth=3
	s_andn2_saveexec_b64 s[40:41], s[40:41]
; %bb.20158:                            ;   in Loop: Header=BB6_19750 Depth=3
	v_bfe_u32 v21, v19, 23, 1
; %bb.20159:                            ;   in Loop: Header=BB6_19750 Depth=3
	s_or_b64 exec, exec, s[40:41]
	v_lshrrev_b64 v[19:20], 20, v[19:20]
	v_cmp_gt_i32_e32 vcc, 16, v21
	v_cndmask_b32_e32 v20, 0, v20, vcc
	v_cndmask_b32_e32 v19, 7, v19, vcc
	v_cmp_eq_u64_e64 s[40:41], 0, v[19:20]
	v_min_i32_e32 v20, 15, v21
	v_lshlrev_b32_e32 v20, 3, v20
	v_cmp_eq_u32_e32 vcc, 0, v21
	v_and_b32_e32 v20, 0xf8, v20
	v_and_or_b32 v19, v19, 7, v20
	s_and_b64 s[40:41], vcc, s[40:41]
	v_cndmask_b32_e64 v19, v19, 0, s[40:41]
	v_or_b32_e32 v24, v19, v27
.LBB6_20160:                            ;   in Loop: Header=BB6_19750 Depth=3
	s_or_b64 exec, exec, s[48:49]
                                        ; implicit-def: $vgpr27
.LBB6_20161:                            ;   in Loop: Header=BB6_19750 Depth=3
	s_andn2_saveexec_b64 s[40:41], s[38:39]
; %bb.20162:                            ;   in Loop: Header=BB6_19750 Depth=3
	v_or_b32_e32 v24, 0x7e, v27
; %bb.20163:                            ;   in Loop: Header=BB6_19750 Depth=3
	s_or_b64 exec, exec, s[40:41]
                                        ; implicit-def: $vgpr19
.LBB6_20164:                            ;   in Loop: Header=BB6_19750 Depth=3
	s_andn2_saveexec_b64 s[40:41], s[36:37]
; %bb.20165:                            ;   in Loop: Header=BB6_19750 Depth=3
	v_or_b32_sdwa v24, v19, s86 dst_sel:DWORD dst_unused:UNUSED_PAD src0_sel:BYTE_3 src1_sel:DWORD
; %bb.20166:                            ;   in Loop: Header=BB6_19750 Depth=3
	s_or_b64 exec, exec, s[40:41]
	v_and_b32_sdwa v21, v18, s87 dst_sel:DWORD dst_unused:UNUSED_PAD src0_sel:WORD_1 src1_sel:DWORD
	v_lshrrev_b32_e32 v19, 16, v18
	v_cmp_ne_u16_e32 vcc, 0, v21
	v_mov_b32_e32 v20, 0
	s_and_saveexec_b64 s[40:41], vcc
	s_cbranch_execz .LBB6_20172
; %bb.20167:                            ;   in Loop: Header=BB6_19750 Depth=3
	v_cmp_ne_u16_e32 vcc, s96, v21
	v_bfrev_b32_e32 v20, 1
	s_and_saveexec_b64 s[36:37], vcc
	s_cbranch_execz .LBB6_20171
; %bb.20168:                            ;   in Loop: Header=BB6_19750 Depth=3
	v_bfe_u32 v21, v18, 16, 7
	v_cmp_ne_u32_e32 vcc, s86, v21
	v_mov_b32_e32 v20, 0x7f800001
	s_and_saveexec_b64 s[38:39], vcc
	s_cbranch_execz .LBB6_20170
; %bb.20169:                            ;   in Loop: Header=BB6_19750 Depth=3
	v_and_b32_e32 v27, 7, v19
	v_ffbh_u32_e32 v20, v27
	v_lshrrev_b32_e32 v30, 3, v21
	v_cmp_gt_u32_e32 vcc, 8, v21
	v_min_u32_e32 v21, 32, v20
	v_subrev_u32_e32 v20, 28, v21
	v_lshlrev_b64 v[19:20], v20, v[19:20]
	v_sub_u32_e32 v20, 29, v21
	v_and_b32_e32 v19, 7, v19
	v_mov_b32_e32 v21, 24
	v_cndmask_b32_e32 v20, v30, v20, vcc
	v_cndmask_b32_e32 v19, v27, v19, vcc
	v_lshlrev_b32_sdwa v21, v21, v18 dst_sel:DWORD dst_unused:UNUSED_PAD src0_sel:DWORD src1_sel:WORD_1
	v_bfrev_b32_e32 v27, 60
	v_lshlrev_b32_e32 v19, 20, v19
	v_and_b32_e32 v21, 0x80000000, v21
	v_lshl_add_u32 v20, v20, 23, v27
	v_or3_b32 v20, v21, v20, v19
.LBB6_20170:                            ;   in Loop: Header=BB6_19750 Depth=3
	s_or_b64 exec, exec, s[38:39]
.LBB6_20171:                            ;   in Loop: Header=BB6_19750 Depth=3
	s_or_b64 exec, exec, s[36:37]
.LBB6_20172:                            ;   in Loop: Header=BB6_19750 Depth=3
	s_or_b64 exec, exec, s[40:41]
	v_lshrrev_b32_e32 v19, 16, v8
	v_cmp_gt_i16_sdwa vcc, v19, s86 src0_sel:BYTE_0 src1_sel:DWORD
	s_mov_b64 s[40:41], 0
	s_and_saveexec_b64 s[36:37], vcc
	s_xor_b64 vcc, exec, s[36:37]
	s_cbranch_execz .LBB6_20542
; %bb.20173:                            ;   in Loop: Header=BB6_19750 Depth=3
	v_cmp_eq_u16_sdwa s[38:39], v19, s96 src0_sel:BYTE_0 src1_sel:DWORD
	s_mov_b64 s[40:41], -1
	s_and_saveexec_b64 s[36:37], s[38:39]
; %bb.20174:                            ;   in Loop: Header=BB6_19750 Depth=3
	s_xor_b64 s[40:41], exec, -1
; %bb.20175:                            ;   in Loop: Header=BB6_19750 Depth=3
	s_or_b64 exec, exec, s[36:37]
	s_and_b64 s[40:41], s[40:41], exec
	s_or_saveexec_b64 vcc, vcc
	v_bfrev_b32_e32 v21, 1
	s_xor_b64 exec, exec, vcc
	s_cbranch_execnz .LBB6_20543
.LBB6_20176:                            ;   in Loop: Header=BB6_19750 Depth=3
	s_or_b64 exec, exec, vcc
	s_and_saveexec_b64 s[36:37], s[40:41]
	s_cbranch_execz .LBB6_20178
.LBB6_20177:                            ;   in Loop: Header=BB6_19750 Depth=3
	v_and_b32_e32 v21, 7, v19
	v_ffbh_u32_e32 v37, v21
	v_min_u32_e32 v39, 32, v37
	v_subrev_u32_e32 v37, 28, v39
	v_lshlrev_b64 v[37:38], v37, v[19:20]
	v_and_b32_e32 v27, 0x7f, v19
	v_bfe_u32 v30, v19, 3, 4
	v_sub_u32_e32 v38, 29, v39
	v_and_b32_e32 v37, 7, v37
	v_cmp_gt_u32_e32 vcc, 8, v27
	v_cndmask_b32_e32 v30, v30, v38, vcc
	v_cndmask_b32_e32 v21, v21, v37, vcc
	v_lshlrev_b32_e32 v19, 24, v19
	v_bfrev_b32_e32 v37, 60
	v_lshlrev_b32_e32 v21, 20, v21
	v_and_b32_e32 v19, 0x80000000, v19
	v_lshl_add_u32 v30, v30, 23, v37
	v_or3_b32 v19, v19, v30, v21
	v_cmp_ne_u32_e32 vcc, s86, v27
	v_mov_b32_e32 v21, 0x7f800001
	v_cndmask_b32_e32 v21, v21, v19, vcc
.LBB6_20178:                            ;   in Loop: Header=BB6_19750 Depth=3
	s_or_b64 exec, exec, s[36:37]
	v_add_f32_e32 v19, v20, v21
	v_and_b32_e32 v20, 0x7f800000, v19
	v_mov_b32_e32 v21, v51
	v_cmp_ne_u64_e32 vcc, s[76:77], v[20:21]
                                        ; implicit-def: $vgpr27
	s_and_saveexec_b64 s[40:41], vcc
	s_xor_b64 s[36:37], exec, s[40:41]
	s_cbranch_execz .LBB6_20192
; %bb.20179:                            ;   in Loop: Header=BB6_19750 Depth=3
	v_and_b32_e32 v20, 0x7fffffff, v19
	v_mov_b32_e32 v21, v51
	v_cmp_gt_u64_e32 vcc, s[78:79], v[20:21]
	v_and_b32_sdwa v30, v19, s96 dst_sel:DWORD dst_unused:UNUSED_PAD src0_sel:BYTE_3 src1_sel:DWORD
                                        ; implicit-def: $vgpr27
	s_and_saveexec_b64 s[40:41], vcc
	s_xor_b64 s[38:39], exec, s[40:41]
	s_cbranch_execz .LBB6_20189
; %bb.20180:                            ;   in Loop: Header=BB6_19750 Depth=3
	v_mov_b32_e32 v27, 0
	v_cmp_ne_u32_e32 vcc, 0, v19
	s_and_saveexec_b64 s[48:49], vcc
	s_cbranch_execz .LBB6_20188
; %bb.20181:                            ;   in Loop: Header=BB6_19750 Depth=3
	v_bfe_u32 v27, v19, 23, 8
	v_and_b32_e32 v20, 0x7fffff, v19
	v_cmp_gt_u32_e64 s[40:41], s97, v27
	v_sub_u32_e32 v19, 0x79, v27
	v_cmp_eq_u32_e32 vcc, 0, v27
	v_cndmask_b32_e64 v19, 0, v19, s[40:41]
	v_mov_b32_e32 v37, 0x78
	v_or_b32_e32 v21, 0x800000, v20
	v_cndmask_b32_e32 v37, v19, v37, vcc
	v_cndmask_b32_e32 v19, v21, v20, vcc
	v_add_u32_e32 v21, 20, v37
	v_lshlrev_b64 v[38:39], v21, -1
	v_mov_b32_e32 v20, v51
	v_add_u32_e32 v21, 19, v37
	v_bfi_b32 v38, v38, 0, v19
	v_lshlrev_b64 v[48:49], v21, 1
	v_lshrrev_b64 v[19:20], v37, v[19:20]
	v_bfi_b32 v39, v39, 0, 0
	v_cmp_eq_u64_e64 s[40:41], v[38:39], v[48:49]
	v_mov_b32_e32 v21, v20
	v_mov_b32_e32 v20, v19
	s_and_saveexec_b64 s[50:51], s[40:41]
; %bb.20182:                            ;   in Loop: Header=BB6_19750 Depth=3
	v_bfe_u32 v20, v19, 20, 1
	v_add_co_u32_e64 v20, s[40:41], v19, v20
	v_add_co_u32_e64 v20, s[40:41], -1, v20
; %bb.20183:                            ;   in Loop: Header=BB6_19750 Depth=3
	s_or_b64 exec, exec, s[50:51]
	v_add_u32_e32 v21, 0xffffff81, v27
	v_mov_b32_e32 v27, 0xffffff82
	v_cndmask_b32_e32 v21, v21, v27, vcc
	v_lshrrev_b32_e32 v27, 23, v19
	v_add3_u32 v37, v37, v21, v27
	v_add_u32_e32 v27, 6, v37
	v_and_b32_e32 v20, 0xfffff, v20
	v_add_u32_e32 v19, v20, v19
	v_mov_b32_e32 v20, v51
	v_cmp_ne_u32_e32 vcc, 0, v27
                                        ; implicit-def: $vgpr21
	s_and_saveexec_b64 s[40:41], vcc
	s_xor_b64 s[40:41], exec, s[40:41]
; %bb.20184:                            ;   in Loop: Header=BB6_19750 Depth=3
	v_cmp_lt_u64_e32 vcc, s[88:89], v[19:20]
	v_add_u32_e32 v21, 7, v37
	v_cndmask_b32_e32 v21, v27, v21, vcc
	v_cndmask_b32_e64 v27, 0, 1, vcc
	v_lshrrev_b64 v[19:20], v27, v[19:20]
; %bb.20185:                            ;   in Loop: Header=BB6_19750 Depth=3
	s_andn2_saveexec_b64 s[40:41], s[40:41]
; %bb.20186:                            ;   in Loop: Header=BB6_19750 Depth=3
	v_bfe_u32 v21, v19, 23, 1
; %bb.20187:                            ;   in Loop: Header=BB6_19750 Depth=3
	s_or_b64 exec, exec, s[40:41]
	v_lshrrev_b64 v[19:20], 20, v[19:20]
	v_cmp_gt_i32_e32 vcc, 16, v21
	v_cndmask_b32_e32 v20, 0, v20, vcc
	v_cndmask_b32_e32 v19, 7, v19, vcc
	v_cmp_eq_u64_e64 s[40:41], 0, v[19:20]
	v_min_i32_e32 v20, 15, v21
	v_lshlrev_b32_e32 v20, 3, v20
	v_cmp_eq_u32_e32 vcc, 0, v21
	v_and_b32_e32 v20, 0xf8, v20
	v_and_or_b32 v19, v19, 7, v20
	s_and_b64 s[40:41], vcc, s[40:41]
	v_cndmask_b32_e64 v19, v19, 0, s[40:41]
	v_or_b32_e32 v27, v19, v30
.LBB6_20188:                            ;   in Loop: Header=BB6_19750 Depth=3
	s_or_b64 exec, exec, s[48:49]
                                        ; implicit-def: $vgpr30
.LBB6_20189:                            ;   in Loop: Header=BB6_19750 Depth=3
	s_andn2_saveexec_b64 s[40:41], s[38:39]
; %bb.20190:                            ;   in Loop: Header=BB6_19750 Depth=3
	v_or_b32_e32 v27, 0x7e, v30
; %bb.20191:                            ;   in Loop: Header=BB6_19750 Depth=3
	s_or_b64 exec, exec, s[40:41]
                                        ; implicit-def: $vgpr19
.LBB6_20192:                            ;   in Loop: Header=BB6_19750 Depth=3
	s_andn2_saveexec_b64 s[40:41], s[36:37]
; %bb.20193:                            ;   in Loop: Header=BB6_19750 Depth=3
	v_or_b32_sdwa v27, v19, s86 dst_sel:DWORD dst_unused:UNUSED_PAD src0_sel:BYTE_3 src1_sel:DWORD
; %bb.20194:                            ;   in Loop: Header=BB6_19750 Depth=3
	s_or_b64 exec, exec, s[40:41]
	v_cmp_lt_u32_e32 vcc, s57, v18
	v_mov_b32_e32 v20, 0
	s_and_saveexec_b64 s[40:41], vcc
	s_cbranch_execz .LBB6_20200
; %bb.20195:                            ;   in Loop: Header=BB6_19750 Depth=3
	v_lshrrev_b32_e32 v19, 24, v18
	v_cmp_ne_u32_e32 vcc, s96, v19
	v_bfrev_b32_e32 v20, 1
	s_and_saveexec_b64 s[36:37], vcc
	s_cbranch_execz .LBB6_20199
; %bb.20196:                            ;   in Loop: Header=BB6_19750 Depth=3
	v_bfe_u32 v18, v18, 24, 7
	v_cmp_ne_u32_e32 vcc, s86, v18
	v_mov_b32_e32 v20, 0x7f800001
	s_and_saveexec_b64 s[38:39], vcc
	s_cbranch_execz .LBB6_20198
; %bb.20197:                            ;   in Loop: Header=BB6_19750 Depth=3
	v_and_b32_e32 v30, 7, v19
	v_lshrrev_b32_e32 v37, 3, v18
	v_cmp_gt_u32_e32 vcc, 8, v18
	v_ffbh_u32_e32 v18, v30
	v_min_u32_e32 v18, 32, v18
	v_subrev_u32_e32 v20, 28, v18
	v_lshlrev_b64 v[20:21], v20, v[19:20]
	v_sub_u32_e32 v18, 29, v18
	v_and_b32_e32 v20, 7, v20
	v_cndmask_b32_e32 v18, v37, v18, vcc
	v_cndmask_b32_e32 v20, v30, v20, vcc
	v_lshlrev_b32_e32 v19, 24, v19
	v_bfrev_b32_e32 v21, 60
	v_lshlrev_b32_e32 v20, 20, v20
	v_and_b32_e32 v19, 0x80000000, v19
	v_lshl_add_u32 v18, v18, 23, v21
	v_or3_b32 v20, v19, v18, v20
.LBB6_20198:                            ;   in Loop: Header=BB6_19750 Depth=3
	s_or_b64 exec, exec, s[38:39]
.LBB6_20199:                            ;   in Loop: Header=BB6_19750 Depth=3
	s_or_b64 exec, exec, s[36:37]
.LBB6_20200:                            ;   in Loop: Header=BB6_19750 Depth=3
	s_or_b64 exec, exec, s[40:41]
	v_bfe_u32 v19, v8, 24, 3
	v_ffbh_u32_e32 v37, v19
	v_min_u32_e32 v39, 32, v37
	v_lshrrev_b32_e32 v18, 24, v8
	v_subrev_u32_e32 v37, 28, v39
	v_lshlrev_b64 v[37:38], v37, v[18:19]
	v_bfe_u32 v21, v8, 24, 7
	v_bfe_u32 v30, v18, 3, 4
	v_sub_u32_e32 v38, 29, v39
	v_and_b32_e32 v37, 7, v37
	v_cmp_gt_u32_e32 vcc, 8, v21
	v_cndmask_b32_e32 v30, v30, v38, vcc
	v_cndmask_b32_e32 v19, v19, v37, vcc
	v_bfrev_b32_e32 v38, 60
	v_lshlrev_b32_e32 v19, 20, v19
	v_and_b32_e32 v37, 0x80000000, v8
	v_lshl_add_u32 v30, v30, 23, v38
	v_or3_b32 v19, v37, v30, v19
	v_cmp_ne_u32_e32 vcc, s86, v21
	v_mov_b32_e32 v21, 0x7f800001
	v_cndmask_b32_e32 v19, v21, v19, vcc
	v_cmp_ne_u32_e32 vcc, s96, v18
	v_bfrev_b32_e32 v18, 1
	v_cndmask_b32_e32 v18, v18, v19, vcc
	v_cmp_lt_u32_e32 vcc, s57, v8
	v_cndmask_b32_e32 v18, 0, v18, vcc
	v_add_f32_e32 v18, v18, v20
	v_and_b32_e32 v19, 0x7f800000, v18
	v_mov_b32_e32 v20, v51
	v_cmp_ne_u64_e32 vcc, s[76:77], v[19:20]
                                        ; implicit-def: $vgpr30
	s_and_saveexec_b64 s[40:41], vcc
	s_xor_b64 s[36:37], exec, s[40:41]
	s_cbranch_execz .LBB6_20214
; %bb.20201:                            ;   in Loop: Header=BB6_19750 Depth=3
	v_and_b32_e32 v19, 0x7fffffff, v18
	v_mov_b32_e32 v20, v51
	v_cmp_gt_u64_e32 vcc, s[78:79], v[19:20]
	v_and_b32_sdwa v21, v18, s96 dst_sel:DWORD dst_unused:UNUSED_PAD src0_sel:BYTE_3 src1_sel:DWORD
                                        ; implicit-def: $vgpr30
	s_and_saveexec_b64 s[40:41], vcc
	s_xor_b64 s[38:39], exec, s[40:41]
	s_cbranch_execz .LBB6_20211
; %bb.20202:                            ;   in Loop: Header=BB6_19750 Depth=3
	v_mov_b32_e32 v30, 0
	v_cmp_ne_u32_e32 vcc, 0, v18
	s_and_saveexec_b64 s[48:49], vcc
	s_cbranch_execz .LBB6_20210
; %bb.20203:                            ;   in Loop: Header=BB6_19750 Depth=3
	v_bfe_u32 v30, v18, 23, 8
	v_and_b32_e32 v19, 0x7fffff, v18
	v_cmp_gt_u32_e64 s[40:41], s97, v30
	v_sub_u32_e32 v18, 0x79, v30
	v_cmp_eq_u32_e32 vcc, 0, v30
	v_cndmask_b32_e64 v18, 0, v18, s[40:41]
	v_mov_b32_e32 v37, 0x78
	v_or_b32_e32 v20, 0x800000, v19
	v_cndmask_b32_e32 v37, v18, v37, vcc
	v_cndmask_b32_e32 v18, v20, v19, vcc
	v_add_u32_e32 v20, 20, v37
	v_lshlrev_b64 v[38:39], v20, -1
	v_mov_b32_e32 v19, v51
	v_add_u32_e32 v20, 19, v37
	v_bfi_b32 v38, v38, 0, v18
	v_lshlrev_b64 v[48:49], v20, 1
	v_lshrrev_b64 v[18:19], v37, v[18:19]
	v_bfi_b32 v39, v39, 0, 0
	v_cmp_eq_u64_e64 s[40:41], v[38:39], v[48:49]
	v_mov_b32_e32 v20, v19
	v_mov_b32_e32 v19, v18
	s_and_saveexec_b64 s[50:51], s[40:41]
; %bb.20204:                            ;   in Loop: Header=BB6_19750 Depth=3
	v_bfe_u32 v19, v18, 20, 1
	v_add_co_u32_e64 v19, s[40:41], v18, v19
	v_add_co_u32_e64 v19, s[40:41], -1, v19
; %bb.20205:                            ;   in Loop: Header=BB6_19750 Depth=3
	s_or_b64 exec, exec, s[50:51]
	v_add_u32_e32 v20, 0xffffff81, v30
	v_mov_b32_e32 v30, 0xffffff82
	v_cndmask_b32_e32 v20, v20, v30, vcc
	v_lshrrev_b32_e32 v30, 23, v18
	v_add3_u32 v37, v37, v20, v30
	v_add_u32_e32 v30, 6, v37
	v_and_b32_e32 v19, 0xfffff, v19
	v_add_u32_e32 v18, v19, v18
	v_mov_b32_e32 v19, v51
	v_cmp_ne_u32_e32 vcc, 0, v30
                                        ; implicit-def: $vgpr20
	s_and_saveexec_b64 s[40:41], vcc
	s_xor_b64 s[40:41], exec, s[40:41]
; %bb.20206:                            ;   in Loop: Header=BB6_19750 Depth=3
	v_cmp_lt_u64_e32 vcc, s[88:89], v[18:19]
	v_add_u32_e32 v20, 7, v37
	v_cndmask_b32_e32 v20, v30, v20, vcc
	v_cndmask_b32_e64 v30, 0, 1, vcc
	v_lshrrev_b64 v[18:19], v30, v[18:19]
; %bb.20207:                            ;   in Loop: Header=BB6_19750 Depth=3
	s_andn2_saveexec_b64 s[40:41], s[40:41]
; %bb.20208:                            ;   in Loop: Header=BB6_19750 Depth=3
	v_bfe_u32 v20, v18, 23, 1
; %bb.20209:                            ;   in Loop: Header=BB6_19750 Depth=3
	s_or_b64 exec, exec, s[40:41]
	v_lshrrev_b64 v[18:19], 20, v[18:19]
	v_cmp_gt_i32_e32 vcc, 16, v20
	v_cndmask_b32_e32 v19, 0, v19, vcc
	v_cndmask_b32_e32 v18, 7, v18, vcc
	v_cmp_eq_u64_e64 s[40:41], 0, v[18:19]
	v_min_i32_e32 v19, 15, v20
	v_lshlrev_b32_e32 v19, 3, v19
	v_cmp_eq_u32_e32 vcc, 0, v20
	v_and_b32_e32 v19, 0xf8, v19
	v_and_or_b32 v18, v18, 7, v19
	s_and_b64 s[40:41], vcc, s[40:41]
	v_cndmask_b32_e64 v18, v18, 0, s[40:41]
	v_or_b32_e32 v30, v18, v21
.LBB6_20210:                            ;   in Loop: Header=BB6_19750 Depth=3
	s_or_b64 exec, exec, s[48:49]
                                        ; implicit-def: $vgpr21
.LBB6_20211:                            ;   in Loop: Header=BB6_19750 Depth=3
	s_andn2_saveexec_b64 s[40:41], s[38:39]
; %bb.20212:                            ;   in Loop: Header=BB6_19750 Depth=3
	v_or_b32_e32 v30, 0x7e, v21
; %bb.20213:                            ;   in Loop: Header=BB6_19750 Depth=3
	s_or_b64 exec, exec, s[40:41]
                                        ; implicit-def: $vgpr18
.LBB6_20214:                            ;   in Loop: Header=BB6_19750 Depth=3
	s_andn2_saveexec_b64 s[40:41], s[36:37]
; %bb.20215:                            ;   in Loop: Header=BB6_19750 Depth=3
	v_or_b32_sdwa v30, v18, s86 dst_sel:DWORD dst_unused:UNUSED_PAD src0_sel:BYTE_3 src1_sel:DWORD
; %bb.20216:                            ;   in Loop: Header=BB6_19750 Depth=3
	s_or_b64 exec, exec, s[40:41]
	v_lshl_or_b32 v33, v33, 8, v22
	v_lshlrev_b32_e32 v18, 16, v35
	v_lshlrev_b32_e32 v19, 24, v36
	v_or3_b32 v18, v18, v19, v33
	v_mov_b32_e32 v19, v51
	v_cmp_ne_u32_e32 vcc, 0, v22
	v_mov_b32_e32 v21, 0
	s_and_saveexec_b64 s[40:41], vcc
	s_cbranch_execz .LBB6_20222
; %bb.20217:                            ;   in Loop: Header=BB6_19750 Depth=3
	v_cmp_ne_u32_e32 vcc, s96, v22
	v_bfrev_b32_e32 v21, 1
	s_and_saveexec_b64 s[36:37], vcc
	s_cbranch_execz .LBB6_20221
; %bb.20218:                            ;   in Loop: Header=BB6_19750 Depth=3
	v_and_b32_e32 v20, 0x7f, v22
	v_cmp_ne_u32_e32 vcc, s86, v20
	v_mov_b32_e32 v21, 0x7f800001
	s_and_saveexec_b64 s[38:39], vcc
	s_cbranch_execz .LBB6_20220
; %bb.20219:                            ;   in Loop: Header=BB6_19750 Depth=3
	v_and_b32_e32 v21, 7, v22
	v_lshrrev_b32_e32 v22, 3, v20
	v_cmp_gt_u32_e32 vcc, 8, v20
	v_ffbh_u32_e32 v20, v21
	v_min_u32_e32 v20, 32, v20
	v_subrev_u32_e32 v21, 28, v20
	v_sub_u32_e32 v20, 29, v20
	v_cndmask_b32_e32 v22, v22, v20, vcc
	v_cndmask_b32_e32 v20, 0, v21, vcc
	v_lshlrev_b64 v[19:20], v20, v[18:19]
	v_lshlrev_b32_e32 v20, 24, v18
	v_lshlrev_b32_e32 v19, 20, v19
	v_bfrev_b32_e32 v21, 60
	v_and_b32_e32 v19, 0x700000, v19
	v_and_b32_e32 v20, 0x80000000, v20
	v_lshl_add_u32 v21, v22, 23, v21
	v_or3_b32 v21, v20, v21, v19
.LBB6_20220:                            ;   in Loop: Header=BB6_19750 Depth=3
	s_or_b64 exec, exec, s[38:39]
.LBB6_20221:                            ;   in Loop: Header=BB6_19750 Depth=3
	s_or_b64 exec, exec, s[36:37]
.LBB6_20222:                            ;   in Loop: Header=BB6_19750 Depth=3
	s_or_b64 exec, exec, s[40:41]
	v_cmp_gt_i16_sdwa vcc, v9, s86 src0_sel:BYTE_0 src1_sel:DWORD
	s_mov_b64 s[40:41], 0
	s_and_saveexec_b64 s[36:37], vcc
	s_xor_b64 vcc, exec, s[36:37]
	s_cbranch_execz .LBB6_20226
; %bb.20223:                            ;   in Loop: Header=BB6_19750 Depth=3
	v_cmp_eq_u16_sdwa s[38:39], v9, s96 src0_sel:BYTE_0 src1_sel:DWORD
	s_mov_b64 s[40:41], -1
	s_and_saveexec_b64 s[36:37], s[38:39]
; %bb.20224:                            ;   in Loop: Header=BB6_19750 Depth=3
	s_xor_b64 s[40:41], exec, -1
; %bb.20225:                            ;   in Loop: Header=BB6_19750 Depth=3
	s_or_b64 exec, exec, s[36:37]
	s_and_b64 s[40:41], s[40:41], exec
.LBB6_20226:                            ;   in Loop: Header=BB6_19750 Depth=3
	s_or_saveexec_b64 vcc, vcc
	v_bfrev_b32_e32 v22, 1
	s_xor_b64 exec, exec, vcc
; %bb.20227:                            ;   in Loop: Header=BB6_19750 Depth=3
	v_cmp_ne_u16_sdwa s[36:37], v9, v51 src0_sel:BYTE_0 src1_sel:DWORD
	s_andn2_b64 s[40:41], s[40:41], exec
	s_and_b64 s[36:37], s[36:37], exec
	v_mov_b32_e32 v22, 0
	s_or_b64 s[40:41], s[40:41], s[36:37]
; %bb.20228:                            ;   in Loop: Header=BB6_19750 Depth=3
	s_or_b64 exec, exec, vcc
	v_mov_b32_e32 v19, v9
	v_mov_b32_e32 v20, v51
	s_and_saveexec_b64 s[36:37], s[40:41]
	s_cbranch_execz .LBB6_20230
; %bb.20229:                            ;   in Loop: Header=BB6_19750 Depth=3
	v_and_b32_e32 v22, 7, v9
	v_ffbh_u32_e32 v22, v22
	v_and_b32_e32 v37, 0x7f, v9
	v_min_u32_e32 v22, 32, v22
	v_bfe_u32 v35, v9, 3, 4
	v_subrev_u32_e32 v36, 28, v22
	v_sub_u32_e32 v22, 29, v22
	v_cmp_gt_u32_e32 vcc, 8, v37
	v_cndmask_b32_e32 v22, v35, v22, vcc
	v_cndmask_b32_e32 v35, 0, v36, vcc
	v_lshlrev_b64 v[35:36], v35, v[19:20]
	v_bfrev_b32_e32 v36, 60
	v_lshlrev_b32_e32 v20, 20, v35
	v_lshlrev_b32_e32 v35, 24, v19
	v_and_b32_e32 v20, 0x700000, v20
	v_and_b32_e32 v35, 0x80000000, v35
	v_lshl_add_u32 v22, v22, 23, v36
	v_or3_b32 v20, v35, v22, v20
	v_cmp_ne_u32_e32 vcc, s86, v37
	v_mov_b32_e32 v22, 0x7f800001
	v_cndmask_b32_e32 v22, v22, v20, vcc
.LBB6_20230:                            ;   in Loop: Header=BB6_19750 Depth=3
	s_or_b64 exec, exec, s[36:37]
	v_add_f32_e32 v20, v21, v22
	v_and_b32_e32 v21, 0x7f800000, v20
	v_mov_b32_e32 v22, v51
	v_cmp_ne_u64_e32 vcc, s[76:77], v[21:22]
                                        ; implicit-def: $vgpr22
	s_and_saveexec_b64 s[40:41], vcc
	s_xor_b64 s[36:37], exec, s[40:41]
	s_cbranch_execz .LBB6_20244
; %bb.20231:                            ;   in Loop: Header=BB6_19750 Depth=3
	v_and_b32_e32 v21, 0x7fffffff, v20
	v_mov_b32_e32 v22, v51
	v_cmp_gt_u64_e32 vcc, s[78:79], v[21:22]
	v_and_b32_sdwa v35, v20, s96 dst_sel:DWORD dst_unused:UNUSED_PAD src0_sel:BYTE_3 src1_sel:DWORD
                                        ; implicit-def: $vgpr22
	s_and_saveexec_b64 s[40:41], vcc
	s_xor_b64 s[38:39], exec, s[40:41]
	s_cbranch_execz .LBB6_20241
; %bb.20232:                            ;   in Loop: Header=BB6_19750 Depth=3
	v_mov_b32_e32 v22, 0
	v_cmp_ne_u32_e32 vcc, 0, v20
	s_and_saveexec_b64 s[48:49], vcc
	s_cbranch_execz .LBB6_20240
; %bb.20233:                            ;   in Loop: Header=BB6_19750 Depth=3
	v_bfe_u32 v36, v20, 23, 8
	v_and_b32_e32 v21, 0x7fffff, v20
	v_cmp_gt_u32_e64 s[40:41], s97, v36
	v_sub_u32_e32 v20, 0x79, v36
	v_cmp_eq_u32_e32 vcc, 0, v36
	v_cndmask_b32_e64 v20, 0, v20, s[40:41]
	v_mov_b32_e32 v37, 0x78
	v_or_b32_e32 v22, 0x800000, v21
	v_cndmask_b32_e32 v37, v20, v37, vcc
	v_cndmask_b32_e32 v20, v22, v21, vcc
	v_add_u32_e32 v22, 20, v37
	v_lshlrev_b64 v[38:39], v22, -1
	v_mov_b32_e32 v21, v51
	v_add_u32_e32 v22, 19, v37
	v_bfi_b32 v38, v38, 0, v20
	v_lshlrev_b64 v[48:49], v22, 1
	v_lshrrev_b64 v[20:21], v37, v[20:21]
	v_bfi_b32 v39, v39, 0, 0
	v_cmp_eq_u64_e64 s[40:41], v[38:39], v[48:49]
	v_mov_b32_e32 v22, v21
	v_mov_b32_e32 v21, v20
	s_and_saveexec_b64 s[50:51], s[40:41]
; %bb.20234:                            ;   in Loop: Header=BB6_19750 Depth=3
	v_bfe_u32 v21, v20, 20, 1
	v_add_co_u32_e64 v21, s[40:41], v20, v21
	v_add_co_u32_e64 v21, s[40:41], -1, v21
; %bb.20235:                            ;   in Loop: Header=BB6_19750 Depth=3
	s_or_b64 exec, exec, s[50:51]
	v_add_u32_e32 v22, 0xffffff81, v36
	v_mov_b32_e32 v36, 0xffffff82
	v_cndmask_b32_e32 v22, v22, v36, vcc
	v_lshrrev_b32_e32 v36, 23, v20
	v_add3_u32 v37, v37, v22, v36
	v_add_u32_e32 v36, 6, v37
	v_and_b32_e32 v21, 0xfffff, v21
	v_add_u32_e32 v20, v21, v20
	v_mov_b32_e32 v21, v51
	v_cmp_ne_u32_e32 vcc, 0, v36
                                        ; implicit-def: $vgpr22
	s_and_saveexec_b64 s[40:41], vcc
	s_xor_b64 s[40:41], exec, s[40:41]
; %bb.20236:                            ;   in Loop: Header=BB6_19750 Depth=3
	v_cmp_lt_u64_e32 vcc, s[88:89], v[20:21]
	v_add_u32_e32 v22, 7, v37
	v_cndmask_b32_e32 v22, v36, v22, vcc
	v_cndmask_b32_e64 v36, 0, 1, vcc
	v_lshrrev_b64 v[20:21], v36, v[20:21]
; %bb.20237:                            ;   in Loop: Header=BB6_19750 Depth=3
	s_andn2_saveexec_b64 s[40:41], s[40:41]
; %bb.20238:                            ;   in Loop: Header=BB6_19750 Depth=3
	v_bfe_u32 v22, v20, 23, 1
; %bb.20239:                            ;   in Loop: Header=BB6_19750 Depth=3
	s_or_b64 exec, exec, s[40:41]
	v_lshrrev_b64 v[20:21], 20, v[20:21]
	v_cmp_gt_i32_e32 vcc, 16, v22
	v_cndmask_b32_e32 v21, 0, v21, vcc
	v_cndmask_b32_e32 v20, 7, v20, vcc
	v_cmp_eq_u64_e64 s[40:41], 0, v[20:21]
	v_min_i32_e32 v21, 15, v22
	v_lshlrev_b32_e32 v21, 3, v21
	v_cmp_eq_u32_e32 vcc, 0, v22
	v_and_b32_e32 v21, 0xf8, v21
	v_and_or_b32 v20, v20, 7, v21
	s_and_b64 s[40:41], vcc, s[40:41]
	v_cndmask_b32_e64 v20, v20, 0, s[40:41]
	v_or_b32_e32 v22, v20, v35
.LBB6_20240:                            ;   in Loop: Header=BB6_19750 Depth=3
	s_or_b64 exec, exec, s[48:49]
                                        ; implicit-def: $vgpr35
.LBB6_20241:                            ;   in Loop: Header=BB6_19750 Depth=3
	s_andn2_saveexec_b64 s[40:41], s[38:39]
; %bb.20242:                            ;   in Loop: Header=BB6_19750 Depth=3
	v_or_b32_e32 v22, 0x7e, v35
; %bb.20243:                            ;   in Loop: Header=BB6_19750 Depth=3
	s_or_b64 exec, exec, s[40:41]
                                        ; implicit-def: $vgpr20
.LBB6_20244:                            ;   in Loop: Header=BB6_19750 Depth=3
	s_andn2_saveexec_b64 s[40:41], s[36:37]
; %bb.20245:                            ;   in Loop: Header=BB6_19750 Depth=3
	v_or_b32_sdwa v22, v20, s86 dst_sel:DWORD dst_unused:UNUSED_PAD src0_sel:BYTE_3 src1_sel:DWORD
; %bb.20246:                            ;   in Loop: Header=BB6_19750 Depth=3
	s_or_b64 exec, exec, s[40:41]
	v_lshrrev_b16_e32 v20, 8, v33
	v_cmp_ne_u16_e32 vcc, 0, v20
	v_mov_b32_e32 v21, 0
	s_and_saveexec_b64 s[40:41], vcc
	s_cbranch_execz .LBB6_20252
; %bb.20247:                            ;   in Loop: Header=BB6_19750 Depth=3
	v_cmp_ne_u16_e32 vcc, s96, v20
	v_bfrev_b32_e32 v21, 1
	s_and_saveexec_b64 s[36:37], vcc
	s_cbranch_execz .LBB6_20251
; %bb.20248:                            ;   in Loop: Header=BB6_19750 Depth=3
	v_and_b32_e32 v35, 0x7f, v20
	v_cmp_ne_u32_e32 vcc, s86, v35
	v_mov_b32_e32 v21, 0x7f800001
	s_and_saveexec_b64 s[38:39], vcc
	s_cbranch_execz .LBB6_20250
; %bb.20249:                            ;   in Loop: Header=BB6_19750 Depth=3
	v_and_b32_e32 v36, 7, v20
	v_ffbh_u32_e32 v21, v36
	v_lshrrev_b32_e32 v37, 3, v35
	v_cmp_gt_u32_e32 vcc, 8, v35
	v_min_u32_e32 v35, 32, v21
	v_subrev_u32_e32 v21, 28, v35
	v_lshlrev_b64 v[20:21], v21, v[20:21]
	v_sub_u32_e32 v21, 29, v35
	v_and_b32_e32 v20, 7, v20
	v_cndmask_b32_e32 v21, v37, v21, vcc
	v_cndmask_b32_e32 v20, v36, v20, vcc
	v_lshlrev_b32_e32 v33, 16, v33
	v_bfrev_b32_e32 v35, 60
	v_lshlrev_b32_e32 v20, 20, v20
	v_and_b32_e32 v33, 0x80000000, v33
	v_lshl_add_u32 v21, v21, 23, v35
	v_or3_b32 v21, v33, v21, v20
.LBB6_20250:                            ;   in Loop: Header=BB6_19750 Depth=3
	s_or_b64 exec, exec, s[38:39]
.LBB6_20251:                            ;   in Loop: Header=BB6_19750 Depth=3
	s_or_b64 exec, exec, s[36:37]
.LBB6_20252:                            ;   in Loop: Header=BB6_19750 Depth=3
	s_or_b64 exec, exec, s[40:41]
	v_lshrrev_b16_e32 v19, 8, v19
	v_cmp_lt_i16_e32 vcc, s86, v19
	s_mov_b64 s[40:41], 0
	s_and_saveexec_b64 s[36:37], vcc
	s_xor_b64 s[36:37], exec, s[36:37]
	s_cbranch_execz .LBB6_20544
; %bb.20253:                            ;   in Loop: Header=BB6_19750 Depth=3
	v_cmp_eq_u16_e32 vcc, s96, v19
	s_mov_b64 s[40:41], -1
	s_and_saveexec_b64 s[38:39], vcc
; %bb.20254:                            ;   in Loop: Header=BB6_19750 Depth=3
	s_xor_b64 s[40:41], exec, -1
; %bb.20255:                            ;   in Loop: Header=BB6_19750 Depth=3
	s_or_b64 exec, exec, s[38:39]
	s_and_b64 s[40:41], s[40:41], exec
	s_or_saveexec_b64 s[36:37], s[36:37]
	v_bfrev_b32_e32 v20, 1
	s_xor_b64 exec, exec, s[36:37]
	s_cbranch_execnz .LBB6_20545
.LBB6_20256:                            ;   in Loop: Header=BB6_19750 Depth=3
	s_or_b64 exec, exec, s[36:37]
	s_and_saveexec_b64 s[36:37], s[40:41]
	s_cbranch_execz .LBB6_20258
.LBB6_20257:                            ;   in Loop: Header=BB6_19750 Depth=3
	v_and_b32_e32 v33, 7, v19
	v_ffbh_u32_e32 v35, v33
	v_min_u32_e32 v39, 32, v35
	v_mov_b32_e32 v20, v51
	v_subrev_u32_e32 v35, 28, v39
	v_lshlrev_b64 v[35:36], v35, v[19:20]
	v_and_b32_e32 v37, 0x7f, v19
	v_bfe_u32 v38, v19, 3, 4
	v_sub_u32_e32 v20, 29, v39
	v_and_b32_e32 v35, 7, v35
	v_cmp_gt_u32_e32 vcc, 8, v37
	v_cndmask_b32_e32 v20, v38, v20, vcc
	v_cndmask_b32_e32 v33, v33, v35, vcc
	v_lshlrev_b32_e32 v19, 24, v19
	v_bfrev_b32_e32 v35, 60
	v_lshlrev_b32_e32 v33, 20, v33
	v_and_b32_e32 v19, 0x80000000, v19
	v_lshl_add_u32 v20, v20, 23, v35
	v_or3_b32 v19, v19, v20, v33
	v_cmp_ne_u32_e32 vcc, s86, v37
	v_mov_b32_e32 v20, 0x7f800001
	v_cndmask_b32_e32 v20, v20, v19, vcc
.LBB6_20258:                            ;   in Loop: Header=BB6_19750 Depth=3
	s_or_b64 exec, exec, s[36:37]
	v_add_f32_e32 v19, v21, v20
	v_and_b32_e32 v20, 0x7f800000, v19
	v_mov_b32_e32 v21, v51
	v_cmp_ne_u64_e32 vcc, s[76:77], v[20:21]
                                        ; implicit-def: $vgpr33
	s_and_saveexec_b64 s[40:41], vcc
	s_xor_b64 s[36:37], exec, s[40:41]
	s_cbranch_execz .LBB6_20272
; %bb.20259:                            ;   in Loop: Header=BB6_19750 Depth=3
	v_and_b32_e32 v20, 0x7fffffff, v19
	v_mov_b32_e32 v21, v51
	v_cmp_gt_u64_e32 vcc, s[78:79], v[20:21]
	v_and_b32_sdwa v35, v19, s96 dst_sel:DWORD dst_unused:UNUSED_PAD src0_sel:BYTE_3 src1_sel:DWORD
                                        ; implicit-def: $vgpr33
	s_and_saveexec_b64 s[40:41], vcc
	s_xor_b64 s[38:39], exec, s[40:41]
	s_cbranch_execz .LBB6_20269
; %bb.20260:                            ;   in Loop: Header=BB6_19750 Depth=3
	v_mov_b32_e32 v33, 0
	v_cmp_ne_u32_e32 vcc, 0, v19
	s_and_saveexec_b64 s[48:49], vcc
	s_cbranch_execz .LBB6_20268
; %bb.20261:                            ;   in Loop: Header=BB6_19750 Depth=3
	v_bfe_u32 v33, v19, 23, 8
	v_and_b32_e32 v20, 0x7fffff, v19
	v_cmp_gt_u32_e64 s[40:41], s97, v33
	v_sub_u32_e32 v19, 0x79, v33
	v_cmp_eq_u32_e32 vcc, 0, v33
	v_cndmask_b32_e64 v19, 0, v19, s[40:41]
	v_mov_b32_e32 v36, 0x78
	v_or_b32_e32 v21, 0x800000, v20
	v_cndmask_b32_e32 v36, v19, v36, vcc
	v_cndmask_b32_e32 v19, v21, v20, vcc
	v_add_u32_e32 v21, 20, v36
	v_lshlrev_b64 v[37:38], v21, -1
	v_mov_b32_e32 v20, v51
	v_add_u32_e32 v21, 19, v36
	v_bfi_b32 v37, v37, 0, v19
	v_lshlrev_b64 v[48:49], v21, 1
	v_lshrrev_b64 v[19:20], v36, v[19:20]
	v_bfi_b32 v38, v38, 0, 0
	v_cmp_eq_u64_e64 s[40:41], v[37:38], v[48:49]
	v_mov_b32_e32 v21, v20
	v_mov_b32_e32 v20, v19
	s_and_saveexec_b64 s[50:51], s[40:41]
; %bb.20262:                            ;   in Loop: Header=BB6_19750 Depth=3
	v_bfe_u32 v20, v19, 20, 1
	v_add_co_u32_e64 v20, s[40:41], v19, v20
	v_add_co_u32_e64 v20, s[40:41], -1, v20
; %bb.20263:                            ;   in Loop: Header=BB6_19750 Depth=3
	s_or_b64 exec, exec, s[50:51]
	v_add_u32_e32 v21, 0xffffff81, v33
	v_mov_b32_e32 v33, 0xffffff82
	v_cndmask_b32_e32 v21, v21, v33, vcc
	v_lshrrev_b32_e32 v33, 23, v19
	v_add3_u32 v36, v36, v21, v33
	v_add_u32_e32 v33, 6, v36
	v_and_b32_e32 v20, 0xfffff, v20
	v_add_u32_e32 v19, v20, v19
	v_mov_b32_e32 v20, v51
	v_cmp_ne_u32_e32 vcc, 0, v33
                                        ; implicit-def: $vgpr21
	s_and_saveexec_b64 s[40:41], vcc
	s_xor_b64 s[40:41], exec, s[40:41]
; %bb.20264:                            ;   in Loop: Header=BB6_19750 Depth=3
	v_cmp_lt_u64_e32 vcc, s[88:89], v[19:20]
	v_add_u32_e32 v21, 7, v36
	v_cndmask_b32_e32 v21, v33, v21, vcc
	v_cndmask_b32_e64 v33, 0, 1, vcc
	v_lshrrev_b64 v[19:20], v33, v[19:20]
; %bb.20265:                            ;   in Loop: Header=BB6_19750 Depth=3
	s_andn2_saveexec_b64 s[40:41], s[40:41]
; %bb.20266:                            ;   in Loop: Header=BB6_19750 Depth=3
	v_bfe_u32 v21, v19, 23, 1
; %bb.20267:                            ;   in Loop: Header=BB6_19750 Depth=3
	s_or_b64 exec, exec, s[40:41]
	v_lshrrev_b64 v[19:20], 20, v[19:20]
	v_cmp_gt_i32_e32 vcc, 16, v21
	v_cndmask_b32_e32 v20, 0, v20, vcc
	v_cndmask_b32_e32 v19, 7, v19, vcc
	v_cmp_eq_u64_e64 s[40:41], 0, v[19:20]
	v_min_i32_e32 v20, 15, v21
	v_lshlrev_b32_e32 v20, 3, v20
	v_cmp_eq_u32_e32 vcc, 0, v21
	v_and_b32_e32 v20, 0xf8, v20
	v_and_or_b32 v19, v19, 7, v20
	s_and_b64 s[40:41], vcc, s[40:41]
	v_cndmask_b32_e64 v19, v19, 0, s[40:41]
	v_or_b32_e32 v33, v19, v35
.LBB6_20268:                            ;   in Loop: Header=BB6_19750 Depth=3
	s_or_b64 exec, exec, s[48:49]
                                        ; implicit-def: $vgpr35
.LBB6_20269:                            ;   in Loop: Header=BB6_19750 Depth=3
	s_andn2_saveexec_b64 s[40:41], s[38:39]
; %bb.20270:                            ;   in Loop: Header=BB6_19750 Depth=3
	v_or_b32_e32 v33, 0x7e, v35
; %bb.20271:                            ;   in Loop: Header=BB6_19750 Depth=3
	s_or_b64 exec, exec, s[40:41]
                                        ; implicit-def: $vgpr19
.LBB6_20272:                            ;   in Loop: Header=BB6_19750 Depth=3
	s_andn2_saveexec_b64 s[40:41], s[36:37]
; %bb.20273:                            ;   in Loop: Header=BB6_19750 Depth=3
	v_or_b32_sdwa v33, v19, s86 dst_sel:DWORD dst_unused:UNUSED_PAD src0_sel:BYTE_3 src1_sel:DWORD
; %bb.20274:                            ;   in Loop: Header=BB6_19750 Depth=3
	s_or_b64 exec, exec, s[40:41]
	v_lshrrev_b32_e32 v19, 16, v18
	v_cmp_ne_u16_sdwa vcc, v19, v51 src0_sel:BYTE_0 src1_sel:DWORD
	v_mov_b32_e32 v20, 0
	s_and_saveexec_b64 s[40:41], vcc
	s_cbranch_execz .LBB6_20280
; %bb.20275:                            ;   in Loop: Header=BB6_19750 Depth=3
	v_cmp_ne_u16_sdwa vcc, v19, s96 src0_sel:BYTE_0 src1_sel:DWORD
	v_bfrev_b32_e32 v20, 1
	s_and_saveexec_b64 s[36:37], vcc
	s_cbranch_execz .LBB6_20279
; %bb.20276:                            ;   in Loop: Header=BB6_19750 Depth=3
	v_bfe_u32 v21, v18, 16, 7
	v_cmp_ne_u32_e32 vcc, s86, v21
	v_mov_b32_e32 v20, 0x7f800001
	s_and_saveexec_b64 s[38:39], vcc
	s_cbranch_execz .LBB6_20278
; %bb.20277:                            ;   in Loop: Header=BB6_19750 Depth=3
	v_and_b32_e32 v35, 7, v19
	v_ffbh_u32_e32 v20, v35
	v_min_u32_e32 v37, 32, v20
	v_subrev_u32_e32 v20, 28, v37
	v_lshrrev_b32_e32 v36, 3, v21
	v_cmp_gt_u32_e32 vcc, 8, v21
	v_lshlrev_b64 v[20:21], v20, v[19:20]
	v_sub_u32_e32 v21, 29, v37
	v_and_b32_e32 v20, 7, v20
	v_cndmask_b32_e32 v21, v36, v21, vcc
	v_cndmask_b32_e32 v20, v35, v20, vcc
	v_lshlrev_b32_e32 v19, 24, v19
	v_bfrev_b32_e32 v35, 60
	v_lshlrev_b32_e32 v20, 20, v20
	v_and_b32_e32 v19, 0x80000000, v19
	v_lshl_add_u32 v21, v21, 23, v35
	v_or3_b32 v20, v19, v21, v20
.LBB6_20278:                            ;   in Loop: Header=BB6_19750 Depth=3
	s_or_b64 exec, exec, s[38:39]
.LBB6_20279:                            ;   in Loop: Header=BB6_19750 Depth=3
	s_or_b64 exec, exec, s[36:37]
.LBB6_20280:                            ;   in Loop: Header=BB6_19750 Depth=3
	s_or_b64 exec, exec, s[40:41]
	v_lshrrev_b32_e32 v19, 16, v9
	v_cmp_gt_i16_sdwa vcc, v19, s86 src0_sel:BYTE_0 src1_sel:DWORD
	s_mov_b64 s[40:41], 0
	s_and_saveexec_b64 s[36:37], vcc
	s_xor_b64 vcc, exec, s[36:37]
	s_cbranch_execz .LBB6_20546
; %bb.20281:                            ;   in Loop: Header=BB6_19750 Depth=3
	v_cmp_eq_u16_sdwa s[38:39], v19, s96 src0_sel:BYTE_0 src1_sel:DWORD
	s_mov_b64 s[40:41], -1
	s_and_saveexec_b64 s[36:37], s[38:39]
; %bb.20282:                            ;   in Loop: Header=BB6_19750 Depth=3
	s_xor_b64 s[40:41], exec, -1
; %bb.20283:                            ;   in Loop: Header=BB6_19750 Depth=3
	s_or_b64 exec, exec, s[36:37]
	s_and_b64 s[40:41], s[40:41], exec
	s_or_saveexec_b64 vcc, vcc
	v_bfrev_b32_e32 v21, 1
	s_xor_b64 exec, exec, vcc
	s_cbranch_execnz .LBB6_20547
.LBB6_20284:                            ;   in Loop: Header=BB6_19750 Depth=3
	s_or_b64 exec, exec, vcc
	s_and_saveexec_b64 s[36:37], s[40:41]
	s_cbranch_execz .LBB6_20286
.LBB6_20285:                            ;   in Loop: Header=BB6_19750 Depth=3
	v_and_b32_e32 v21, 7, v19
	v_ffbh_u32_e32 v35, v21
	v_min_u32_e32 v39, 32, v35
	v_subrev_u32_e32 v35, 28, v39
	v_lshlrev_b64 v[35:36], v35, v[19:20]
	v_and_b32_e32 v37, 0x7f, v19
	v_bfe_u32 v38, v19, 3, 4
	v_sub_u32_e32 v36, 29, v39
	v_and_b32_e32 v35, 7, v35
	v_cmp_gt_u32_e32 vcc, 8, v37
	v_cndmask_b32_e32 v36, v38, v36, vcc
	v_cndmask_b32_e32 v21, v21, v35, vcc
	v_lshlrev_b32_e32 v19, 24, v19
	v_bfrev_b32_e32 v35, 60
	v_lshlrev_b32_e32 v21, 20, v21
	v_and_b32_e32 v19, 0x80000000, v19
	v_lshl_add_u32 v35, v36, 23, v35
	v_or3_b32 v19, v19, v35, v21
	v_cmp_ne_u32_e32 vcc, s86, v37
	v_mov_b32_e32 v21, 0x7f800001
	v_cndmask_b32_e32 v21, v21, v19, vcc
.LBB6_20286:                            ;   in Loop: Header=BB6_19750 Depth=3
	s_or_b64 exec, exec, s[36:37]
	v_add_f32_e32 v19, v20, v21
	v_and_b32_e32 v20, 0x7f800000, v19
	v_mov_b32_e32 v21, v51
	v_cmp_ne_u64_e32 vcc, s[76:77], v[20:21]
                                        ; implicit-def: $vgpr35
	s_and_saveexec_b64 s[40:41], vcc
	s_xor_b64 s[36:37], exec, s[40:41]
	s_cbranch_execz .LBB6_20300
; %bb.20287:                            ;   in Loop: Header=BB6_19750 Depth=3
	v_and_b32_e32 v20, 0x7fffffff, v19
	v_mov_b32_e32 v21, v51
	v_cmp_gt_u64_e32 vcc, s[78:79], v[20:21]
	v_and_b32_sdwa v36, v19, s96 dst_sel:DWORD dst_unused:UNUSED_PAD src0_sel:BYTE_3 src1_sel:DWORD
                                        ; implicit-def: $vgpr35
	s_and_saveexec_b64 s[40:41], vcc
	s_xor_b64 s[38:39], exec, s[40:41]
	s_cbranch_execz .LBB6_20297
; %bb.20288:                            ;   in Loop: Header=BB6_19750 Depth=3
	v_mov_b32_e32 v35, 0
	v_cmp_ne_u32_e32 vcc, 0, v19
	s_and_saveexec_b64 s[48:49], vcc
	s_cbranch_execz .LBB6_20296
; %bb.20289:                            ;   in Loop: Header=BB6_19750 Depth=3
	v_bfe_u32 v35, v19, 23, 8
	v_and_b32_e32 v20, 0x7fffff, v19
	v_cmp_gt_u32_e64 s[40:41], s97, v35
	v_sub_u32_e32 v19, 0x79, v35
	v_cmp_eq_u32_e32 vcc, 0, v35
	v_cndmask_b32_e64 v19, 0, v19, s[40:41]
	v_mov_b32_e32 v37, 0x78
	v_or_b32_e32 v21, 0x800000, v20
	v_cndmask_b32_e32 v37, v19, v37, vcc
	v_cndmask_b32_e32 v19, v21, v20, vcc
	v_add_u32_e32 v21, 20, v37
	v_lshlrev_b64 v[38:39], v21, -1
	v_mov_b32_e32 v20, v51
	v_add_u32_e32 v21, 19, v37
	v_bfi_b32 v38, v38, 0, v19
	v_lshlrev_b64 v[48:49], v21, 1
	v_lshrrev_b64 v[19:20], v37, v[19:20]
	v_bfi_b32 v39, v39, 0, 0
	v_cmp_eq_u64_e64 s[40:41], v[38:39], v[48:49]
	v_mov_b32_e32 v21, v20
	v_mov_b32_e32 v20, v19
	s_and_saveexec_b64 s[50:51], s[40:41]
; %bb.20290:                            ;   in Loop: Header=BB6_19750 Depth=3
	v_bfe_u32 v20, v19, 20, 1
	v_add_co_u32_e64 v20, s[40:41], v19, v20
	v_add_co_u32_e64 v20, s[40:41], -1, v20
; %bb.20291:                            ;   in Loop: Header=BB6_19750 Depth=3
	s_or_b64 exec, exec, s[50:51]
	v_add_u32_e32 v21, 0xffffff81, v35
	v_mov_b32_e32 v35, 0xffffff82
	v_cndmask_b32_e32 v21, v21, v35, vcc
	v_lshrrev_b32_e32 v35, 23, v19
	v_add3_u32 v37, v37, v21, v35
	v_add_u32_e32 v35, 6, v37
	v_and_b32_e32 v20, 0xfffff, v20
	v_add_u32_e32 v19, v20, v19
	v_mov_b32_e32 v20, v51
	v_cmp_ne_u32_e32 vcc, 0, v35
                                        ; implicit-def: $vgpr21
	s_and_saveexec_b64 s[40:41], vcc
	s_xor_b64 s[40:41], exec, s[40:41]
; %bb.20292:                            ;   in Loop: Header=BB6_19750 Depth=3
	v_cmp_lt_u64_e32 vcc, s[88:89], v[19:20]
	v_add_u32_e32 v21, 7, v37
	v_cndmask_b32_e32 v21, v35, v21, vcc
	v_cndmask_b32_e64 v35, 0, 1, vcc
	v_lshrrev_b64 v[19:20], v35, v[19:20]
; %bb.20293:                            ;   in Loop: Header=BB6_19750 Depth=3
	s_andn2_saveexec_b64 s[40:41], s[40:41]
; %bb.20294:                            ;   in Loop: Header=BB6_19750 Depth=3
	v_bfe_u32 v21, v19, 23, 1
; %bb.20295:                            ;   in Loop: Header=BB6_19750 Depth=3
	s_or_b64 exec, exec, s[40:41]
	v_lshrrev_b64 v[19:20], 20, v[19:20]
	v_cmp_gt_i32_e32 vcc, 16, v21
	v_cndmask_b32_e32 v20, 0, v20, vcc
	v_cndmask_b32_e32 v19, 7, v19, vcc
	v_cmp_eq_u64_e64 s[40:41], 0, v[19:20]
	v_min_i32_e32 v20, 15, v21
	v_lshlrev_b32_e32 v20, 3, v20
	v_cmp_eq_u32_e32 vcc, 0, v21
	v_and_b32_e32 v20, 0xf8, v20
	v_and_or_b32 v19, v19, 7, v20
	s_and_b64 s[40:41], vcc, s[40:41]
	v_cndmask_b32_e64 v19, v19, 0, s[40:41]
	v_or_b32_e32 v35, v19, v36
.LBB6_20296:                            ;   in Loop: Header=BB6_19750 Depth=3
	s_or_b64 exec, exec, s[48:49]
                                        ; implicit-def: $vgpr36
.LBB6_20297:                            ;   in Loop: Header=BB6_19750 Depth=3
	s_andn2_saveexec_b64 s[40:41], s[38:39]
; %bb.20298:                            ;   in Loop: Header=BB6_19750 Depth=3
	v_or_b32_e32 v35, 0x7e, v36
; %bb.20299:                            ;   in Loop: Header=BB6_19750 Depth=3
	s_or_b64 exec, exec, s[40:41]
                                        ; implicit-def: $vgpr19
.LBB6_20300:                            ;   in Loop: Header=BB6_19750 Depth=3
	s_andn2_saveexec_b64 s[40:41], s[36:37]
; %bb.20301:                            ;   in Loop: Header=BB6_19750 Depth=3
	v_or_b32_sdwa v35, v19, s86 dst_sel:DWORD dst_unused:UNUSED_PAD src0_sel:BYTE_3 src1_sel:DWORD
; %bb.20302:                            ;   in Loop: Header=BB6_19750 Depth=3
	s_or_b64 exec, exec, s[40:41]
	v_cmp_lt_u32_e32 vcc, s57, v18
	v_mov_b32_e32 v20, 0
	s_and_saveexec_b64 s[40:41], vcc
	s_cbranch_execz .LBB6_20308
; %bb.20303:                            ;   in Loop: Header=BB6_19750 Depth=3
	v_lshrrev_b32_e32 v19, 24, v18
	v_cmp_ne_u32_sdwa vcc, v18, s96 src0_sel:BYTE_3 src1_sel:DWORD
	v_bfrev_b32_e32 v20, 1
	s_and_saveexec_b64 s[36:37], vcc
	s_cbranch_execz .LBB6_20307
; %bb.20304:                            ;   in Loop: Header=BB6_19750 Depth=3
	v_bfe_u32 v21, v18, 24, 7
	v_cmp_ne_u32_e32 vcc, s86, v21
	v_mov_b32_e32 v20, 0x7f800001
	s_and_saveexec_b64 s[38:39], vcc
	s_cbranch_execz .LBB6_20306
; %bb.20305:                            ;   in Loop: Header=BB6_19750 Depth=3
	v_and_b32_e32 v36, 7, v19
	v_ffbh_u32_e32 v20, v36
	v_lshrrev_b32_e32 v37, 3, v21
	v_cmp_gt_u32_e32 vcc, 8, v21
	v_min_u32_e32 v21, 32, v20
	v_subrev_u32_e32 v20, 28, v21
	v_lshlrev_b64 v[19:20], v20, v[19:20]
	v_sub_u32_e32 v20, 29, v21
	v_and_b32_e32 v19, 7, v19
	v_mov_b32_e32 v21, 24
	v_cndmask_b32_e32 v20, v37, v20, vcc
	v_cndmask_b32_e32 v19, v36, v19, vcc
	v_lshlrev_b32_sdwa v18, v21, v18 dst_sel:DWORD dst_unused:UNUSED_PAD src0_sel:DWORD src1_sel:BYTE_3
	v_bfrev_b32_e32 v21, 60
	v_lshlrev_b32_e32 v19, 20, v19
	v_and_b32_e32 v18, 0x80000000, v18
	v_lshl_add_u32 v20, v20, 23, v21
	v_or3_b32 v20, v18, v20, v19
.LBB6_20306:                            ;   in Loop: Header=BB6_19750 Depth=3
	s_or_b64 exec, exec, s[38:39]
.LBB6_20307:                            ;   in Loop: Header=BB6_19750 Depth=3
	s_or_b64 exec, exec, s[36:37]
.LBB6_20308:                            ;   in Loop: Header=BB6_19750 Depth=3
	s_or_b64 exec, exec, s[40:41]
	v_bfe_u32 v19, v9, 24, 3
	v_ffbh_u32_e32 v36, v19
	v_min_u32_e32 v39, 32, v36
	v_lshrrev_b32_e32 v18, 24, v9
	v_subrev_u32_e32 v36, 28, v39
	v_lshlrev_b64 v[36:37], v36, v[18:19]
	v_bfe_u32 v21, v9, 24, 7
	v_bfe_u32 v38, v18, 3, 4
	v_sub_u32_e32 v37, 29, v39
	v_and_b32_e32 v36, 7, v36
	v_cmp_gt_u32_e32 vcc, 8, v21
	v_cndmask_b32_e32 v37, v38, v37, vcc
	v_cndmask_b32_e32 v19, v19, v36, vcc
	v_bfrev_b32_e32 v38, 60
	v_lshlrev_b32_e32 v19, 20, v19
	v_and_b32_e32 v36, 0x80000000, v9
	v_lshl_add_u32 v37, v37, 23, v38
	v_or3_b32 v19, v36, v37, v19
	v_cmp_ne_u32_e32 vcc, s86, v21
	v_mov_b32_e32 v21, 0x7f800001
	v_cndmask_b32_e32 v19, v21, v19, vcc
	v_cmp_ne_u32_e32 vcc, s96, v18
	v_bfrev_b32_e32 v18, 1
	v_cndmask_b32_e32 v18, v18, v19, vcc
	v_cmp_lt_u64_e32 vcc, s[56:57], v[8:9]
	v_mov_b32_e32 v19, v51
	v_cndmask_b32_e32 v8, 0, v18, vcc
	v_add_f32_e32 v8, v8, v20
	v_and_b32_e32 v18, 0x7f800000, v8
	v_cmp_ne_u64_e32 vcc, s[76:77], v[18:19]
                                        ; implicit-def: $vgpr36
	s_and_saveexec_b64 s[40:41], vcc
	s_xor_b64 s[36:37], exec, s[40:41]
	s_cbranch_execz .LBB6_20322
; %bb.20309:                            ;   in Loop: Header=BB6_19750 Depth=3
	v_and_b32_e32 v18, 0x7fffffff, v8
	v_mov_b32_e32 v19, v51
	v_cmp_gt_u64_e32 vcc, s[78:79], v[18:19]
	v_and_b32_sdwa v20, v8, s96 dst_sel:DWORD dst_unused:UNUSED_PAD src0_sel:BYTE_3 src1_sel:DWORD
                                        ; implicit-def: $vgpr36
	s_and_saveexec_b64 s[40:41], vcc
	s_xor_b64 s[38:39], exec, s[40:41]
	s_cbranch_execz .LBB6_20319
; %bb.20310:                            ;   in Loop: Header=BB6_19750 Depth=3
	v_mov_b32_e32 v36, 0
	v_cmp_ne_u32_e32 vcc, 0, v8
	s_and_saveexec_b64 s[48:49], vcc
	s_cbranch_execz .LBB6_20318
; %bb.20311:                            ;   in Loop: Header=BB6_19750 Depth=3
	v_bfe_u32 v21, v8, 23, 8
	v_and_b32_e32 v9, 0x7fffff, v8
	v_cmp_gt_u32_e64 s[40:41], s97, v21
	v_sub_u32_e32 v8, 0x79, v21
	v_cmp_eq_u32_e32 vcc, 0, v21
	v_cndmask_b32_e64 v8, 0, v8, s[40:41]
	v_mov_b32_e32 v19, 0x78
	v_or_b32_e32 v18, 0x800000, v9
	v_cndmask_b32_e32 v36, v8, v19, vcc
	v_cndmask_b32_e32 v8, v18, v9, vcc
	v_add_u32_e32 v18, 20, v36
	v_lshlrev_b64 v[18:19], v18, -1
	v_mov_b32_e32 v9, v51
	v_add_u32_e32 v37, 19, v36
	v_bfi_b32 v18, v18, 0, v8
	v_lshlrev_b64 v[37:38], v37, 1
	v_lshrrev_b64 v[8:9], v36, v[8:9]
	v_bfi_b32 v19, v19, 0, 0
	v_cmp_eq_u64_e64 s[40:41], v[18:19], v[37:38]
	v_mov_b32_e32 v19, v9
	v_mov_b32_e32 v18, v8
	s_and_saveexec_b64 s[50:51], s[40:41]
; %bb.20312:                            ;   in Loop: Header=BB6_19750 Depth=3
	v_bfe_u32 v9, v8, 20, 1
	v_add_co_u32_e64 v9, s[40:41], v8, v9
	v_add_co_u32_e64 v18, s[40:41], -1, v9
; %bb.20313:                            ;   in Loop: Header=BB6_19750 Depth=3
	s_or_b64 exec, exec, s[50:51]
	v_add_u32_e32 v9, 0xffffff81, v21
	v_mov_b32_e32 v19, 0xffffff82
	v_cndmask_b32_e32 v9, v9, v19, vcc
	v_lshrrev_b32_e32 v19, 23, v8
	v_add3_u32 v21, v36, v9, v19
	v_add_u32_e32 v19, 6, v21
	v_and_b32_e32 v9, 0xfffff, v18
	v_add_u32_e32 v8, v9, v8
	v_mov_b32_e32 v9, v51
	v_cmp_ne_u32_e32 vcc, 0, v19
                                        ; implicit-def: $vgpr18
	s_and_saveexec_b64 s[40:41], vcc
	s_xor_b64 s[40:41], exec, s[40:41]
; %bb.20314:                            ;   in Loop: Header=BB6_19750 Depth=3
	v_cmp_lt_u64_e32 vcc, s[88:89], v[8:9]
	v_add_u32_e32 v18, 7, v21
	v_cndmask_b32_e32 v18, v19, v18, vcc
	v_cndmask_b32_e64 v19, 0, 1, vcc
	v_lshrrev_b64 v[8:9], v19, v[8:9]
; %bb.20315:                            ;   in Loop: Header=BB6_19750 Depth=3
	s_andn2_saveexec_b64 s[40:41], s[40:41]
; %bb.20316:                            ;   in Loop: Header=BB6_19750 Depth=3
	v_bfe_u32 v18, v8, 23, 1
; %bb.20317:                            ;   in Loop: Header=BB6_19750 Depth=3
	s_or_b64 exec, exec, s[40:41]
	v_lshrrev_b64 v[8:9], 20, v[8:9]
	v_cmp_gt_i32_e32 vcc, 16, v18
	v_cndmask_b32_e32 v9, 0, v9, vcc
	v_cndmask_b32_e32 v8, 7, v8, vcc
	v_cmp_eq_u64_e64 s[40:41], 0, v[8:9]
	v_min_i32_e32 v9, 15, v18
	v_lshlrev_b32_e32 v9, 3, v9
	v_cmp_eq_u32_e32 vcc, 0, v18
	v_and_b32_e32 v9, 0xf8, v9
	v_and_or_b32 v8, v8, 7, v9
	s_and_b64 s[40:41], vcc, s[40:41]
	v_cndmask_b32_e64 v8, v8, 0, s[40:41]
	v_or_b32_e32 v36, v8, v20
.LBB6_20318:                            ;   in Loop: Header=BB6_19750 Depth=3
	s_or_b64 exec, exec, s[48:49]
                                        ; implicit-def: $vgpr20
.LBB6_20319:                            ;   in Loop: Header=BB6_19750 Depth=3
	s_andn2_saveexec_b64 s[40:41], s[38:39]
; %bb.20320:                            ;   in Loop: Header=BB6_19750 Depth=3
	v_or_b32_e32 v36, 0x7e, v20
; %bb.20321:                            ;   in Loop: Header=BB6_19750 Depth=3
	s_or_b64 exec, exec, s[40:41]
                                        ; implicit-def: $vgpr8
.LBB6_20322:                            ;   in Loop: Header=BB6_19750 Depth=3
	s_andn2_saveexec_b64 s[40:41], s[36:37]
; %bb.20323:                            ;   in Loop: Header=BB6_19750 Depth=3
	v_or_b32_sdwa v36, v8, s86 dst_sel:DWORD dst_unused:UNUSED_PAD src0_sel:BYTE_3 src1_sel:DWORD
; %bb.20324:                            ;   in Loop: Header=BB6_19750 Depth=3
	s_or_b64 exec, exec, s[40:41]
	v_lshl_or_b32 v21, v29, 8, v25
	v_lshlrev_b32_e32 v8, 16, v32
	v_lshlrev_b32_e32 v9, 24, v34
	v_or3_b32 v8, v8, v9, v21
	v_mov_b32_e32 v9, v51
	v_cmp_ne_u32_e32 vcc, 0, v25
	v_mov_b32_e32 v18, 0
	s_and_saveexec_b64 s[40:41], vcc
	s_cbranch_execz .LBB6_20330
; %bb.20325:                            ;   in Loop: Header=BB6_19750 Depth=3
	v_cmp_ne_u32_e32 vcc, s96, v25
	v_bfrev_b32_e32 v18, 1
	s_and_saveexec_b64 s[36:37], vcc
	s_cbranch_execz .LBB6_20329
; %bb.20326:                            ;   in Loop: Header=BB6_19750 Depth=3
	v_and_b32_e32 v19, 0x7f, v25
	v_cmp_ne_u32_e32 vcc, s86, v19
	v_mov_b32_e32 v18, 0x7f800001
	s_and_saveexec_b64 s[38:39], vcc
	s_cbranch_execz .LBB6_20328
; %bb.20327:                            ;   in Loop: Header=BB6_19750 Depth=3
	v_and_b32_e32 v18, 7, v25
	v_ffbh_u32_e32 v18, v18
	v_min_u32_e32 v18, 32, v18
	v_lshrrev_b32_e32 v20, 3, v19
	v_cmp_gt_u32_e32 vcc, 8, v19
	v_subrev_u32_e32 v19, 28, v18
	v_sub_u32_e32 v18, 29, v18
	v_cndmask_b32_e32 v20, v20, v18, vcc
	v_cndmask_b32_e32 v18, 0, v19, vcc
	v_lshlrev_b64 v[18:19], v18, v[8:9]
	v_bfrev_b32_e32 v19, 60
	v_lshlrev_b32_e32 v9, 20, v18
	v_lshlrev_b32_e32 v18, 24, v8
	v_and_b32_e32 v9, 0x700000, v9
	v_and_b32_e32 v18, 0x80000000, v18
	v_lshl_add_u32 v19, v20, 23, v19
	v_or3_b32 v18, v18, v19, v9
.LBB6_20328:                            ;   in Loop: Header=BB6_19750 Depth=3
	s_or_b64 exec, exec, s[38:39]
.LBB6_20329:                            ;   in Loop: Header=BB6_19750 Depth=3
	s_or_b64 exec, exec, s[36:37]
.LBB6_20330:                            ;   in Loop: Header=BB6_19750 Depth=3
	s_or_b64 exec, exec, s[40:41]
	v_cmp_gt_i16_sdwa vcc, v10, s86 src0_sel:BYTE_0 src1_sel:DWORD
	s_mov_b64 s[40:41], 0
	s_and_saveexec_b64 s[36:37], vcc
	s_xor_b64 vcc, exec, s[36:37]
	s_cbranch_execz .LBB6_20548
; %bb.20331:                            ;   in Loop: Header=BB6_19750 Depth=3
	v_cmp_eq_u16_sdwa s[38:39], v10, s96 src0_sel:BYTE_0 src1_sel:DWORD
	s_mov_b64 s[40:41], -1
	s_and_saveexec_b64 s[36:37], s[38:39]
; %bb.20332:                            ;   in Loop: Header=BB6_19750 Depth=3
	s_xor_b64 s[40:41], exec, -1
; %bb.20333:                            ;   in Loop: Header=BB6_19750 Depth=3
	s_or_b64 exec, exec, s[36:37]
	s_and_b64 s[40:41], s[40:41], exec
	s_or_saveexec_b64 vcc, vcc
	v_bfrev_b32_e32 v9, 1
	s_xor_b64 exec, exec, vcc
	s_cbranch_execnz .LBB6_20549
.LBB6_20334:                            ;   in Loop: Header=BB6_19750 Depth=3
	s_or_b64 exec, exec, vcc
	s_and_saveexec_b64 s[36:37], s[40:41]
	s_cbranch_execz .LBB6_20336
.LBB6_20335:                            ;   in Loop: Header=BB6_19750 Depth=3
	v_and_b32_e32 v9, 7, v10
	v_ffbh_u32_e32 v9, v9
	v_and_b32_e32 v25, 0x7f, v10
	v_min_u32_e32 v9, 32, v9
	v_bfe_u32 v19, v10, 3, 4
	v_subrev_u32_e32 v20, 28, v9
	v_sub_u32_e32 v9, 29, v9
	v_cmp_gt_u32_e32 vcc, 8, v25
	v_cndmask_b32_e32 v9, v19, v9, vcc
	v_cndmask_b32_e32 v19, 0, v20, vcc
	v_lshlrev_b64 v[19:20], v19, v[10:11]
	v_lshlrev_b32_e32 v20, 24, v10
	v_lshlrev_b32_e32 v19, 20, v19
	v_bfrev_b32_e32 v29, 60
	v_and_b32_e32 v19, 0x700000, v19
	v_and_b32_e32 v20, 0x80000000, v20
	v_lshl_add_u32 v9, v9, 23, v29
	v_or3_b32 v9, v20, v9, v19
	v_cmp_ne_u32_e32 vcc, s86, v25
	v_mov_b32_e32 v19, 0x7f800001
	v_cndmask_b32_e32 v9, v19, v9, vcc
.LBB6_20336:                            ;   in Loop: Header=BB6_19750 Depth=3
	s_or_b64 exec, exec, s[36:37]
	v_add_f32_e32 v18, v18, v9
	v_and_b32_e32 v19, 0x7f800000, v18
	v_mov_b32_e32 v20, v51
	v_cmp_ne_u64_e32 vcc, s[76:77], v[19:20]
                                        ; implicit-def: $vgpr25
	s_and_saveexec_b64 s[40:41], vcc
	s_xor_b64 s[36:37], exec, s[40:41]
	s_cbranch_execz .LBB6_20350
; %bb.20337:                            ;   in Loop: Header=BB6_19750 Depth=3
	v_and_b32_e32 v19, 0x7fffffff, v18
	v_mov_b32_e32 v20, v51
	v_cmp_gt_u64_e32 vcc, s[78:79], v[19:20]
	v_and_b32_sdwa v9, v18, s96 dst_sel:DWORD dst_unused:UNUSED_PAD src0_sel:BYTE_3 src1_sel:DWORD
                                        ; implicit-def: $vgpr25
	s_and_saveexec_b64 s[40:41], vcc
	s_xor_b64 s[38:39], exec, s[40:41]
	s_cbranch_execz .LBB6_20347
; %bb.20338:                            ;   in Loop: Header=BB6_19750 Depth=3
	v_mov_b32_e32 v25, 0
	v_cmp_ne_u32_e32 vcc, 0, v18
	s_and_saveexec_b64 s[48:49], vcc
	s_cbranch_execz .LBB6_20346
; %bb.20339:                            ;   in Loop: Header=BB6_19750 Depth=3
	v_bfe_u32 v25, v18, 23, 8
	v_and_b32_e32 v19, 0x7fffff, v18
	v_cmp_gt_u32_e64 s[40:41], s97, v25
	v_sub_u32_e32 v18, 0x79, v25
	v_cmp_eq_u32_e32 vcc, 0, v25
	v_cndmask_b32_e64 v18, 0, v18, s[40:41]
	v_mov_b32_e32 v29, 0x78
	v_or_b32_e32 v20, 0x800000, v19
	v_cndmask_b32_e32 v29, v18, v29, vcc
	v_cndmask_b32_e32 v18, v20, v19, vcc
	v_add_u32_e32 v20, 20, v29
	v_lshlrev_b64 v[37:38], v20, -1
	v_mov_b32_e32 v19, v51
	v_add_u32_e32 v20, 19, v29
	v_bfi_b32 v37, v37, 0, v18
	v_lshlrev_b64 v[48:49], v20, 1
	v_lshrrev_b64 v[18:19], v29, v[18:19]
	v_bfi_b32 v38, v38, 0, 0
	v_cmp_eq_u64_e64 s[40:41], v[37:38], v[48:49]
	v_mov_b32_e32 v20, v19
	v_mov_b32_e32 v19, v18
	s_and_saveexec_b64 s[50:51], s[40:41]
; %bb.20340:                            ;   in Loop: Header=BB6_19750 Depth=3
	v_bfe_u32 v19, v18, 20, 1
	v_add_co_u32_e64 v19, s[40:41], v18, v19
	v_add_co_u32_e64 v19, s[40:41], -1, v19
; %bb.20341:                            ;   in Loop: Header=BB6_19750 Depth=3
	s_or_b64 exec, exec, s[50:51]
	v_add_u32_e32 v20, 0xffffff81, v25
	v_mov_b32_e32 v25, 0xffffff82
	v_cndmask_b32_e32 v20, v20, v25, vcc
	v_lshrrev_b32_e32 v25, 23, v18
	v_add3_u32 v29, v29, v20, v25
	v_add_u32_e32 v25, 6, v29
	v_and_b32_e32 v19, 0xfffff, v19
	v_add_u32_e32 v18, v19, v18
	v_mov_b32_e32 v19, v51
	v_cmp_ne_u32_e32 vcc, 0, v25
                                        ; implicit-def: $vgpr20
	s_and_saveexec_b64 s[40:41], vcc
	s_xor_b64 s[40:41], exec, s[40:41]
; %bb.20342:                            ;   in Loop: Header=BB6_19750 Depth=3
	v_cmp_lt_u64_e32 vcc, s[88:89], v[18:19]
	v_add_u32_e32 v20, 7, v29
	v_cndmask_b32_e32 v20, v25, v20, vcc
	v_cndmask_b32_e64 v25, 0, 1, vcc
	v_lshrrev_b64 v[18:19], v25, v[18:19]
; %bb.20343:                            ;   in Loop: Header=BB6_19750 Depth=3
	s_andn2_saveexec_b64 s[40:41], s[40:41]
; %bb.20344:                            ;   in Loop: Header=BB6_19750 Depth=3
	v_bfe_u32 v20, v18, 23, 1
; %bb.20345:                            ;   in Loop: Header=BB6_19750 Depth=3
	s_or_b64 exec, exec, s[40:41]
	v_lshrrev_b64 v[18:19], 20, v[18:19]
	v_cmp_gt_i32_e32 vcc, 16, v20
	v_cndmask_b32_e32 v19, 0, v19, vcc
	v_cndmask_b32_e32 v18, 7, v18, vcc
	v_cmp_eq_u64_e64 s[40:41], 0, v[18:19]
	v_min_i32_e32 v19, 15, v20
	v_lshlrev_b32_e32 v19, 3, v19
	v_cmp_eq_u32_e32 vcc, 0, v20
	v_and_b32_e32 v19, 0xf8, v19
	v_and_or_b32 v18, v18, 7, v19
	s_and_b64 s[40:41], vcc, s[40:41]
	v_cndmask_b32_e64 v18, v18, 0, s[40:41]
	v_or_b32_e32 v25, v18, v9
.LBB6_20346:                            ;   in Loop: Header=BB6_19750 Depth=3
	s_or_b64 exec, exec, s[48:49]
                                        ; implicit-def: $vgpr9
.LBB6_20347:                            ;   in Loop: Header=BB6_19750 Depth=3
	s_andn2_saveexec_b64 s[40:41], s[38:39]
; %bb.20348:                            ;   in Loop: Header=BB6_19750 Depth=3
	v_or_b32_e32 v25, 0x7e, v9
; %bb.20349:                            ;   in Loop: Header=BB6_19750 Depth=3
	s_or_b64 exec, exec, s[40:41]
                                        ; implicit-def: $vgpr18
.LBB6_20350:                            ;   in Loop: Header=BB6_19750 Depth=3
	s_andn2_saveexec_b64 s[40:41], s[36:37]
; %bb.20351:                            ;   in Loop: Header=BB6_19750 Depth=3
	v_or_b32_sdwa v25, v18, s86 dst_sel:DWORD dst_unused:UNUSED_PAD src0_sel:BYTE_3 src1_sel:DWORD
; %bb.20352:                            ;   in Loop: Header=BB6_19750 Depth=3
	s_or_b64 exec, exec, s[40:41]
	v_lshrrev_b16_e32 v9, 8, v21
	v_cmp_ne_u16_e32 vcc, 0, v9
	v_mov_b32_e32 v20, 0
	s_and_saveexec_b64 s[40:41], vcc
	s_cbranch_execz .LBB6_20358
; %bb.20353:                            ;   in Loop: Header=BB6_19750 Depth=3
	v_cmp_ne_u16_e32 vcc, s96, v9
	v_bfrev_b32_e32 v20, 1
	s_and_saveexec_b64 s[36:37], vcc
	s_cbranch_execz .LBB6_20357
; %bb.20354:                            ;   in Loop: Header=BB6_19750 Depth=3
	v_and_b32_e32 v18, 0x7f, v9
	v_cmp_ne_u32_e32 vcc, s86, v18
	v_mov_b32_e32 v20, 0x7f800001
	s_and_saveexec_b64 s[38:39], vcc
	s_cbranch_execz .LBB6_20356
; %bb.20355:                            ;   in Loop: Header=BB6_19750 Depth=3
	v_and_b32_e32 v20, 7, v9
	v_lshrrev_b32_e32 v29, 3, v18
	v_cmp_gt_u32_e32 vcc, 8, v18
	v_ffbh_u32_e32 v18, v20
	v_min_u32_e32 v32, 32, v18
	v_subrev_u32_e32 v18, 28, v32
	v_lshlrev_b64 v[18:19], v18, v[9:10]
	v_sub_u32_e32 v9, 29, v32
	v_and_b32_e32 v18, 7, v18
	v_cndmask_b32_e32 v9, v29, v9, vcc
	v_cndmask_b32_e32 v18, v20, v18, vcc
	v_lshlrev_b32_e32 v19, 16, v21
	v_bfrev_b32_e32 v20, 60
	v_lshlrev_b32_e32 v18, 20, v18
	v_and_b32_e32 v19, 0x80000000, v19
	v_lshl_add_u32 v9, v9, 23, v20
	v_or3_b32 v20, v19, v9, v18
.LBB6_20356:                            ;   in Loop: Header=BB6_19750 Depth=3
	s_or_b64 exec, exec, s[38:39]
.LBB6_20357:                            ;   in Loop: Header=BB6_19750 Depth=3
	s_or_b64 exec, exec, s[36:37]
.LBB6_20358:                            ;   in Loop: Header=BB6_19750 Depth=3
	s_or_b64 exec, exec, s[40:41]
	v_lshrrev_b16_e32 v18, 8, v10
	v_cmp_lt_i16_e32 vcc, s86, v18
	s_mov_b64 s[40:41], 0
	s_and_saveexec_b64 s[36:37], vcc
	s_xor_b64 s[36:37], exec, s[36:37]
	s_cbranch_execz .LBB6_20550
; %bb.20359:                            ;   in Loop: Header=BB6_19750 Depth=3
	v_cmp_eq_u16_e32 vcc, s96, v18
	s_mov_b64 s[40:41], -1
	s_and_saveexec_b64 s[38:39], vcc
; %bb.20360:                            ;   in Loop: Header=BB6_19750 Depth=3
	s_xor_b64 s[40:41], exec, -1
; %bb.20361:                            ;   in Loop: Header=BB6_19750 Depth=3
	s_or_b64 exec, exec, s[38:39]
	s_and_b64 s[40:41], s[40:41], exec
	s_or_saveexec_b64 s[36:37], s[36:37]
	v_bfrev_b32_e32 v9, 1
	s_xor_b64 exec, exec, s[36:37]
	s_cbranch_execnz .LBB6_20551
.LBB6_20362:                            ;   in Loop: Header=BB6_19750 Depth=3
	s_or_b64 exec, exec, s[36:37]
	s_and_saveexec_b64 s[36:37], s[40:41]
	s_cbranch_execz .LBB6_20364
.LBB6_20363:                            ;   in Loop: Header=BB6_19750 Depth=3
	v_and_b32_e32 v9, 7, v18
	v_ffbh_u32_e32 v32, v9
	v_min_u32_e32 v32, 32, v32
	v_mov_b32_e32 v19, v51
	v_subrev_u32_e32 v34, 28, v32
	v_lshlrev_b64 v[37:38], v34, v[18:19]
	v_and_b32_e32 v21, 0x7f, v18
	v_bfe_u32 v29, v18, 3, 4
	v_sub_u32_e32 v19, 29, v32
	v_and_b32_e32 v32, 7, v37
	v_cmp_gt_u32_e32 vcc, 8, v21
	v_cndmask_b32_e32 v19, v29, v19, vcc
	v_cndmask_b32_e32 v9, v9, v32, vcc
	v_lshlrev_b32_e32 v18, 24, v18
	v_bfrev_b32_e32 v29, 60
	v_lshlrev_b32_e32 v9, 20, v9
	v_and_b32_e32 v18, 0x80000000, v18
	v_lshl_add_u32 v19, v19, 23, v29
	v_or3_b32 v9, v18, v19, v9
	v_cmp_ne_u32_e32 vcc, s86, v21
	v_mov_b32_e32 v18, 0x7f800001
	v_cndmask_b32_e32 v9, v18, v9, vcc
.LBB6_20364:                            ;   in Loop: Header=BB6_19750 Depth=3
	s_or_b64 exec, exec, s[36:37]
	v_add_f32_e32 v18, v20, v9
	v_and_b32_e32 v19, 0x7f800000, v18
	v_mov_b32_e32 v20, v51
	v_cmp_ne_u64_e32 vcc, s[76:77], v[19:20]
                                        ; implicit-def: $vgpr29
	s_and_saveexec_b64 s[40:41], vcc
	s_xor_b64 s[36:37], exec, s[40:41]
	s_cbranch_execz .LBB6_20378
; %bb.20365:                            ;   in Loop: Header=BB6_19750 Depth=3
	v_and_b32_e32 v19, 0x7fffffff, v18
	v_mov_b32_e32 v20, v51
	v_cmp_gt_u64_e32 vcc, s[78:79], v[19:20]
	v_and_b32_sdwa v9, v18, s96 dst_sel:DWORD dst_unused:UNUSED_PAD src0_sel:BYTE_3 src1_sel:DWORD
                                        ; implicit-def: $vgpr29
	s_and_saveexec_b64 s[40:41], vcc
	s_xor_b64 s[38:39], exec, s[40:41]
	s_cbranch_execz .LBB6_20375
; %bb.20366:                            ;   in Loop: Header=BB6_19750 Depth=3
	v_mov_b32_e32 v29, 0
	v_cmp_ne_u32_e32 vcc, 0, v18
	s_and_saveexec_b64 s[48:49], vcc
	s_cbranch_execz .LBB6_20374
; %bb.20367:                            ;   in Loop: Header=BB6_19750 Depth=3
	v_bfe_u32 v21, v18, 23, 8
	v_and_b32_e32 v19, 0x7fffff, v18
	v_cmp_gt_u32_e64 s[40:41], s97, v21
	v_sub_u32_e32 v18, 0x79, v21
	v_cmp_eq_u32_e32 vcc, 0, v21
	v_cndmask_b32_e64 v18, 0, v18, s[40:41]
	v_mov_b32_e32 v29, 0x78
	v_or_b32_e32 v20, 0x800000, v19
	v_cndmask_b32_e32 v29, v18, v29, vcc
	v_cndmask_b32_e32 v18, v20, v19, vcc
	v_add_u32_e32 v20, 20, v29
	v_lshlrev_b64 v[37:38], v20, -1
	v_mov_b32_e32 v19, v51
	v_add_u32_e32 v20, 19, v29
	v_bfi_b32 v37, v37, 0, v18
	v_lshlrev_b64 v[48:49], v20, 1
	v_lshrrev_b64 v[18:19], v29, v[18:19]
	v_bfi_b32 v38, v38, 0, 0
	v_cmp_eq_u64_e64 s[40:41], v[37:38], v[48:49]
	v_mov_b32_e32 v20, v19
	v_mov_b32_e32 v19, v18
	s_and_saveexec_b64 s[50:51], s[40:41]
; %bb.20368:                            ;   in Loop: Header=BB6_19750 Depth=3
	v_bfe_u32 v19, v18, 20, 1
	v_add_co_u32_e64 v19, s[40:41], v18, v19
	v_add_co_u32_e64 v19, s[40:41], -1, v19
; %bb.20369:                            ;   in Loop: Header=BB6_19750 Depth=3
	s_or_b64 exec, exec, s[50:51]
	v_add_u32_e32 v20, 0xffffff81, v21
	v_mov_b32_e32 v21, 0xffffff82
	v_cndmask_b32_e32 v20, v20, v21, vcc
	v_lshrrev_b32_e32 v21, 23, v18
	v_add3_u32 v29, v29, v20, v21
	v_add_u32_e32 v21, 6, v29
	v_and_b32_e32 v19, 0xfffff, v19
	v_add_u32_e32 v18, v19, v18
	v_mov_b32_e32 v19, v51
	v_cmp_ne_u32_e32 vcc, 0, v21
                                        ; implicit-def: $vgpr20
	s_and_saveexec_b64 s[40:41], vcc
	s_xor_b64 s[40:41], exec, s[40:41]
; %bb.20370:                            ;   in Loop: Header=BB6_19750 Depth=3
	v_cmp_lt_u64_e32 vcc, s[88:89], v[18:19]
	v_add_u32_e32 v20, 7, v29
	v_cndmask_b32_e32 v20, v21, v20, vcc
	v_cndmask_b32_e64 v21, 0, 1, vcc
	v_lshrrev_b64 v[18:19], v21, v[18:19]
; %bb.20371:                            ;   in Loop: Header=BB6_19750 Depth=3
	s_andn2_saveexec_b64 s[40:41], s[40:41]
; %bb.20372:                            ;   in Loop: Header=BB6_19750 Depth=3
	v_bfe_u32 v20, v18, 23, 1
; %bb.20373:                            ;   in Loop: Header=BB6_19750 Depth=3
	s_or_b64 exec, exec, s[40:41]
	v_lshrrev_b64 v[18:19], 20, v[18:19]
	v_cmp_gt_i32_e32 vcc, 16, v20
	v_cndmask_b32_e32 v19, 0, v19, vcc
	v_cndmask_b32_e32 v18, 7, v18, vcc
	v_cmp_eq_u64_e64 s[40:41], 0, v[18:19]
	v_min_i32_e32 v19, 15, v20
	v_lshlrev_b32_e32 v19, 3, v19
	v_cmp_eq_u32_e32 vcc, 0, v20
	v_and_b32_e32 v19, 0xf8, v19
	v_and_or_b32 v18, v18, 7, v19
	s_and_b64 s[40:41], vcc, s[40:41]
	v_cndmask_b32_e64 v18, v18, 0, s[40:41]
	v_or_b32_e32 v29, v18, v9
.LBB6_20374:                            ;   in Loop: Header=BB6_19750 Depth=3
	s_or_b64 exec, exec, s[48:49]
                                        ; implicit-def: $vgpr9
.LBB6_20375:                            ;   in Loop: Header=BB6_19750 Depth=3
	s_andn2_saveexec_b64 s[40:41], s[38:39]
; %bb.20376:                            ;   in Loop: Header=BB6_19750 Depth=3
	v_or_b32_e32 v29, 0x7e, v9
; %bb.20377:                            ;   in Loop: Header=BB6_19750 Depth=3
	s_or_b64 exec, exec, s[40:41]
                                        ; implicit-def: $vgpr18
.LBB6_20378:                            ;   in Loop: Header=BB6_19750 Depth=3
	s_andn2_saveexec_b64 s[40:41], s[36:37]
; %bb.20379:                            ;   in Loop: Header=BB6_19750 Depth=3
	v_or_b32_sdwa v29, v18, s86 dst_sel:DWORD dst_unused:UNUSED_PAD src0_sel:BYTE_3 src1_sel:DWORD
; %bb.20380:                            ;   in Loop: Header=BB6_19750 Depth=3
	s_or_b64 exec, exec, s[40:41]
	v_lshrrev_b32_e32 v9, 16, v8
	v_cmp_ne_u16_sdwa vcc, v9, v51 src0_sel:BYTE_0 src1_sel:DWORD
	v_mov_b32_e32 v18, 0
	s_and_saveexec_b64 s[40:41], vcc
	s_cbranch_execz .LBB6_20386
; %bb.20381:                            ;   in Loop: Header=BB6_19750 Depth=3
	v_cmp_ne_u16_sdwa vcc, v9, s96 src0_sel:BYTE_0 src1_sel:DWORD
	v_bfrev_b32_e32 v18, 1
	s_and_saveexec_b64 s[36:37], vcc
	s_cbranch_execz .LBB6_20385
; %bb.20382:                            ;   in Loop: Header=BB6_19750 Depth=3
	v_bfe_u32 v19, v8, 16, 7
	v_cmp_ne_u32_e32 vcc, s86, v19
	v_mov_b32_e32 v18, 0x7f800001
	s_and_saveexec_b64 s[38:39], vcc
	s_cbranch_execz .LBB6_20384
; %bb.20383:                            ;   in Loop: Header=BB6_19750 Depth=3
	v_and_b32_e32 v20, 7, v9
	v_ffbh_u32_e32 v18, v20
	v_min_u32_e32 v32, 32, v18
	v_subrev_u32_e32 v18, 28, v32
	v_lshrrev_b32_e32 v21, 3, v19
	v_cmp_gt_u32_e32 vcc, 8, v19
	v_lshlrev_b64 v[18:19], v18, v[9:10]
	v_sub_u32_e32 v19, 29, v32
	v_and_b32_e32 v18, 7, v18
	v_cndmask_b32_e32 v19, v21, v19, vcc
	v_cndmask_b32_e32 v18, v20, v18, vcc
	v_lshlrev_b32_e32 v9, 24, v9
	v_bfrev_b32_e32 v20, 60
	v_lshlrev_b32_e32 v18, 20, v18
	v_and_b32_e32 v9, 0x80000000, v9
	v_lshl_add_u32 v19, v19, 23, v20
	v_or3_b32 v18, v9, v19, v18
.LBB6_20384:                            ;   in Loop: Header=BB6_19750 Depth=3
	s_or_b64 exec, exec, s[38:39]
.LBB6_20385:                            ;   in Loop: Header=BB6_19750 Depth=3
	s_or_b64 exec, exec, s[36:37]
.LBB6_20386:                            ;   in Loop: Header=BB6_19750 Depth=3
	s_or_b64 exec, exec, s[40:41]
	v_lshrrev_b32_e32 v9, 16, v10
	v_cmp_gt_i16_sdwa vcc, v9, s86 src0_sel:BYTE_0 src1_sel:DWORD
	s_mov_b64 s[40:41], 0
	s_and_saveexec_b64 s[36:37], vcc
	s_xor_b64 vcc, exec, s[36:37]
	s_cbranch_execz .LBB6_20552
; %bb.20387:                            ;   in Loop: Header=BB6_19750 Depth=3
	v_cmp_eq_u16_sdwa s[38:39], v9, s96 src0_sel:BYTE_0 src1_sel:DWORD
	s_mov_b64 s[40:41], -1
	s_and_saveexec_b64 s[36:37], s[38:39]
; %bb.20388:                            ;   in Loop: Header=BB6_19750 Depth=3
	s_xor_b64 s[40:41], exec, -1
; %bb.20389:                            ;   in Loop: Header=BB6_19750 Depth=3
	s_or_b64 exec, exec, s[36:37]
	s_and_b64 s[40:41], s[40:41], exec
	s_or_saveexec_b64 vcc, vcc
	v_bfrev_b32_e32 v19, 1
	s_xor_b64 exec, exec, vcc
	s_cbranch_execnz .LBB6_20553
.LBB6_20390:                            ;   in Loop: Header=BB6_19750 Depth=3
	s_or_b64 exec, exec, vcc
	s_and_saveexec_b64 s[36:37], s[40:41]
	s_cbranch_execz .LBB6_20392
.LBB6_20391:                            ;   in Loop: Header=BB6_19750 Depth=3
	v_and_b32_e32 v21, 7, v9
	v_ffbh_u32_e32 v19, v21
	v_min_u32_e32 v37, 32, v19
	v_subrev_u32_e32 v19, 28, v37
	v_lshlrev_b64 v[19:20], v19, v[9:10]
	v_and_b32_e32 v32, 0x7f, v9
	v_bfe_u32 v34, v9, 3, 4
	v_sub_u32_e32 v20, 29, v37
	v_and_b32_e32 v19, 7, v19
	v_cmp_gt_u32_e32 vcc, 8, v32
	v_cndmask_b32_e32 v20, v34, v20, vcc
	v_cndmask_b32_e32 v19, v21, v19, vcc
	v_lshlrev_b32_e32 v9, 24, v9
	v_bfrev_b32_e32 v21, 60
	v_lshlrev_b32_e32 v19, 20, v19
	v_and_b32_e32 v9, 0x80000000, v9
	v_lshl_add_u32 v20, v20, 23, v21
	v_or3_b32 v9, v9, v20, v19
	v_cmp_ne_u32_e32 vcc, s86, v32
	v_mov_b32_e32 v19, 0x7f800001
	v_cndmask_b32_e32 v19, v19, v9, vcc
.LBB6_20392:                            ;   in Loop: Header=BB6_19750 Depth=3
	s_or_b64 exec, exec, s[36:37]
	v_add_f32_e32 v18, v18, v19
	v_and_b32_e32 v19, 0x7f800000, v18
	v_mov_b32_e32 v20, v51
	v_cmp_ne_u64_e32 vcc, s[76:77], v[19:20]
                                        ; implicit-def: $vgpr32
	s_and_saveexec_b64 s[40:41], vcc
	s_xor_b64 s[36:37], exec, s[40:41]
	s_cbranch_execz .LBB6_20406
; %bb.20393:                            ;   in Loop: Header=BB6_19750 Depth=3
	v_and_b32_e32 v19, 0x7fffffff, v18
	v_mov_b32_e32 v20, v51
	v_cmp_gt_u64_e32 vcc, s[78:79], v[19:20]
	v_and_b32_sdwa v9, v18, s96 dst_sel:DWORD dst_unused:UNUSED_PAD src0_sel:BYTE_3 src1_sel:DWORD
                                        ; implicit-def: $vgpr32
	s_and_saveexec_b64 s[40:41], vcc
	s_xor_b64 s[38:39], exec, s[40:41]
	s_cbranch_execz .LBB6_20403
; %bb.20394:                            ;   in Loop: Header=BB6_19750 Depth=3
	v_mov_b32_e32 v32, 0
	v_cmp_ne_u32_e32 vcc, 0, v18
	s_and_saveexec_b64 s[48:49], vcc
	s_cbranch_execz .LBB6_20402
; %bb.20395:                            ;   in Loop: Header=BB6_19750 Depth=3
	v_bfe_u32 v21, v18, 23, 8
	v_and_b32_e32 v19, 0x7fffff, v18
	v_cmp_gt_u32_e64 s[40:41], s97, v21
	v_sub_u32_e32 v18, 0x79, v21
	v_cmp_eq_u32_e32 vcc, 0, v21
	v_cndmask_b32_e64 v18, 0, v18, s[40:41]
	v_mov_b32_e32 v32, 0x78
	v_or_b32_e32 v20, 0x800000, v19
	v_cndmask_b32_e32 v32, v18, v32, vcc
	v_cndmask_b32_e32 v18, v20, v19, vcc
	v_add_u32_e32 v20, 20, v32
	v_lshlrev_b64 v[37:38], v20, -1
	v_mov_b32_e32 v19, v51
	v_add_u32_e32 v20, 19, v32
	v_bfi_b32 v37, v37, 0, v18
	v_lshlrev_b64 v[48:49], v20, 1
	v_lshrrev_b64 v[18:19], v32, v[18:19]
	v_bfi_b32 v38, v38, 0, 0
	v_cmp_eq_u64_e64 s[40:41], v[37:38], v[48:49]
	v_mov_b32_e32 v20, v19
	v_mov_b32_e32 v19, v18
	s_and_saveexec_b64 s[50:51], s[40:41]
; %bb.20396:                            ;   in Loop: Header=BB6_19750 Depth=3
	v_bfe_u32 v19, v18, 20, 1
	v_add_co_u32_e64 v19, s[40:41], v18, v19
	v_add_co_u32_e64 v19, s[40:41], -1, v19
; %bb.20397:                            ;   in Loop: Header=BB6_19750 Depth=3
	s_or_b64 exec, exec, s[50:51]
	v_add_u32_e32 v20, 0xffffff81, v21
	v_mov_b32_e32 v21, 0xffffff82
	v_cndmask_b32_e32 v20, v20, v21, vcc
	v_lshrrev_b32_e32 v21, 23, v18
	v_add3_u32 v32, v32, v20, v21
	v_add_u32_e32 v21, 6, v32
	v_and_b32_e32 v19, 0xfffff, v19
	v_add_u32_e32 v18, v19, v18
	v_mov_b32_e32 v19, v51
	v_cmp_ne_u32_e32 vcc, 0, v21
                                        ; implicit-def: $vgpr20
	s_and_saveexec_b64 s[40:41], vcc
	s_xor_b64 s[40:41], exec, s[40:41]
; %bb.20398:                            ;   in Loop: Header=BB6_19750 Depth=3
	v_cmp_lt_u64_e32 vcc, s[88:89], v[18:19]
	v_add_u32_e32 v20, 7, v32
	v_cndmask_b32_e32 v20, v21, v20, vcc
	v_cndmask_b32_e64 v21, 0, 1, vcc
	v_lshrrev_b64 v[18:19], v21, v[18:19]
; %bb.20399:                            ;   in Loop: Header=BB6_19750 Depth=3
	s_andn2_saveexec_b64 s[40:41], s[40:41]
; %bb.20400:                            ;   in Loop: Header=BB6_19750 Depth=3
	v_bfe_u32 v20, v18, 23, 1
; %bb.20401:                            ;   in Loop: Header=BB6_19750 Depth=3
	s_or_b64 exec, exec, s[40:41]
	v_lshrrev_b64 v[18:19], 20, v[18:19]
	v_cmp_gt_i32_e32 vcc, 16, v20
	v_cndmask_b32_e32 v19, 0, v19, vcc
	v_cndmask_b32_e32 v18, 7, v18, vcc
	v_cmp_eq_u64_e64 s[40:41], 0, v[18:19]
	v_min_i32_e32 v19, 15, v20
	v_lshlrev_b32_e32 v19, 3, v19
	v_cmp_eq_u32_e32 vcc, 0, v20
	v_and_b32_e32 v19, 0xf8, v19
	v_and_or_b32 v18, v18, 7, v19
	s_and_b64 s[40:41], vcc, s[40:41]
	v_cndmask_b32_e64 v18, v18, 0, s[40:41]
	v_or_b32_e32 v32, v18, v9
.LBB6_20402:                            ;   in Loop: Header=BB6_19750 Depth=3
	s_or_b64 exec, exec, s[48:49]
                                        ; implicit-def: $vgpr9
.LBB6_20403:                            ;   in Loop: Header=BB6_19750 Depth=3
	s_andn2_saveexec_b64 s[40:41], s[38:39]
; %bb.20404:                            ;   in Loop: Header=BB6_19750 Depth=3
	v_or_b32_e32 v32, 0x7e, v9
; %bb.20405:                            ;   in Loop: Header=BB6_19750 Depth=3
	s_or_b64 exec, exec, s[40:41]
                                        ; implicit-def: $vgpr18
.LBB6_20406:                            ;   in Loop: Header=BB6_19750 Depth=3
	s_andn2_saveexec_b64 s[40:41], s[36:37]
; %bb.20407:                            ;   in Loop: Header=BB6_19750 Depth=3
	v_or_b32_sdwa v32, v18, s86 dst_sel:DWORD dst_unused:UNUSED_PAD src0_sel:BYTE_3 src1_sel:DWORD
; %bb.20408:                            ;   in Loop: Header=BB6_19750 Depth=3
	s_or_b64 exec, exec, s[40:41]
	v_cmp_lt_u32_e32 vcc, s57, v8
	v_mov_b32_e32 v18, 0
	s_and_saveexec_b64 s[40:41], vcc
	s_cbranch_execz .LBB6_20414
; %bb.20409:                            ;   in Loop: Header=BB6_19750 Depth=3
	v_lshrrev_b32_e32 v9, 24, v8
	v_cmp_ne_u32_sdwa vcc, v8, s96 src0_sel:BYTE_3 src1_sel:DWORD
	v_bfrev_b32_e32 v18, 1
	s_and_saveexec_b64 s[36:37], vcc
	s_cbranch_execz .LBB6_20413
; %bb.20410:                            ;   in Loop: Header=BB6_19750 Depth=3
	v_bfe_u32 v19, v8, 24, 7
	v_cmp_ne_u32_e32 vcc, s86, v19
	v_mov_b32_e32 v18, 0x7f800001
	s_and_saveexec_b64 s[38:39], vcc
	s_cbranch_execz .LBB6_20412
; %bb.20411:                            ;   in Loop: Header=BB6_19750 Depth=3
	v_and_b32_e32 v20, 7, v9
	v_ffbh_u32_e32 v18, v20
	v_min_u32_e32 v34, 32, v18
	v_subrev_u32_e32 v18, 28, v34
	v_lshrrev_b32_e32 v21, 3, v19
	v_cmp_gt_u32_e32 vcc, 8, v19
	v_lshlrev_b64 v[18:19], v18, v[9:10]
	v_sub_u32_e32 v9, 29, v34
	v_and_b32_e32 v18, 7, v18
	v_mov_b32_e32 v19, 24
	v_cndmask_b32_e32 v9, v21, v9, vcc
	v_cndmask_b32_e32 v18, v20, v18, vcc
	v_lshlrev_b32_sdwa v8, v19, v8 dst_sel:DWORD dst_unused:UNUSED_PAD src0_sel:DWORD src1_sel:BYTE_3
	v_bfrev_b32_e32 v19, 60
	v_lshlrev_b32_e32 v18, 20, v18
	v_and_b32_e32 v8, 0x80000000, v8
	v_lshl_add_u32 v9, v9, 23, v19
	v_or3_b32 v18, v8, v9, v18
.LBB6_20412:                            ;   in Loop: Header=BB6_19750 Depth=3
	s_or_b64 exec, exec, s[38:39]
.LBB6_20413:                            ;   in Loop: Header=BB6_19750 Depth=3
	s_or_b64 exec, exec, s[36:37]
.LBB6_20414:                            ;   in Loop: Header=BB6_19750 Depth=3
	s_or_b64 exec, exec, s[40:41]
	v_bfe_u32 v9, v10, 24, 3
	v_ffbh_u32_e32 v19, v9
	v_min_u32_e32 v37, 32, v19
	v_lshrrev_b32_e32 v8, 24, v10
	v_subrev_u32_e32 v19, 28, v37
	v_lshlrev_b64 v[19:20], v19, v[8:9]
	v_bfe_u32 v21, v10, 24, 7
	v_bfe_u32 v34, v8, 3, 4
	v_sub_u32_e32 v20, 29, v37
	v_and_b32_e32 v19, 7, v19
	v_cmp_gt_u32_e32 vcc, 8, v21
	v_cndmask_b32_e32 v20, v34, v20, vcc
	v_cndmask_b32_e32 v9, v9, v19, vcc
	v_bfrev_b32_e32 v34, 60
	v_lshlrev_b32_e32 v9, 20, v9
	v_and_b32_e32 v19, 0x80000000, v10
	v_lshl_add_u32 v20, v20, 23, v34
	v_or3_b32 v9, v19, v20, v9
	v_cmp_ne_u32_e32 vcc, s86, v21
	v_mov_b32_e32 v19, 0x7f800001
	v_cndmask_b32_e32 v9, v19, v9, vcc
	v_cmp_ne_u32_e32 vcc, s96, v8
	v_bfrev_b32_e32 v8, 1
	v_cndmask_b32_e32 v8, v8, v9, vcc
	v_cmp_lt_u32_e32 vcc, s57, v10
	v_cndmask_b32_e32 v8, 0, v8, vcc
	v_add_f32_e32 v8, v8, v18
	v_and_b32_e32 v18, 0x7f800000, v8
	v_mov_b32_e32 v19, v51
	v_cmp_ne_u64_e32 vcc, s[76:77], v[18:19]
                                        ; implicit-def: $vgpr34
	s_and_saveexec_b64 s[40:41], vcc
	s_xor_b64 s[36:37], exec, s[40:41]
	s_cbranch_execz .LBB6_20428
; %bb.20415:                            ;   in Loop: Header=BB6_19750 Depth=3
	v_and_b32_e32 v18, 0x7fffffff, v8
	v_mov_b32_e32 v19, v51
	v_cmp_gt_u64_e32 vcc, s[78:79], v[18:19]
	v_and_b32_sdwa v20, v8, s96 dst_sel:DWORD dst_unused:UNUSED_PAD src0_sel:BYTE_3 src1_sel:DWORD
                                        ; implicit-def: $vgpr34
	s_and_saveexec_b64 s[40:41], vcc
	s_xor_b64 s[38:39], exec, s[40:41]
	s_cbranch_execz .LBB6_20425
; %bb.20416:                            ;   in Loop: Header=BB6_19750 Depth=3
	v_mov_b32_e32 v34, 0
	v_cmp_ne_u32_e32 vcc, 0, v8
	s_and_saveexec_b64 s[48:49], vcc
	s_cbranch_execz .LBB6_20424
; %bb.20417:                            ;   in Loop: Header=BB6_19750 Depth=3
	v_bfe_u32 v21, v8, 23, 8
	v_and_b32_e32 v9, 0x7fffff, v8
	v_cmp_gt_u32_e64 s[40:41], s97, v21
	v_sub_u32_e32 v8, 0x79, v21
	v_cmp_eq_u32_e32 vcc, 0, v21
	v_cndmask_b32_e64 v8, 0, v8, s[40:41]
	v_mov_b32_e32 v19, 0x78
	v_or_b32_e32 v18, 0x800000, v9
	v_cndmask_b32_e32 v34, v8, v19, vcc
	v_cndmask_b32_e32 v8, v18, v9, vcc
	v_add_u32_e32 v18, 20, v34
	v_lshlrev_b64 v[18:19], v18, -1
	v_mov_b32_e32 v9, v51
	v_add_u32_e32 v37, 19, v34
	v_bfi_b32 v18, v18, 0, v8
	v_lshlrev_b64 v[37:38], v37, 1
	v_lshrrev_b64 v[8:9], v34, v[8:9]
	v_bfi_b32 v19, v19, 0, 0
	v_cmp_eq_u64_e64 s[40:41], v[18:19], v[37:38]
	v_mov_b32_e32 v19, v9
	v_mov_b32_e32 v18, v8
	s_and_saveexec_b64 s[50:51], s[40:41]
; %bb.20418:                            ;   in Loop: Header=BB6_19750 Depth=3
	v_bfe_u32 v9, v8, 20, 1
	v_add_co_u32_e64 v9, s[40:41], v8, v9
	v_add_co_u32_e64 v18, s[40:41], -1, v9
; %bb.20419:                            ;   in Loop: Header=BB6_19750 Depth=3
	s_or_b64 exec, exec, s[50:51]
	v_add_u32_e32 v9, 0xffffff81, v21
	v_mov_b32_e32 v19, 0xffffff82
	v_cndmask_b32_e32 v9, v9, v19, vcc
	v_lshrrev_b32_e32 v19, 23, v8
	v_add3_u32 v21, v34, v9, v19
	v_add_u32_e32 v19, 6, v21
	v_and_b32_e32 v9, 0xfffff, v18
	v_add_u32_e32 v8, v9, v8
	v_mov_b32_e32 v9, v51
	v_cmp_ne_u32_e32 vcc, 0, v19
                                        ; implicit-def: $vgpr18
	s_and_saveexec_b64 s[40:41], vcc
	s_xor_b64 s[40:41], exec, s[40:41]
; %bb.20420:                            ;   in Loop: Header=BB6_19750 Depth=3
	v_cmp_lt_u64_e32 vcc, s[88:89], v[8:9]
	v_add_u32_e32 v18, 7, v21
	v_cndmask_b32_e32 v18, v19, v18, vcc
	v_cndmask_b32_e64 v19, 0, 1, vcc
	v_lshrrev_b64 v[8:9], v19, v[8:9]
; %bb.20421:                            ;   in Loop: Header=BB6_19750 Depth=3
	s_andn2_saveexec_b64 s[40:41], s[40:41]
; %bb.20422:                            ;   in Loop: Header=BB6_19750 Depth=3
	v_bfe_u32 v18, v8, 23, 1
; %bb.20423:                            ;   in Loop: Header=BB6_19750 Depth=3
	s_or_b64 exec, exec, s[40:41]
	v_lshrrev_b64 v[8:9], 20, v[8:9]
	v_cmp_gt_i32_e32 vcc, 16, v18
	v_cndmask_b32_e32 v9, 0, v9, vcc
	v_cndmask_b32_e32 v8, 7, v8, vcc
	v_cmp_eq_u64_e64 s[40:41], 0, v[8:9]
	v_min_i32_e32 v9, 15, v18
	v_lshlrev_b32_e32 v9, 3, v9
	v_cmp_eq_u32_e32 vcc, 0, v18
	v_and_b32_e32 v9, 0xf8, v9
	v_and_or_b32 v8, v8, 7, v9
	s_and_b64 s[40:41], vcc, s[40:41]
	v_cndmask_b32_e64 v8, v8, 0, s[40:41]
	v_or_b32_e32 v34, v8, v20
.LBB6_20424:                            ;   in Loop: Header=BB6_19750 Depth=3
	s_or_b64 exec, exec, s[48:49]
                                        ; implicit-def: $vgpr20
.LBB6_20425:                            ;   in Loop: Header=BB6_19750 Depth=3
	s_andn2_saveexec_b64 s[40:41], s[38:39]
; %bb.20426:                            ;   in Loop: Header=BB6_19750 Depth=3
	v_or_b32_e32 v34, 0x7e, v20
; %bb.20427:                            ;   in Loop: Header=BB6_19750 Depth=3
	s_or_b64 exec, exec, s[40:41]
                                        ; implicit-def: $vgpr8
.LBB6_20428:                            ;   in Loop: Header=BB6_19750 Depth=3
	s_andn2_saveexec_b64 s[40:41], s[36:37]
; %bb.20429:                            ;   in Loop: Header=BB6_19750 Depth=3
	v_or_b32_sdwa v34, v8, s86 dst_sel:DWORD dst_unused:UNUSED_PAD src0_sel:BYTE_3 src1_sel:DWORD
; %bb.20430:                            ;   in Loop: Header=BB6_19750 Depth=3
	s_or_b64 exec, exec, s[40:41]
	v_lshlrev_b32_e32 v8, 24, v31
	v_lshlrev_b32_e32 v9, 16, v28
	v_lshl_or_b32 v26, v26, 8, v23
	v_or3_b32 v8, v9, v8, v26
	v_mov_b32_e32 v9, v51
	v_cmp_ne_u32_e32 vcc, 0, v23
	v_mov_b32_e32 v20, 0
	s_and_saveexec_b64 s[40:41], vcc
	s_cbranch_execz .LBB6_20436
; %bb.20431:                            ;   in Loop: Header=BB6_19750 Depth=3
	v_cmp_ne_u32_e32 vcc, s96, v23
	v_bfrev_b32_e32 v20, 1
	s_and_saveexec_b64 s[36:37], vcc
	s_cbranch_execz .LBB6_20435
; %bb.20432:                            ;   in Loop: Header=BB6_19750 Depth=3
	v_and_b32_e32 v18, 0x7f, v23
	v_cmp_ne_u32_e32 vcc, s86, v18
	v_mov_b32_e32 v20, 0x7f800001
	s_and_saveexec_b64 s[38:39], vcc
	s_cbranch_execz .LBB6_20434
; %bb.20433:                            ;   in Loop: Header=BB6_19750 Depth=3
	v_and_b32_e32 v19, 7, v23
	v_lshrrev_b32_e32 v20, 3, v18
	v_cmp_gt_u32_e32 vcc, 8, v18
	v_ffbh_u32_e32 v18, v19
	v_min_u32_e32 v18, 32, v18
	v_subrev_u32_e32 v19, 28, v18
	v_sub_u32_e32 v18, 29, v18
	v_cndmask_b32_e32 v20, v20, v18, vcc
	v_cndmask_b32_e32 v18, 0, v19, vcc
	v_lshlrev_b64 v[18:19], v18, v[8:9]
	v_bfrev_b32_e32 v19, 60
	v_lshlrev_b32_e32 v9, 20, v18
	v_lshlrev_b32_e32 v18, 24, v8
	v_and_b32_e32 v9, 0x700000, v9
	v_and_b32_e32 v18, 0x80000000, v18
	v_lshl_add_u32 v19, v20, 23, v19
	v_or3_b32 v20, v18, v19, v9
.LBB6_20434:                            ;   in Loop: Header=BB6_19750 Depth=3
	s_or_b64 exec, exec, s[38:39]
.LBB6_20435:                            ;   in Loop: Header=BB6_19750 Depth=3
	s_or_b64 exec, exec, s[36:37]
.LBB6_20436:                            ;   in Loop: Header=BB6_19750 Depth=3
	s_or_b64 exec, exec, s[40:41]
	v_cmp_gt_i16_sdwa vcc, v11, s86 src0_sel:BYTE_0 src1_sel:DWORD
	s_mov_b64 s[40:41], 0
	s_and_saveexec_b64 s[36:37], vcc
	s_xor_b64 vcc, exec, s[36:37]
	s_cbranch_execz .LBB6_20440
; %bb.20437:                            ;   in Loop: Header=BB6_19750 Depth=3
	v_cmp_eq_u16_sdwa s[38:39], v11, s96 src0_sel:BYTE_0 src1_sel:DWORD
	s_mov_b64 s[40:41], -1
	s_and_saveexec_b64 s[36:37], s[38:39]
; %bb.20438:                            ;   in Loop: Header=BB6_19750 Depth=3
	s_xor_b64 s[40:41], exec, -1
; %bb.20439:                            ;   in Loop: Header=BB6_19750 Depth=3
	s_or_b64 exec, exec, s[36:37]
	s_and_b64 s[40:41], s[40:41], exec
.LBB6_20440:                            ;   in Loop: Header=BB6_19750 Depth=3
	s_or_saveexec_b64 vcc, vcc
	v_bfrev_b32_e32 v9, 1
	s_xor_b64 exec, exec, vcc
; %bb.20441:                            ;   in Loop: Header=BB6_19750 Depth=3
	v_cmp_ne_u16_sdwa s[36:37], v11, v51 src0_sel:BYTE_0 src1_sel:DWORD
	s_andn2_b64 s[40:41], s[40:41], exec
	s_and_b64 s[36:37], s[36:37], exec
	v_mov_b32_e32 v9, 0
	s_or_b64 s[40:41], s[40:41], s[36:37]
; %bb.20442:                            ;   in Loop: Header=BB6_19750 Depth=3
	s_or_b64 exec, exec, vcc
	v_mov_b32_e32 v18, v11
	v_mov_b32_e32 v19, v51
	s_and_saveexec_b64 s[36:37], s[40:41]
	s_cbranch_execz .LBB6_20444
; %bb.20443:                            ;   in Loop: Header=BB6_19750 Depth=3
	v_and_b32_e32 v9, 7, v11
	v_ffbh_u32_e32 v9, v9
	v_and_b32_e32 v21, 0x7f, v11
	v_min_u32_e32 v9, 32, v9
	v_bfe_u32 v23, v11, 3, 4
	v_subrev_u32_e32 v28, 28, v9
	v_sub_u32_e32 v9, 29, v9
	v_cmp_gt_u32_e32 vcc, 8, v21
	v_cndmask_b32_e32 v9, v23, v9, vcc
	v_cndmask_b32_e32 v23, 0, v28, vcc
	v_lshlrev_b64 v[37:38], v23, v[18:19]
	v_lshlrev_b32_e32 v23, 24, v18
	v_lshlrev_b32_e32 v19, 20, v37
	v_bfrev_b32_e32 v28, 60
	v_and_b32_e32 v19, 0x700000, v19
	v_and_b32_e32 v23, 0x80000000, v23
	v_lshl_add_u32 v9, v9, 23, v28
	v_or3_b32 v9, v23, v9, v19
	v_cmp_ne_u32_e32 vcc, s86, v21
	v_mov_b32_e32 v19, 0x7f800001
	v_cndmask_b32_e32 v9, v19, v9, vcc
.LBB6_20444:                            ;   in Loop: Header=BB6_19750 Depth=3
	s_or_b64 exec, exec, s[36:37]
	v_add_f32_e32 v19, v20, v9
	v_and_b32_e32 v20, 0x7f800000, v19
	v_mov_b32_e32 v21, v51
	v_cmp_ne_u64_e32 vcc, s[76:77], v[20:21]
                                        ; implicit-def: $vgpr21
	s_and_saveexec_b64 s[40:41], vcc
	s_xor_b64 s[36:37], exec, s[40:41]
	s_cbranch_execz .LBB6_20458
; %bb.20445:                            ;   in Loop: Header=BB6_19750 Depth=3
	v_and_b32_e32 v20, 0x7fffffff, v19
	v_mov_b32_e32 v21, v51
	v_cmp_gt_u64_e32 vcc, s[78:79], v[20:21]
	v_and_b32_sdwa v9, v19, s96 dst_sel:DWORD dst_unused:UNUSED_PAD src0_sel:BYTE_3 src1_sel:DWORD
                                        ; implicit-def: $vgpr21
	s_and_saveexec_b64 s[40:41], vcc
	s_xor_b64 s[38:39], exec, s[40:41]
	s_cbranch_execz .LBB6_20455
; %bb.20446:                            ;   in Loop: Header=BB6_19750 Depth=3
	v_mov_b32_e32 v21, 0
	v_cmp_ne_u32_e32 vcc, 0, v19
	s_and_saveexec_b64 s[48:49], vcc
	s_cbranch_execz .LBB6_20454
; %bb.20447:                            ;   in Loop: Header=BB6_19750 Depth=3
	v_bfe_u32 v23, v19, 23, 8
	v_and_b32_e32 v20, 0x7fffff, v19
	v_cmp_gt_u32_e64 s[40:41], s97, v23
	v_sub_u32_e32 v19, 0x79, v23
	v_cmp_eq_u32_e32 vcc, 0, v23
	v_cndmask_b32_e64 v19, 0, v19, s[40:41]
	v_mov_b32_e32 v28, 0x78
	v_or_b32_e32 v21, 0x800000, v20
	v_cndmask_b32_e32 v28, v19, v28, vcc
	v_cndmask_b32_e32 v19, v21, v20, vcc
	v_add_u32_e32 v21, 20, v28
	v_lshlrev_b64 v[37:38], v21, -1
	v_mov_b32_e32 v20, v51
	v_add_u32_e32 v21, 19, v28
	v_bfi_b32 v37, v37, 0, v19
	v_lshlrev_b64 v[48:49], v21, 1
	v_lshrrev_b64 v[19:20], v28, v[19:20]
	v_bfi_b32 v38, v38, 0, 0
	v_cmp_eq_u64_e64 s[40:41], v[37:38], v[48:49]
	v_mov_b32_e32 v21, v20
	v_mov_b32_e32 v20, v19
	s_and_saveexec_b64 s[50:51], s[40:41]
; %bb.20448:                            ;   in Loop: Header=BB6_19750 Depth=3
	v_bfe_u32 v20, v19, 20, 1
	v_add_co_u32_e64 v20, s[40:41], v19, v20
	v_add_co_u32_e64 v20, s[40:41], -1, v20
; %bb.20449:                            ;   in Loop: Header=BB6_19750 Depth=3
	s_or_b64 exec, exec, s[50:51]
	v_add_u32_e32 v21, 0xffffff81, v23
	v_mov_b32_e32 v23, 0xffffff82
	v_cndmask_b32_e32 v21, v21, v23, vcc
	v_lshrrev_b32_e32 v23, 23, v19
	v_add3_u32 v28, v28, v21, v23
	v_add_u32_e32 v23, 6, v28
	v_and_b32_e32 v20, 0xfffff, v20
	v_add_u32_e32 v19, v20, v19
	v_mov_b32_e32 v20, v51
	v_cmp_ne_u32_e32 vcc, 0, v23
                                        ; implicit-def: $vgpr21
	s_and_saveexec_b64 s[40:41], vcc
	s_xor_b64 s[40:41], exec, s[40:41]
; %bb.20450:                            ;   in Loop: Header=BB6_19750 Depth=3
	v_cmp_lt_u64_e32 vcc, s[88:89], v[19:20]
	v_add_u32_e32 v21, 7, v28
	v_cndmask_b32_e32 v21, v23, v21, vcc
	v_cndmask_b32_e64 v23, 0, 1, vcc
	v_lshrrev_b64 v[19:20], v23, v[19:20]
; %bb.20451:                            ;   in Loop: Header=BB6_19750 Depth=3
	s_andn2_saveexec_b64 s[40:41], s[40:41]
; %bb.20452:                            ;   in Loop: Header=BB6_19750 Depth=3
	v_bfe_u32 v21, v19, 23, 1
; %bb.20453:                            ;   in Loop: Header=BB6_19750 Depth=3
	s_or_b64 exec, exec, s[40:41]
	v_lshrrev_b64 v[19:20], 20, v[19:20]
	v_cmp_gt_i32_e32 vcc, 16, v21
	v_cndmask_b32_e32 v20, 0, v20, vcc
	v_cndmask_b32_e32 v19, 7, v19, vcc
	v_cmp_eq_u64_e64 s[40:41], 0, v[19:20]
	v_min_i32_e32 v20, 15, v21
	v_lshlrev_b32_e32 v20, 3, v20
	v_cmp_eq_u32_e32 vcc, 0, v21
	v_and_b32_e32 v20, 0xf8, v20
	v_and_or_b32 v19, v19, 7, v20
	s_and_b64 s[40:41], vcc, s[40:41]
	v_cndmask_b32_e64 v19, v19, 0, s[40:41]
	v_or_b32_e32 v21, v19, v9
.LBB6_20454:                            ;   in Loop: Header=BB6_19750 Depth=3
	s_or_b64 exec, exec, s[48:49]
                                        ; implicit-def: $vgpr9
.LBB6_20455:                            ;   in Loop: Header=BB6_19750 Depth=3
	s_andn2_saveexec_b64 s[40:41], s[38:39]
; %bb.20456:                            ;   in Loop: Header=BB6_19750 Depth=3
	v_or_b32_e32 v21, 0x7e, v9
; %bb.20457:                            ;   in Loop: Header=BB6_19750 Depth=3
	s_or_b64 exec, exec, s[40:41]
                                        ; implicit-def: $vgpr19
.LBB6_20458:                            ;   in Loop: Header=BB6_19750 Depth=3
	s_andn2_saveexec_b64 s[40:41], s[36:37]
; %bb.20459:                            ;   in Loop: Header=BB6_19750 Depth=3
	v_or_b32_sdwa v21, v19, s86 dst_sel:DWORD dst_unused:UNUSED_PAD src0_sel:BYTE_3 src1_sel:DWORD
; %bb.20460:                            ;   in Loop: Header=BB6_19750 Depth=3
	s_or_b64 exec, exec, s[40:41]
	v_lshrrev_b16_e32 v9, 8, v26
	v_cmp_ne_u16_e32 vcc, 0, v9
	v_mov_b32_e32 v20, 0
	s_and_saveexec_b64 s[40:41], vcc
	s_cbranch_execz .LBB6_20466
; %bb.20461:                            ;   in Loop: Header=BB6_19750 Depth=3
	v_cmp_ne_u16_e32 vcc, s96, v9
	v_bfrev_b32_e32 v20, 1
	s_and_saveexec_b64 s[36:37], vcc
	s_cbranch_execz .LBB6_20465
; %bb.20462:                            ;   in Loop: Header=BB6_19750 Depth=3
	v_and_b32_e32 v19, 0x7f, v9
	v_cmp_ne_u32_e32 vcc, s86, v19
	v_mov_b32_e32 v20, 0x7f800001
	s_and_saveexec_b64 s[38:39], vcc
	s_cbranch_execz .LBB6_20464
; %bb.20463:                            ;   in Loop: Header=BB6_19750 Depth=3
	v_and_b32_e32 v23, 7, v9
	v_lshrrev_b32_e32 v28, 3, v19
	v_cmp_gt_u32_e32 vcc, 8, v19
	v_ffbh_u32_e32 v19, v23
	v_min_u32_e32 v31, 32, v19
	v_subrev_u32_e32 v19, 28, v31
	v_lshlrev_b64 v[19:20], v19, v[9:10]
	v_sub_u32_e32 v9, 29, v31
	v_and_b32_e32 v19, 7, v19
	v_cndmask_b32_e32 v9, v28, v9, vcc
	v_cndmask_b32_e32 v19, v23, v19, vcc
	v_lshlrev_b32_e32 v20, 16, v26
	v_bfrev_b32_e32 v23, 60
	v_lshlrev_b32_e32 v19, 20, v19
	v_and_b32_e32 v20, 0x80000000, v20
	v_lshl_add_u32 v9, v9, 23, v23
	v_or3_b32 v20, v20, v9, v19
.LBB6_20464:                            ;   in Loop: Header=BB6_19750 Depth=3
	s_or_b64 exec, exec, s[38:39]
.LBB6_20465:                            ;   in Loop: Header=BB6_19750 Depth=3
	s_or_b64 exec, exec, s[36:37]
.LBB6_20466:                            ;   in Loop: Header=BB6_19750 Depth=3
	s_or_b64 exec, exec, s[40:41]
	v_lshrrev_b16_e32 v18, 8, v18
	v_cmp_lt_i16_e32 vcc, s86, v18
	s_mov_b64 s[40:41], 0
	s_and_saveexec_b64 s[36:37], vcc
	s_xor_b64 s[36:37], exec, s[36:37]
	s_cbranch_execz .LBB6_20554
; %bb.20467:                            ;   in Loop: Header=BB6_19750 Depth=3
	v_cmp_eq_u16_e32 vcc, s96, v18
	s_mov_b64 s[40:41], -1
	s_and_saveexec_b64 s[38:39], vcc
; %bb.20468:                            ;   in Loop: Header=BB6_19750 Depth=3
	s_xor_b64 s[40:41], exec, -1
; %bb.20469:                            ;   in Loop: Header=BB6_19750 Depth=3
	s_or_b64 exec, exec, s[38:39]
	s_and_b64 s[40:41], s[40:41], exec
	s_or_saveexec_b64 s[36:37], s[36:37]
	v_bfrev_b32_e32 v9, 1
	s_xor_b64 exec, exec, s[36:37]
	s_cbranch_execnz .LBB6_20555
.LBB6_20470:                            ;   in Loop: Header=BB6_19750 Depth=3
	s_or_b64 exec, exec, s[36:37]
	s_and_saveexec_b64 s[36:37], s[40:41]
	s_cbranch_execz .LBB6_20472
.LBB6_20471:                            ;   in Loop: Header=BB6_19750 Depth=3
	v_and_b32_e32 v9, 7, v18
	v_ffbh_u32_e32 v28, v9
	v_min_u32_e32 v28, 32, v28
	v_mov_b32_e32 v19, v51
	v_subrev_u32_e32 v31, 28, v28
	v_lshlrev_b64 v[37:38], v31, v[18:19]
	v_and_b32_e32 v23, 0x7f, v18
	v_bfe_u32 v26, v18, 3, 4
	v_sub_u32_e32 v19, 29, v28
	v_and_b32_e32 v28, 7, v37
	v_cmp_gt_u32_e32 vcc, 8, v23
	v_cndmask_b32_e32 v19, v26, v19, vcc
	v_cndmask_b32_e32 v9, v9, v28, vcc
	v_lshlrev_b32_e32 v18, 24, v18
	v_bfrev_b32_e32 v26, 60
	v_lshlrev_b32_e32 v9, 20, v9
	v_and_b32_e32 v18, 0x80000000, v18
	v_lshl_add_u32 v19, v19, 23, v26
	v_or3_b32 v9, v18, v19, v9
	v_cmp_ne_u32_e32 vcc, s86, v23
	v_mov_b32_e32 v18, 0x7f800001
	v_cndmask_b32_e32 v9, v18, v9, vcc
.LBB6_20472:                            ;   in Loop: Header=BB6_19750 Depth=3
	s_or_b64 exec, exec, s[36:37]
	v_add_f32_e32 v18, v20, v9
	v_and_b32_e32 v19, 0x7f800000, v18
	v_mov_b32_e32 v20, v51
	v_cmp_ne_u64_e32 vcc, s[76:77], v[19:20]
                                        ; implicit-def: $vgpr23
	s_and_saveexec_b64 s[40:41], vcc
	s_xor_b64 s[36:37], exec, s[40:41]
	s_cbranch_execz .LBB6_20486
; %bb.20473:                            ;   in Loop: Header=BB6_19750 Depth=3
	v_and_b32_e32 v19, 0x7fffffff, v18
	v_mov_b32_e32 v20, v51
	v_cmp_gt_u64_e32 vcc, s[78:79], v[19:20]
	v_and_b32_sdwa v9, v18, s96 dst_sel:DWORD dst_unused:UNUSED_PAD src0_sel:BYTE_3 src1_sel:DWORD
                                        ; implicit-def: $vgpr23
	s_and_saveexec_b64 s[40:41], vcc
	s_xor_b64 s[38:39], exec, s[40:41]
	s_cbranch_execz .LBB6_20483
; %bb.20474:                            ;   in Loop: Header=BB6_19750 Depth=3
	v_mov_b32_e32 v23, 0
	v_cmp_ne_u32_e32 vcc, 0, v18
	s_and_saveexec_b64 s[48:49], vcc
	s_cbranch_execz .LBB6_20482
; %bb.20475:                            ;   in Loop: Header=BB6_19750 Depth=3
	v_bfe_u32 v23, v18, 23, 8
	v_and_b32_e32 v19, 0x7fffff, v18
	v_cmp_gt_u32_e64 s[40:41], s97, v23
	v_sub_u32_e32 v18, 0x79, v23
	v_cmp_eq_u32_e32 vcc, 0, v23
	v_cndmask_b32_e64 v18, 0, v18, s[40:41]
	v_mov_b32_e32 v26, 0x78
	v_or_b32_e32 v20, 0x800000, v19
	v_cndmask_b32_e32 v26, v18, v26, vcc
	v_cndmask_b32_e32 v18, v20, v19, vcc
	v_add_u32_e32 v20, 20, v26
	v_lshlrev_b64 v[37:38], v20, -1
	v_mov_b32_e32 v19, v51
	v_add_u32_e32 v20, 19, v26
	v_bfi_b32 v37, v37, 0, v18
	v_lshlrev_b64 v[48:49], v20, 1
	v_lshrrev_b64 v[18:19], v26, v[18:19]
	v_bfi_b32 v38, v38, 0, 0
	v_cmp_eq_u64_e64 s[40:41], v[37:38], v[48:49]
	v_mov_b32_e32 v20, v19
	v_mov_b32_e32 v19, v18
	s_and_saveexec_b64 s[50:51], s[40:41]
; %bb.20476:                            ;   in Loop: Header=BB6_19750 Depth=3
	v_bfe_u32 v19, v18, 20, 1
	v_add_co_u32_e64 v19, s[40:41], v18, v19
	v_add_co_u32_e64 v19, s[40:41], -1, v19
; %bb.20477:                            ;   in Loop: Header=BB6_19750 Depth=3
	s_or_b64 exec, exec, s[50:51]
	v_add_u32_e32 v20, 0xffffff81, v23
	v_mov_b32_e32 v23, 0xffffff82
	v_cndmask_b32_e32 v20, v20, v23, vcc
	v_lshrrev_b32_e32 v23, 23, v18
	v_add3_u32 v26, v26, v20, v23
	v_add_u32_e32 v23, 6, v26
	v_and_b32_e32 v19, 0xfffff, v19
	v_add_u32_e32 v18, v19, v18
	v_mov_b32_e32 v19, v51
	v_cmp_ne_u32_e32 vcc, 0, v23
                                        ; implicit-def: $vgpr20
	s_and_saveexec_b64 s[40:41], vcc
	s_xor_b64 s[40:41], exec, s[40:41]
; %bb.20478:                            ;   in Loop: Header=BB6_19750 Depth=3
	v_cmp_lt_u64_e32 vcc, s[88:89], v[18:19]
	v_add_u32_e32 v20, 7, v26
	v_cndmask_b32_e32 v20, v23, v20, vcc
	v_cndmask_b32_e64 v23, 0, 1, vcc
	v_lshrrev_b64 v[18:19], v23, v[18:19]
; %bb.20479:                            ;   in Loop: Header=BB6_19750 Depth=3
	s_andn2_saveexec_b64 s[40:41], s[40:41]
; %bb.20480:                            ;   in Loop: Header=BB6_19750 Depth=3
	v_bfe_u32 v20, v18, 23, 1
; %bb.20481:                            ;   in Loop: Header=BB6_19750 Depth=3
	s_or_b64 exec, exec, s[40:41]
	v_lshrrev_b64 v[18:19], 20, v[18:19]
	v_cmp_gt_i32_e32 vcc, 16, v20
	v_cndmask_b32_e32 v19, 0, v19, vcc
	v_cndmask_b32_e32 v18, 7, v18, vcc
	v_cmp_eq_u64_e64 s[40:41], 0, v[18:19]
	v_min_i32_e32 v19, 15, v20
	v_lshlrev_b32_e32 v19, 3, v19
	v_cmp_eq_u32_e32 vcc, 0, v20
	v_and_b32_e32 v19, 0xf8, v19
	v_and_or_b32 v18, v18, 7, v19
	s_and_b64 s[40:41], vcc, s[40:41]
	v_cndmask_b32_e64 v18, v18, 0, s[40:41]
	v_or_b32_e32 v23, v18, v9
.LBB6_20482:                            ;   in Loop: Header=BB6_19750 Depth=3
	s_or_b64 exec, exec, s[48:49]
                                        ; implicit-def: $vgpr9
.LBB6_20483:                            ;   in Loop: Header=BB6_19750 Depth=3
	s_andn2_saveexec_b64 s[40:41], s[38:39]
; %bb.20484:                            ;   in Loop: Header=BB6_19750 Depth=3
	v_or_b32_e32 v23, 0x7e, v9
; %bb.20485:                            ;   in Loop: Header=BB6_19750 Depth=3
	s_or_b64 exec, exec, s[40:41]
                                        ; implicit-def: $vgpr18
.LBB6_20486:                            ;   in Loop: Header=BB6_19750 Depth=3
	s_andn2_saveexec_b64 s[40:41], s[36:37]
; %bb.20487:                            ;   in Loop: Header=BB6_19750 Depth=3
	v_or_b32_sdwa v23, v18, s86 dst_sel:DWORD dst_unused:UNUSED_PAD src0_sel:BYTE_3 src1_sel:DWORD
; %bb.20488:                            ;   in Loop: Header=BB6_19750 Depth=3
	s_or_b64 exec, exec, s[40:41]
	v_lshrrev_b32_e32 v9, 16, v8
	v_cmp_ne_u16_sdwa vcc, v9, v51 src0_sel:BYTE_0 src1_sel:DWORD
	v_mov_b32_e32 v18, 0
	s_and_saveexec_b64 s[40:41], vcc
	s_cbranch_execz .LBB6_20494
; %bb.20489:                            ;   in Loop: Header=BB6_19750 Depth=3
	v_cmp_ne_u16_sdwa vcc, v9, s96 src0_sel:BYTE_0 src1_sel:DWORD
	v_bfrev_b32_e32 v18, 1
	s_and_saveexec_b64 s[36:37], vcc
	s_cbranch_execz .LBB6_20493
; %bb.20490:                            ;   in Loop: Header=BB6_19750 Depth=3
	v_bfe_u32 v19, v8, 16, 7
	v_cmp_ne_u32_e32 vcc, s86, v19
	v_mov_b32_e32 v18, 0x7f800001
	s_and_saveexec_b64 s[38:39], vcc
	s_cbranch_execz .LBB6_20492
; %bb.20491:                            ;   in Loop: Header=BB6_19750 Depth=3
	v_and_b32_e32 v20, 7, v9
	v_ffbh_u32_e32 v18, v20
	v_min_u32_e32 v28, 32, v18
	v_subrev_u32_e32 v18, 28, v28
	v_lshrrev_b32_e32 v26, 3, v19
	v_cmp_gt_u32_e32 vcc, 8, v19
	v_lshlrev_b64 v[18:19], v18, v[9:10]
	v_sub_u32_e32 v19, 29, v28
	v_and_b32_e32 v18, 7, v18
	v_cndmask_b32_e32 v19, v26, v19, vcc
	v_cndmask_b32_e32 v18, v20, v18, vcc
	v_lshlrev_b32_e32 v9, 24, v9
	v_bfrev_b32_e32 v20, 60
	v_lshlrev_b32_e32 v18, 20, v18
	v_and_b32_e32 v9, 0x80000000, v9
	v_lshl_add_u32 v19, v19, 23, v20
	v_or3_b32 v18, v9, v19, v18
.LBB6_20492:                            ;   in Loop: Header=BB6_19750 Depth=3
	s_or_b64 exec, exec, s[38:39]
.LBB6_20493:                            ;   in Loop: Header=BB6_19750 Depth=3
	s_or_b64 exec, exec, s[36:37]
.LBB6_20494:                            ;   in Loop: Header=BB6_19750 Depth=3
	s_or_b64 exec, exec, s[40:41]
	v_lshrrev_b32_e32 v9, 16, v11
	v_cmp_gt_i16_sdwa vcc, v9, s86 src0_sel:BYTE_0 src1_sel:DWORD
	s_mov_b64 s[40:41], 0
	s_and_saveexec_b64 s[36:37], vcc
	s_xor_b64 vcc, exec, s[36:37]
	s_cbranch_execz .LBB6_20556
; %bb.20495:                            ;   in Loop: Header=BB6_19750 Depth=3
	v_cmp_eq_u16_sdwa s[38:39], v9, s96 src0_sel:BYTE_0 src1_sel:DWORD
	s_mov_b64 s[40:41], -1
	s_and_saveexec_b64 s[36:37], s[38:39]
; %bb.20496:                            ;   in Loop: Header=BB6_19750 Depth=3
	s_xor_b64 s[40:41], exec, -1
; %bb.20497:                            ;   in Loop: Header=BB6_19750 Depth=3
	s_or_b64 exec, exec, s[36:37]
	s_and_b64 s[40:41], s[40:41], exec
	s_or_saveexec_b64 vcc, vcc
	v_bfrev_b32_e32 v19, 1
	s_xor_b64 exec, exec, vcc
	s_cbranch_execnz .LBB6_20557
.LBB6_20498:                            ;   in Loop: Header=BB6_19750 Depth=3
	s_or_b64 exec, exec, vcc
	s_and_saveexec_b64 s[36:37], s[40:41]
	s_cbranch_execz .LBB6_20500
.LBB6_20499:                            ;   in Loop: Header=BB6_19750 Depth=3
	v_and_b32_e32 v26, 7, v9
	v_ffbh_u32_e32 v19, v26
	v_min_u32_e32 v37, 32, v19
	v_subrev_u32_e32 v19, 28, v37
	v_lshlrev_b64 v[19:20], v19, v[9:10]
	v_and_b32_e32 v28, 0x7f, v9
	v_bfe_u32 v31, v9, 3, 4
	v_sub_u32_e32 v20, 29, v37
	v_and_b32_e32 v19, 7, v19
	v_cmp_gt_u32_e32 vcc, 8, v28
	v_cndmask_b32_e32 v20, v31, v20, vcc
	v_cndmask_b32_e32 v19, v26, v19, vcc
	v_lshlrev_b32_e32 v9, 24, v9
	v_bfrev_b32_e32 v26, 60
	v_lshlrev_b32_e32 v19, 20, v19
	v_and_b32_e32 v9, 0x80000000, v9
	v_lshl_add_u32 v20, v20, 23, v26
	v_or3_b32 v9, v9, v20, v19
	v_cmp_ne_u32_e32 vcc, s86, v28
	v_mov_b32_e32 v19, 0x7f800001
	v_cndmask_b32_e32 v19, v19, v9, vcc
.LBB6_20500:                            ;   in Loop: Header=BB6_19750 Depth=3
	s_or_b64 exec, exec, s[36:37]
	v_add_f32_e32 v19, v18, v19
	v_and_b32_e32 v37, 0x7f800000, v19
	v_mov_b32_e32 v38, v51
	v_cmp_ne_u64_e32 vcc, s[76:77], v[37:38]
                                        ; implicit-def: $vgpr18
	s_and_saveexec_b64 s[40:41], vcc
	s_xor_b64 s[36:37], exec, s[40:41]
	s_cbranch_execz .LBB6_20514
; %bb.20501:                            ;   in Loop: Header=BB6_19750 Depth=3
	v_and_b32_e32 v37, 0x7fffffff, v19
	v_mov_b32_e32 v38, v51
	v_cmp_gt_u64_e32 vcc, s[78:79], v[37:38]
	v_and_b32_sdwa v9, v19, s96 dst_sel:DWORD dst_unused:UNUSED_PAD src0_sel:BYTE_3 src1_sel:DWORD
                                        ; implicit-def: $vgpr18
	s_and_saveexec_b64 s[40:41], vcc
	s_xor_b64 s[38:39], exec, s[40:41]
	s_cbranch_execz .LBB6_20511
; %bb.20502:                            ;   in Loop: Header=BB6_19750 Depth=3
	v_mov_b32_e32 v18, 0
	v_cmp_ne_u32_e32 vcc, 0, v19
	s_and_saveexec_b64 s[48:49], vcc
	s_cbranch_execz .LBB6_20510
; %bb.20503:                            ;   in Loop: Header=BB6_19750 Depth=3
	v_bfe_u32 v26, v19, 23, 8
	v_and_b32_e32 v18, 0x7fffff, v19
	v_cmp_gt_u32_e64 s[40:41], s97, v26
	v_sub_u32_e32 v19, 0x79, v26
	v_cmp_eq_u32_e32 vcc, 0, v26
	v_cndmask_b32_e64 v19, 0, v19, s[40:41]
	v_mov_b32_e32 v28, 0x78
	v_or_b32_e32 v20, 0x800000, v18
	v_cndmask_b32_e32 v28, v19, v28, vcc
	v_cndmask_b32_e32 v18, v20, v18, vcc
	v_add_u32_e32 v20, 20, v28
	v_lshlrev_b64 v[37:38], v20, -1
	v_mov_b32_e32 v19, v51
	v_add_u32_e32 v20, 19, v28
	v_bfi_b32 v37, v37, 0, v18
	v_lshlrev_b64 v[48:49], v20, 1
	v_lshrrev_b64 v[18:19], v28, v[18:19]
	v_bfi_b32 v38, v38, 0, 0
	v_cmp_eq_u64_e64 s[40:41], v[37:38], v[48:49]
	v_mov_b32_e32 v20, v19
	v_mov_b32_e32 v19, v18
	s_and_saveexec_b64 s[50:51], s[40:41]
; %bb.20504:                            ;   in Loop: Header=BB6_19750 Depth=3
	v_bfe_u32 v19, v18, 20, 1
	v_add_co_u32_e64 v19, s[40:41], v18, v19
	v_add_co_u32_e64 v19, s[40:41], -1, v19
; %bb.20505:                            ;   in Loop: Header=BB6_19750 Depth=3
	s_or_b64 exec, exec, s[50:51]
	v_add_u32_e32 v20, 0xffffff81, v26
	v_mov_b32_e32 v26, 0xffffff82
	v_cndmask_b32_e32 v20, v20, v26, vcc
	v_lshrrev_b32_e32 v26, 23, v18
	v_add3_u32 v28, v28, v20, v26
	v_add_u32_e32 v26, 6, v28
	v_and_b32_e32 v19, 0xfffff, v19
	v_add_u32_e32 v18, v19, v18
	v_mov_b32_e32 v19, v51
	v_cmp_ne_u32_e32 vcc, 0, v26
                                        ; implicit-def: $vgpr20
	s_and_saveexec_b64 s[40:41], vcc
	s_xor_b64 s[40:41], exec, s[40:41]
; %bb.20506:                            ;   in Loop: Header=BB6_19750 Depth=3
	v_cmp_lt_u64_e32 vcc, s[88:89], v[18:19]
	v_add_u32_e32 v20, 7, v28
	v_cndmask_b32_e32 v20, v26, v20, vcc
	v_cndmask_b32_e64 v26, 0, 1, vcc
	v_lshrrev_b64 v[18:19], v26, v[18:19]
; %bb.20507:                            ;   in Loop: Header=BB6_19750 Depth=3
	s_andn2_saveexec_b64 s[40:41], s[40:41]
; %bb.20508:                            ;   in Loop: Header=BB6_19750 Depth=3
	v_bfe_u32 v20, v18, 23, 1
; %bb.20509:                            ;   in Loop: Header=BB6_19750 Depth=3
	s_or_b64 exec, exec, s[40:41]
	v_lshrrev_b64 v[18:19], 20, v[18:19]
	v_cmp_gt_i32_e32 vcc, 16, v20
	v_cndmask_b32_e32 v19, 0, v19, vcc
	v_cndmask_b32_e32 v18, 7, v18, vcc
	v_cmp_eq_u64_e64 s[40:41], 0, v[18:19]
	v_min_i32_e32 v19, 15, v20
	v_lshlrev_b32_e32 v19, 3, v19
	v_cmp_eq_u32_e32 vcc, 0, v20
	v_and_b32_e32 v19, 0xf8, v19
	v_and_or_b32 v18, v18, 7, v19
	s_and_b64 s[40:41], vcc, s[40:41]
	v_cndmask_b32_e64 v18, v18, 0, s[40:41]
	v_or_b32_e32 v18, v18, v9
.LBB6_20510:                            ;   in Loop: Header=BB6_19750 Depth=3
	s_or_b64 exec, exec, s[48:49]
                                        ; implicit-def: $vgpr9
.LBB6_20511:                            ;   in Loop: Header=BB6_19750 Depth=3
	s_andn2_saveexec_b64 s[40:41], s[38:39]
; %bb.20512:                            ;   in Loop: Header=BB6_19750 Depth=3
	v_or_b32_e32 v18, 0x7e, v9
; %bb.20513:                            ;   in Loop: Header=BB6_19750 Depth=3
	s_or_b64 exec, exec, s[40:41]
                                        ; implicit-def: $vgpr19
.LBB6_20514:                            ;   in Loop: Header=BB6_19750 Depth=3
	s_andn2_saveexec_b64 s[40:41], s[36:37]
; %bb.20515:                            ;   in Loop: Header=BB6_19750 Depth=3
	v_or_b32_sdwa v18, v19, s86 dst_sel:DWORD dst_unused:UNUSED_PAD src0_sel:BYTE_3 src1_sel:DWORD
; %bb.20516:                            ;   in Loop: Header=BB6_19750 Depth=3
	s_or_b64 exec, exec, s[40:41]
	v_cmp_lt_u32_e32 vcc, s57, v8
	v_mov_b32_e32 v19, 0
	s_and_saveexec_b64 s[40:41], vcc
	s_cbranch_execz .LBB6_20522
; %bb.20517:                            ;   in Loop: Header=BB6_19750 Depth=3
	v_lshrrev_b32_e32 v9, 24, v8
	v_cmp_ne_u32_sdwa vcc, v8, s96 src0_sel:BYTE_3 src1_sel:DWORD
	v_bfrev_b32_e32 v19, 1
	s_and_saveexec_b64 s[36:37], vcc
	s_cbranch_execz .LBB6_20521
; %bb.20518:                            ;   in Loop: Header=BB6_19750 Depth=3
	v_bfe_u32 v20, v8, 24, 7
	v_cmp_ne_u32_e32 vcc, s86, v20
	v_mov_b32_e32 v19, 0x7f800001
	s_and_saveexec_b64 s[38:39], vcc
	s_cbranch_execz .LBB6_20520
; %bb.20519:                            ;   in Loop: Header=BB6_19750 Depth=3
	v_and_b32_e32 v26, 7, v9
	v_ffbh_u32_e32 v19, v26
	v_min_u32_e32 v31, 32, v19
	v_subrev_u32_e32 v19, 28, v31
	v_lshrrev_b32_e32 v28, 3, v20
	v_cmp_gt_u32_e32 vcc, 8, v20
	v_lshlrev_b64 v[19:20], v19, v[9:10]
	v_sub_u32_e32 v9, 29, v31
	v_and_b32_e32 v19, 7, v19
	v_mov_b32_e32 v20, 24
	v_cndmask_b32_e32 v9, v28, v9, vcc
	v_cndmask_b32_e32 v19, v26, v19, vcc
	v_lshlrev_b32_sdwa v8, v20, v8 dst_sel:DWORD dst_unused:UNUSED_PAD src0_sel:DWORD src1_sel:BYTE_3
	v_bfrev_b32_e32 v20, 60
	v_lshlrev_b32_e32 v19, 20, v19
	v_and_b32_e32 v8, 0x80000000, v8
	v_lshl_add_u32 v9, v9, 23, v20
	v_or3_b32 v19, v8, v9, v19
.LBB6_20520:                            ;   in Loop: Header=BB6_19750 Depth=3
	s_or_b64 exec, exec, s[38:39]
.LBB6_20521:                            ;   in Loop: Header=BB6_19750 Depth=3
	s_or_b64 exec, exec, s[36:37]
.LBB6_20522:                            ;   in Loop: Header=BB6_19750 Depth=3
	s_or_b64 exec, exec, s[40:41]
	v_bfe_u32 v9, v11, 24, 3
	v_ffbh_u32_e32 v28, v9
	v_min_u32_e32 v28, 32, v28
	v_lshrrev_b32_e32 v8, 24, v11
	v_subrev_u32_e32 v31, 28, v28
	v_lshlrev_b64 v[37:38], v31, v[8:9]
	v_bfe_u32 v20, v11, 24, 7
	v_bfe_u32 v26, v8, 3, 4
	v_sub_u32_e32 v28, 29, v28
	v_and_b32_e32 v31, 7, v37
	v_cmp_gt_u32_e32 vcc, 8, v20
	v_cndmask_b32_e32 v26, v26, v28, vcc
	v_cndmask_b32_e32 v9, v9, v31, vcc
	v_bfrev_b32_e32 v31, 60
	v_lshlrev_b32_e32 v9, 20, v9
	v_and_b32_e32 v28, 0x80000000, v11
	v_lshl_add_u32 v26, v26, 23, v31
	v_or3_b32 v9, v28, v26, v9
	v_cmp_ne_u32_e32 vcc, s86, v20
	v_mov_b32_e32 v20, 0x7f800001
	v_cndmask_b32_e32 v9, v20, v9, vcc
	v_cmp_ne_u32_e32 vcc, s96, v8
	v_bfrev_b32_e32 v8, 1
	v_cndmask_b32_e32 v8, v8, v9, vcc
	v_cmp_lt_u64_e32 vcc, s[56:57], v[10:11]
	v_mov_b32_e32 v11, v51
	v_cndmask_b32_e32 v8, 0, v8, vcc
	v_add_f32_e32 v9, v8, v19
	v_and_b32_e32 v10, 0x7f800000, v9
	v_cmp_ne_u64_e32 vcc, s[76:77], v[10:11]
                                        ; implicit-def: $vgpr8
	s_and_saveexec_b64 s[40:41], vcc
	s_xor_b64 s[36:37], exec, s[40:41]
	s_cbranch_execz .LBB6_20536
; %bb.20523:                            ;   in Loop: Header=BB6_19750 Depth=3
	v_and_b32_e32 v10, 0x7fffffff, v9
	v_mov_b32_e32 v11, v51
	v_cmp_gt_u64_e32 vcc, s[78:79], v[10:11]
	v_and_b32_sdwa v11, v9, s96 dst_sel:DWORD dst_unused:UNUSED_PAD src0_sel:BYTE_3 src1_sel:DWORD
                                        ; implicit-def: $vgpr8
	s_and_saveexec_b64 s[40:41], vcc
	s_xor_b64 s[38:39], exec, s[40:41]
	s_cbranch_execz .LBB6_20533
; %bb.20524:                            ;   in Loop: Header=BB6_19750 Depth=3
	v_mov_b32_e32 v8, 0
	v_cmp_ne_u32_e32 vcc, 0, v9
	s_and_saveexec_b64 s[48:49], vcc
	s_cbranch_execz .LBB6_20532
; %bb.20525:                            ;   in Loop: Header=BB6_19750 Depth=3
	v_bfe_u32 v19, v9, 23, 8
	v_and_b32_e32 v8, 0x7fffff, v9
	v_cmp_gt_u32_e64 s[40:41], s97, v19
	v_sub_u32_e32 v9, 0x79, v19
	v_cmp_eq_u32_e32 vcc, 0, v19
	v_cndmask_b32_e64 v9, 0, v9, s[40:41]
	v_mov_b32_e32 v20, 0x78
	v_or_b32_e32 v10, 0x800000, v8
	v_cndmask_b32_e32 v20, v9, v20, vcc
	v_cndmask_b32_e32 v8, v10, v8, vcc
	v_add_u32_e32 v10, 20, v20
	v_lshlrev_b64 v[37:38], v10, -1
	v_mov_b32_e32 v9, v51
	v_add_u32_e32 v10, 19, v20
	v_bfi_b32 v37, v37, 0, v8
	v_lshlrev_b64 v[48:49], v10, 1
	v_lshrrev_b64 v[8:9], v20, v[8:9]
	v_bfi_b32 v38, v38, 0, 0
	v_cmp_eq_u64_e64 s[40:41], v[37:38], v[48:49]
	v_mov_b32_e32 v10, v9
	v_mov_b32_e32 v9, v8
	s_and_saveexec_b64 s[50:51], s[40:41]
; %bb.20526:                            ;   in Loop: Header=BB6_19750 Depth=3
	v_bfe_u32 v9, v8, 20, 1
	v_add_co_u32_e64 v9, s[40:41], v8, v9
	v_add_co_u32_e64 v9, s[40:41], -1, v9
; %bb.20527:                            ;   in Loop: Header=BB6_19750 Depth=3
	s_or_b64 exec, exec, s[50:51]
	v_add_u32_e32 v10, 0xffffff81, v19
	v_mov_b32_e32 v19, 0xffffff82
	v_cndmask_b32_e32 v10, v10, v19, vcc
	v_lshrrev_b32_e32 v19, 23, v8
	v_add3_u32 v20, v20, v10, v19
	v_add_u32_e32 v19, 6, v20
	v_and_b32_e32 v9, 0xfffff, v9
	v_add_u32_e32 v8, v9, v8
	v_mov_b32_e32 v9, v51
	v_cmp_ne_u32_e32 vcc, 0, v19
                                        ; implicit-def: $vgpr10
	s_and_saveexec_b64 s[40:41], vcc
	s_xor_b64 s[40:41], exec, s[40:41]
; %bb.20528:                            ;   in Loop: Header=BB6_19750 Depth=3
	v_cmp_lt_u64_e32 vcc, s[88:89], v[8:9]
	v_add_u32_e32 v10, 7, v20
	v_cndmask_b32_e32 v10, v19, v10, vcc
	v_cndmask_b32_e64 v19, 0, 1, vcc
	v_lshrrev_b64 v[8:9], v19, v[8:9]
; %bb.20529:                            ;   in Loop: Header=BB6_19750 Depth=3
	s_andn2_saveexec_b64 s[40:41], s[40:41]
; %bb.20530:                            ;   in Loop: Header=BB6_19750 Depth=3
	v_bfe_u32 v10, v8, 23, 1
; %bb.20531:                            ;   in Loop: Header=BB6_19750 Depth=3
	s_or_b64 exec, exec, s[40:41]
	v_lshrrev_b64 v[8:9], 20, v[8:9]
	v_cmp_gt_i32_e32 vcc, 16, v10
	v_cndmask_b32_e32 v9, 0, v9, vcc
	v_cndmask_b32_e32 v8, 7, v8, vcc
	v_cmp_eq_u64_e64 s[40:41], 0, v[8:9]
	v_min_i32_e32 v9, 15, v10
	v_lshlrev_b32_e32 v9, 3, v9
	v_cmp_eq_u32_e32 vcc, 0, v10
	v_and_b32_e32 v9, 0xf8, v9
	v_and_or_b32 v8, v8, 7, v9
	s_and_b64 s[40:41], vcc, s[40:41]
	v_cndmask_b32_e64 v8, v8, 0, s[40:41]
	v_or_b32_e32 v8, v8, v11
.LBB6_20532:                            ;   in Loop: Header=BB6_19750 Depth=3
	s_or_b64 exec, exec, s[48:49]
                                        ; implicit-def: $vgpr11
.LBB6_20533:                            ;   in Loop: Header=BB6_19750 Depth=3
	s_andn2_saveexec_b64 s[40:41], s[38:39]
; %bb.20534:                            ;   in Loop: Header=BB6_19750 Depth=3
	v_or_b32_e32 v8, 0x7e, v11
; %bb.20535:                            ;   in Loop: Header=BB6_19750 Depth=3
	s_or_b64 exec, exec, s[40:41]
                                        ; implicit-def: $vgpr9
.LBB6_20536:                            ;   in Loop: Header=BB6_19750 Depth=3
	s_andn2_saveexec_b64 s[40:41], s[36:37]
	s_cbranch_execz .LBB6_19749
; %bb.20537:                            ;   in Loop: Header=BB6_19750 Depth=3
	v_or_b32_sdwa v8, v9, s86 dst_sel:DWORD dst_unused:UNUSED_PAD src0_sel:BYTE_3 src1_sel:DWORD
	s_branch .LBB6_19749
.LBB6_20538:                            ;   in Loop: Header=BB6_19750 Depth=3
	s_or_saveexec_b64 vcc, vcc
	v_bfrev_b32_e32 v7, 1
	s_xor_b64 exec, exec, vcc
	s_cbranch_execz .LBB6_20120
.LBB6_20539:                            ;   in Loop: Header=BB6_19750 Depth=3
	v_cmp_ne_u16_sdwa s[36:37], v8, v51 src0_sel:BYTE_0 src1_sel:DWORD
	s_andn2_b64 s[40:41], s[40:41], exec
	s_and_b64 s[36:37], s[36:37], exec
	v_mov_b32_e32 v7, 0
	s_or_b64 s[40:41], s[40:41], s[36:37]
	s_or_b64 exec, exec, vcc
	s_and_saveexec_b64 s[36:37], s[40:41]
	s_cbranch_execnz .LBB6_20121
	s_branch .LBB6_20122
.LBB6_20540:                            ;   in Loop: Header=BB6_19750 Depth=3
	s_or_saveexec_b64 s[36:37], s[36:37]
	v_bfrev_b32_e32 v20, 1
	s_xor_b64 exec, exec, s[36:37]
	s_cbranch_execz .LBB6_20148
.LBB6_20541:                            ;   in Loop: Header=BB6_19750 Depth=3
	v_cmp_ne_u16_e32 vcc, 0, v19
	s_andn2_b64 s[40:41], s[40:41], exec
	s_and_b64 vcc, vcc, exec
	v_mov_b32_e32 v20, 0
	s_or_b64 s[40:41], s[40:41], vcc
	s_or_b64 exec, exec, s[36:37]
	s_and_saveexec_b64 s[36:37], s[40:41]
	s_cbranch_execnz .LBB6_20149
	s_branch .LBB6_20150
.LBB6_20542:                            ;   in Loop: Header=BB6_19750 Depth=3
	s_or_saveexec_b64 vcc, vcc
	v_bfrev_b32_e32 v21, 1
	s_xor_b64 exec, exec, vcc
	s_cbranch_execz .LBB6_20176
.LBB6_20543:                            ;   in Loop: Header=BB6_19750 Depth=3
	v_cmp_ne_u16_sdwa s[36:37], v19, v51 src0_sel:BYTE_0 src1_sel:DWORD
	s_andn2_b64 s[40:41], s[40:41], exec
	s_and_b64 s[36:37], s[36:37], exec
	v_mov_b32_e32 v21, 0
	s_or_b64 s[40:41], s[40:41], s[36:37]
	s_or_b64 exec, exec, vcc
	s_and_saveexec_b64 s[36:37], s[40:41]
	s_cbranch_execnz .LBB6_20177
	s_branch .LBB6_20178
.LBB6_20544:                            ;   in Loop: Header=BB6_19750 Depth=3
	s_or_saveexec_b64 s[36:37], s[36:37]
	v_bfrev_b32_e32 v20, 1
	s_xor_b64 exec, exec, s[36:37]
	s_cbranch_execz .LBB6_20256
.LBB6_20545:                            ;   in Loop: Header=BB6_19750 Depth=3
	v_cmp_ne_u16_e32 vcc, 0, v19
	s_andn2_b64 s[40:41], s[40:41], exec
	s_and_b64 vcc, vcc, exec
	v_mov_b32_e32 v20, 0
	s_or_b64 s[40:41], s[40:41], vcc
	s_or_b64 exec, exec, s[36:37]
	s_and_saveexec_b64 s[36:37], s[40:41]
	s_cbranch_execnz .LBB6_20257
	s_branch .LBB6_20258
.LBB6_20546:                            ;   in Loop: Header=BB6_19750 Depth=3
	s_or_saveexec_b64 vcc, vcc
	v_bfrev_b32_e32 v21, 1
	s_xor_b64 exec, exec, vcc
	s_cbranch_execz .LBB6_20284
.LBB6_20547:                            ;   in Loop: Header=BB6_19750 Depth=3
	v_cmp_ne_u16_sdwa s[36:37], v19, v51 src0_sel:BYTE_0 src1_sel:DWORD
	s_andn2_b64 s[40:41], s[40:41], exec
	s_and_b64 s[36:37], s[36:37], exec
	v_mov_b32_e32 v21, 0
	s_or_b64 s[40:41], s[40:41], s[36:37]
	s_or_b64 exec, exec, vcc
	s_and_saveexec_b64 s[36:37], s[40:41]
	s_cbranch_execnz .LBB6_20285
	s_branch .LBB6_20286
.LBB6_20548:                            ;   in Loop: Header=BB6_19750 Depth=3
	s_or_saveexec_b64 vcc, vcc
	v_bfrev_b32_e32 v9, 1
	s_xor_b64 exec, exec, vcc
	s_cbranch_execz .LBB6_20334
.LBB6_20549:                            ;   in Loop: Header=BB6_19750 Depth=3
	v_cmp_ne_u16_sdwa s[36:37], v10, v51 src0_sel:BYTE_0 src1_sel:DWORD
	s_andn2_b64 s[40:41], s[40:41], exec
	s_and_b64 s[36:37], s[36:37], exec
	v_mov_b32_e32 v9, 0
	s_or_b64 s[40:41], s[40:41], s[36:37]
	s_or_b64 exec, exec, vcc
	s_and_saveexec_b64 s[36:37], s[40:41]
	s_cbranch_execnz .LBB6_20335
	s_branch .LBB6_20336
.LBB6_20550:                            ;   in Loop: Header=BB6_19750 Depth=3
	s_or_saveexec_b64 s[36:37], s[36:37]
	v_bfrev_b32_e32 v9, 1
	s_xor_b64 exec, exec, s[36:37]
	s_cbranch_execz .LBB6_20362
.LBB6_20551:                            ;   in Loop: Header=BB6_19750 Depth=3
	v_cmp_ne_u16_e32 vcc, 0, v18
	s_andn2_b64 s[40:41], s[40:41], exec
	s_and_b64 vcc, vcc, exec
	v_mov_b32_e32 v9, 0
	s_or_b64 s[40:41], s[40:41], vcc
	s_or_b64 exec, exec, s[36:37]
	s_and_saveexec_b64 s[36:37], s[40:41]
	s_cbranch_execnz .LBB6_20363
	s_branch .LBB6_20364
.LBB6_20552:                            ;   in Loop: Header=BB6_19750 Depth=3
	s_or_saveexec_b64 vcc, vcc
	v_bfrev_b32_e32 v19, 1
	s_xor_b64 exec, exec, vcc
	s_cbranch_execz .LBB6_20390
.LBB6_20553:                            ;   in Loop: Header=BB6_19750 Depth=3
	v_cmp_ne_u16_sdwa s[36:37], v9, v51 src0_sel:BYTE_0 src1_sel:DWORD
	s_andn2_b64 s[40:41], s[40:41], exec
	s_and_b64 s[36:37], s[36:37], exec
	v_mov_b32_e32 v19, 0
	s_or_b64 s[40:41], s[40:41], s[36:37]
	s_or_b64 exec, exec, vcc
	s_and_saveexec_b64 s[36:37], s[40:41]
	s_cbranch_execnz .LBB6_20391
	s_branch .LBB6_20392
.LBB6_20554:                            ;   in Loop: Header=BB6_19750 Depth=3
	s_or_saveexec_b64 s[36:37], s[36:37]
	v_bfrev_b32_e32 v9, 1
	s_xor_b64 exec, exec, s[36:37]
	s_cbranch_execz .LBB6_20470
.LBB6_20555:                            ;   in Loop: Header=BB6_19750 Depth=3
	v_cmp_ne_u16_e32 vcc, 0, v18
	s_andn2_b64 s[40:41], s[40:41], exec
	s_and_b64 vcc, vcc, exec
	v_mov_b32_e32 v9, 0
	s_or_b64 s[40:41], s[40:41], vcc
	s_or_b64 exec, exec, s[36:37]
	s_and_saveexec_b64 s[36:37], s[40:41]
	s_cbranch_execnz .LBB6_20471
	s_branch .LBB6_20472
.LBB6_20556:                            ;   in Loop: Header=BB6_19750 Depth=3
	s_or_saveexec_b64 vcc, vcc
	v_bfrev_b32_e32 v19, 1
	s_xor_b64 exec, exec, vcc
	s_cbranch_execz .LBB6_20498
.LBB6_20557:                            ;   in Loop: Header=BB6_19750 Depth=3
	v_cmp_ne_u16_sdwa s[36:37], v9, v51 src0_sel:BYTE_0 src1_sel:DWORD
	s_andn2_b64 s[40:41], s[40:41], exec
	s_and_b64 s[36:37], s[36:37], exec
	v_mov_b32_e32 v19, 0
	s_or_b64 s[40:41], s[40:41], s[36:37]
	s_or_b64 exec, exec, vcc
	s_and_saveexec_b64 s[36:37], s[40:41]
	s_cbranch_execnz .LBB6_20499
	s_branch .LBB6_20500
.LBB6_20558:                            ;   in Loop: Header=BB6_10483 Depth=2
	s_or_b64 exec, exec, s[34:35]
.LBB6_20559:                            ;   in Loop: Header=BB6_10483 Depth=2
	s_or_b64 exec, exec, s[30:31]
	buffer_load_dword v5, off, s[0:3], s33 offset:364 ; 4-byte Folded Reload
	v_cmp_lt_i32_e32 vcc, 0, v4
	s_waitcnt vmcnt(0)
	v_and_b32_e32 v5, 15, v5
	v_sub_u32_e32 v6, v3, v5
	v_cndmask_b32_e64 v6, 0, v6, s[28:29]
	v_add3_u32 v6, v0, v1, v6
	buffer_load_dword v0, off, s[0:3], s33 offset:92 ; 4-byte Folded Reload
	v_cndmask_b32_e64 v3, v3, v5, s[28:29]
	s_waitcnt vmcnt(0)
	v_cndmask_b32_e32 v0, 0, v0, vcc
	v_sub_u32_e32 v0, v0, v4
	v_cmp_ne_u32_e32 vcc, 0, v3
	v_lshl_add_u32 v2, v0, 6, v2
	s_and_b64 s[28:29], vcc, exec
.LBB6_20560:                            ;   in Loop: Header=BB6_10483 Depth=2
	s_or_b64 exec, exec, s[42:43]
	s_and_saveexec_b64 s[40:41], s[28:29]
	s_cbranch_execz .LBB6_22493
.LBB6_20561:                            ;   in Loop: Header=BB6_10483 Depth=2
	v_ashrrev_i32_e32 v0, 31, v2
	v_ashrrev_i32_e32 v1, 31, v3
	v_lshrrev_b32_e32 v0, 26, v0
	v_lshrrev_b32_e32 v1, 21, v1
	v_add_u32_e32 v0, v2, v0
	v_add_u32_e32 v1, v3, v1
	v_ashrrev_i32_e32 v4, 6, v0
	v_ashrrev_i32_e32 v1, 11, v1
	v_sub_u32_e32 v18, v1, v4
	v_cmp_lt_i32_e32 vcc, 0, v18
	s_and_saveexec_b64 s[42:43], vcc
	s_cbranch_execz .LBB6_22426
; %bb.20562:                            ;   in Loop: Header=BB6_10483 Depth=2
	v_and_b32_e32 v0, 0xffffffc0, v0
	buffer_store_dword v1, off, s[0:3], s33 offset:188 ; 4-byte Folded Spill
	buffer_store_dword v3, off, s[0:3], s33 offset:176 ; 4-byte Folded Spill
	v_sub_u32_e32 v0, v2, v0
	v_lshlrev_b32_e32 v1, 11, v4
	buffer_store_dword v2, off, s[0:3], s33 offset:180 ; 4-byte Folded Spill
	buffer_store_dword v4, off, s[0:3], s33 offset:184 ; 4-byte Folded Spill
	;; [unrolled: 1-line block ×3, first 2 shown]
	v_add3_u32 v2, v6, v0, v1
	s_trap 2
	ds_read_b64 v[0:1], v0
	buffer_load_dword v4, off, s[0:3], s33 offset:436 ; 4-byte Folded Reload
	buffer_load_dword v5, off, s[0:3], s33 offset:440 ; 4-byte Folded Reload
	v_ashrrev_i32_e32 v3, 31, v2
	s_mov_b64 s[30:31], 0
	s_waitcnt vmcnt(0)
	v_add_co_u32_e32 v8, vcc, v2, v4
	v_addc_co_u32_e32 v9, vcc, v3, v5, vcc
	s_waitcnt lgkmcnt(0)
	v_add_co_u32_e32 v10, vcc, v0, v2
	v_addc_co_u32_e32 v11, vcc, v1, v3, vcc
	buffer_load_dword v0, off, s[0:3], s33 offset:420 ; 4-byte Folded Reload
	buffer_load_dword v1, off, s[0:3], s33 offset:424 ; 4-byte Folded Reload
	s_waitcnt vmcnt(1)
	v_add_co_u32_e32 v0, vcc, 0x7c0, v0
	s_waitcnt vmcnt(0)
	v_addc_co_u32_e32 v1, vcc, 0, v1, vcc
	v_add_co_u32_e32 v12, vcc, v0, v2
	v_addc_co_u32_e32 v13, vcc, v1, v3, vcc
	s_branch .LBB6_20564
.LBB6_20563:                            ;   in Loop: Header=BB6_20564 Depth=3
	s_or_b64 exec, exec, s[28:29]
	v_add_co_u32_e32 v27, vcc, 0xfffff840, v12
	v_addc_co_u32_e32 v28, vcc, -1, v13, vcc
	flat_store_byte v[27:28], v49 glc slc
	v_add_co_u32_e32 v27, vcc, 0xfffff880, v12
	v_addc_co_u32_e32 v28, vcc, -1, v13, vcc
	flat_store_byte v[27:28], v26 glc slc
	;; [unrolled: 3-line block ×22, first 2 shown]
	v_add_co_u32_e32 v6, vcc, 0xfffffdc0, v12
	v_addc_co_u32_e32 v7, vcc, -1, v13, vcc
	v_add_co_u32_e32 v0, vcc, 0xfffffe00, v12
	flat_store_byte v[6:7], v1 glc slc
	v_addc_co_u32_e32 v1, vcc, -1, v13, vcc
	flat_store_byte v[0:1], v3 glc slc
	v_add_co_u32_e32 v0, vcc, 0xfffffe40, v12
	v_addc_co_u32_e32 v1, vcc, -1, v13, vcc
	flat_store_byte v[0:1], v24 glc slc
	v_add_co_u32_e32 v0, vcc, 0xfffffe80, v12
	;; [unrolled: 3-line block ×7, first 2 shown]
	v_addc_co_u32_e32 v1, vcc, -1, v13, vcc
	flat_store_byte v[0:1], v25 glc slc
	flat_store_byte v[12:13], v15 glc slc
	buffer_load_dword v1, off, s[0:3], s33 offset:304 ; 4-byte Folded Reload
	s_nop 0
	buffer_load_dword v0, off, s[0:3], s33 offset:92 ; 4-byte Folded Reload
	s_waitcnt vmcnt(0)
	v_add_co_u32_e32 v8, vcc, v8, v1
	v_addc_co_u32_e32 v9, vcc, 0, v9, vcc
	v_add_co_u32_e32 v10, vcc, v10, v1
	v_addc_co_u32_e32 v11, vcc, 0, v11, vcc
	v_sub_u32_e32 v18, v18, v0
	v_cmp_gt_i32_e32 vcc, 1, v18
	s_or_b64 s[30:31], vcc, s[30:31]
	v_add_co_u32_e32 v12, vcc, v12, v1
	v_addc_co_u32_e32 v13, vcc, 0, v13, vcc
	s_andn2_b64 exec, exec, s[30:31]
	s_cbranch_execz .LBB6_22425
.LBB6_20564:                            ;   Parent Loop BB6_47 Depth=1
                                        ;     Parent Loop BB6_10483 Depth=2
                                        ; =>    This Inner Loop Header: Depth=3
	s_trap 2
	ds_read_b64 v[4:5], v0
	s_waitcnt lgkmcnt(0)
	v_cmp_eq_u32_sdwa vcc, v4, v51 src0_sel:BYTE_0 src1_sel:DWORD
	v_readfirstlane_b32 s28, v4
	v_readfirstlane_b32 s29, v5
	s_and_b64 vcc, exec, vcc
	s_cbranch_vccnz .LBB6_20568
; %bb.20565:                            ;   in Loop: Header=BB6_20564 Depth=3
	v_cmp_eq_u32_sdwa vcc, v4, s96 src0_sel:BYTE_0 src1_sel:DWORD
	s_brev_b32 s9, 1
	s_and_b64 vcc, exec, vcc
	s_cbranch_vccnz .LBB6_20569
; %bb.20566:                            ;   in Loop: Header=BB6_20564 Depth=3
	s_and_b32 vcc_lo, s28, 0x7f
	s_cmpk_eq_i32 vcc_lo, 0x7f
	s_mov_b32 s9, 0x7f800001
	s_cbranch_scc1 .LBB6_20569
; %bb.20567:                            ;   in Loop: Header=BB6_20564 Depth=3
	s_and_b32 s9, s28, 7
	s_flbit_i32_b32 s9, s9
	s_min_u32 s9, s9, 32
	s_lshr_b32 vcc_hi, vcc_lo, 3
	s_sub_i32 s34, s9, 28
	s_sub_i32 s9, 29, s9
	s_cmp_lt_u32 vcc_lo, 8
	s_cselect_b32 s9, s9, vcc_hi
	s_cselect_b32 vcc_lo, s34, 0
	s_lshl_b64 vcc, s[28:29], vcc_lo
	s_lshl_b32 s28, s28, 24
	s_lshl_b32 s9, s9, 23
	s_lshl_b32 s29, vcc_lo, 20
	s_and_b32 s28, s28, 0x80000000
	s_add_i32 s9, s9, 0x3c000000
	s_and_b32 s29, s29, 0x700000
	s_or_b32 s9, s28, s9
	s_or_b32 s9, s9, s29
	s_branch .LBB6_20569
.LBB6_20568:                            ;   in Loop: Header=BB6_20564 Depth=3
	s_mov_b32 s9, 0
.LBB6_20569:                            ;   in Loop: Header=BB6_20564 Depth=3
	flat_load_ubyte v0, v[8:9] glc slc
	v_mov_b32_e32 v1, 0
	s_waitcnt vmcnt(0) lgkmcnt(0)
	v_cmp_ne_u16_e32 vcc, 0, v0
	s_and_saveexec_b64 s[28:29], vcc
	s_cbranch_execz .LBB6_20575
; %bb.20570:                            ;   in Loop: Header=BB6_20564 Depth=3
	v_cmp_ne_u16_e32 vcc, s96, v0
	v_bfrev_b32_e32 v1, 1
	s_and_saveexec_b64 s[34:35], vcc
	s_cbranch_execz .LBB6_20574
; %bb.20571:                            ;   in Loop: Header=BB6_20564 Depth=3
	v_and_b32_e32 v14, 0xffff, v0
	v_and_b32_e32 v2, 0x7f, v14
	v_cmp_ne_u32_e32 vcc, s86, v2
	v_mov_b32_e32 v1, 0x7f800001
	s_and_saveexec_b64 s[36:37], vcc
	s_cbranch_execz .LBB6_20573
; %bb.20572:                            ;   in Loop: Header=BB6_20564 Depth=3
	v_and_b32_e32 v3, 7, v14
	v_ffbh_u32_e32 v1, v3
	v_min_u32_e32 v5, 32, v1
	v_subrev_u32_e32 v1, 28, v5
	v_lshrrev_b32_e32 v4, 3, v2
	v_cmp_gt_u32_e32 vcc, 8, v2
	v_lshlrev_b64 v[1:2], v1, v[14:15]
	v_sub_u32_e32 v2, 29, v5
	v_and_b32_e32 v1, 7, v1
	v_cndmask_b32_e32 v2, v4, v2, vcc
	v_cndmask_b32_e32 v1, v3, v1, vcc
	v_lshlrev_b32_e32 v0, 24, v0
	v_bfrev_b32_e32 v3, 60
	v_lshlrev_b32_e32 v1, 20, v1
	v_and_b32_e32 v0, 0x80000000, v0
	v_lshl_add_u32 v2, v2, 23, v3
	v_or3_b32 v1, v0, v2, v1
.LBB6_20573:                            ;   in Loop: Header=BB6_20564 Depth=3
	s_or_b64 exec, exec, s[36:37]
.LBB6_20574:                            ;   in Loop: Header=BB6_20564 Depth=3
	s_or_b64 exec, exec, s[34:35]
.LBB6_20575:                            ;   in Loop: Header=BB6_20564 Depth=3
	s_or_b64 exec, exec, s[28:29]
	v_mul_f32_e32 v1, s9, v1
	v_and_b32_e32 v2, 0x7f800000, v1
	v_mov_b32_e32 v3, v51
	v_cmp_ne_u64_e32 vcc, s[76:77], v[2:3]
                                        ; implicit-def: $vgpr4
	s_and_saveexec_b64 s[28:29], vcc
	s_xor_b64 s[34:35], exec, s[28:29]
	s_cbranch_execz .LBB6_20593
; %bb.20576:                            ;   in Loop: Header=BB6_20564 Depth=3
	v_and_b32_e32 v2, 0x7fffffff, v1
	v_mov_b32_e32 v3, v51
	v_cmp_gt_u64_e32 vcc, s[78:79], v[2:3]
	v_and_b32_sdwa v0, v1, s96 dst_sel:DWORD dst_unused:UNUSED_PAD src0_sel:BYTE_3 src1_sel:DWORD
                                        ; implicit-def: $vgpr4
	s_and_saveexec_b64 s[28:29], vcc
	s_xor_b64 s[36:37], exec, s[28:29]
	s_cbranch_execz .LBB6_20590
; %bb.20577:                            ;   in Loop: Header=BB6_20564 Depth=3
	v_cmp_ne_u32_e32 vcc, 0, v1
	v_mov_b32_e32 v4, 0
	s_and_saveexec_b64 s[38:39], vcc
	s_cbranch_execz .LBB6_20589
; %bb.20578:                            ;   in Loop: Header=BB6_20564 Depth=3
	v_and_b32_e32 v3, 0x7fffff, v1
	v_bfe_u32 v1, v1, 23, 8
	v_cmp_gt_u32_e64 s[28:29], s97, v1
	v_sub_u32_e32 v2, 0x79, v1
	v_cmp_eq_u32_e32 vcc, 0, v1
	v_cndmask_b32_e64 v2, 0, v2, s[28:29]
	v_mov_b32_e32 v5, 0x78
	v_cndmask_b32_e32 v2, v2, v5, vcc
	v_add_u32_e32 v5, 20, v2
	v_or_b32_e32 v4, 0x800000, v3
	v_lshlrev_b64 v[5:6], v5, -1
	v_add_u32_e32 v7, 19, v2
	v_cndmask_b32_e32 v3, v4, v3, vcc
	v_lshlrev_b64 v[14:15], v7, 1
	v_mov_b32_e32 v4, v51
	v_bfi_b32 v6, v6, 0, 0
	v_bfi_b32 v5, v5, 0, v3
	v_cmp_eq_u64_e64 s[28:29], v[5:6], v[14:15]
	v_lshrrev_b64 v[14:15], v2, v[3:4]
	v_mov_b32_e32 v16, v15
	v_mov_b32_e32 v15, v14
	s_and_saveexec_b64 s[48:49], s[28:29]
; %bb.20579:                            ;   in Loop: Header=BB6_20564 Depth=3
	v_bfe_u32 v3, v14, 20, 1
	v_add_co_u32_e64 v3, s[28:29], v14, v3
	v_add_co_u32_e64 v15, s[28:29], -1, v3
; %bb.20580:                            ;   in Loop: Header=BB6_20564 Depth=3
	s_or_b64 exec, exec, s[48:49]
	v_add_u32_e32 v1, 0xffffff81, v1
	v_mov_b32_e32 v3, 0xffffff82
	v_cndmask_b32_e32 v1, v1, v3, vcc
	v_lshrrev_b32_e32 v3, 23, v14
	v_add3_u32 v3, v2, v1, v3
	v_add_u32_e32 v2, 6, v3
	v_and_b32_e32 v1, 0xfffff, v15
	v_add_u32_e32 v14, v1, v14
	v_mov_b32_e32 v15, v51
	v_cmp_ne_u32_e32 vcc, 0, v2
                                        ; implicit-def: $vgpr1
	s_and_saveexec_b64 s[28:29], vcc
	s_xor_b64 s[28:29], exec, s[28:29]
; %bb.20581:                            ;   in Loop: Header=BB6_20564 Depth=3
	v_cmp_lt_u64_e32 vcc, s[88:89], v[14:15]
	v_add_u32_e32 v1, 7, v3
	v_cndmask_b32_e32 v1, v2, v1, vcc
	v_cndmask_b32_e64 v2, 0, 1, vcc
	v_lshrrev_b64 v[14:15], v2, v[14:15]
; %bb.20582:                            ;   in Loop: Header=BB6_20564 Depth=3
	s_andn2_saveexec_b64 s[28:29], s[28:29]
; %bb.20583:                            ;   in Loop: Header=BB6_20564 Depth=3
	v_bfe_u32 v1, v14, 23, 1
; %bb.20584:                            ;   in Loop: Header=BB6_20564 Depth=3
	s_or_b64 exec, exec, s[28:29]
	v_lshrrev_b64 v[2:3], 20, v[14:15]
	v_cmp_gt_i32_e32 vcc, 16, v1
	v_cndmask_b32_e32 v15, 0, v3, vcc
	v_cndmask_b32_e32 v14, 7, v2, vcc
	v_cmp_ne_u64_e32 vcc, 0, v[14:15]
	v_cmp_ne_u32_e64 s[28:29], 0, v1
	s_or_b64 s[28:29], s[28:29], vcc
                                        ; implicit-def: $vgpr4
	s_and_saveexec_b64 vcc, s[28:29]
	s_xor_b64 s[28:29], exec, vcc
; %bb.20585:                            ;   in Loop: Header=BB6_20564 Depth=3
	v_min_i32_e32 v1, 15, v1
	v_lshl_or_b32 v0, v1, 3, v0
	v_and_or_b32 v4, v14, 7, v0
                                        ; implicit-def: $vgpr0
; %bb.20586:                            ;   in Loop: Header=BB6_20564 Depth=3
	s_andn2_saveexec_b64 s[28:29], s[28:29]
; %bb.20587:                            ;   in Loop: Header=BB6_20564 Depth=3
	v_mov_b32_e32 v4, v0
; %bb.20588:                            ;   in Loop: Header=BB6_20564 Depth=3
	s_or_b64 exec, exec, s[28:29]
.LBB6_20589:                            ;   in Loop: Header=BB6_20564 Depth=3
	s_or_b64 exec, exec, s[38:39]
                                        ; implicit-def: $vgpr0
.LBB6_20590:                            ;   in Loop: Header=BB6_20564 Depth=3
	s_andn2_saveexec_b64 s[28:29], s[36:37]
; %bb.20591:                            ;   in Loop: Header=BB6_20564 Depth=3
	v_or_b32_e32 v4, 0x7e, v0
; %bb.20592:                            ;   in Loop: Header=BB6_20564 Depth=3
	s_or_b64 exec, exec, s[28:29]
                                        ; implicit-def: $vgpr1
.LBB6_20593:                            ;   in Loop: Header=BB6_20564 Depth=3
	s_andn2_saveexec_b64 s[28:29], s[34:35]
; %bb.20594:                            ;   in Loop: Header=BB6_20564 Depth=3
	v_or_b32_sdwa v4, v1, s86 dst_sel:DWORD dst_unused:UNUSED_PAD src0_sel:BYTE_3 src1_sel:DWORD
; %bb.20595:                            ;   in Loop: Header=BB6_20564 Depth=3
	s_or_b64 exec, exec, s[28:29]
	flat_load_ubyte v0, v[8:9] offset:64 glc slc
	v_mov_b32_e32 v1, 0
	s_waitcnt vmcnt(0) lgkmcnt(0)
	v_cmp_ne_u16_e32 vcc, 0, v0
	s_and_saveexec_b64 s[28:29], vcc
	s_cbranch_execz .LBB6_20601
; %bb.20596:                            ;   in Loop: Header=BB6_20564 Depth=3
	v_cmp_ne_u16_e32 vcc, s96, v0
	v_bfrev_b32_e32 v1, 1
	s_and_saveexec_b64 s[34:35], vcc
	s_cbranch_execz .LBB6_20600
; %bb.20597:                            ;   in Loop: Header=BB6_20564 Depth=3
	v_and_b32_e32 v14, 0xffff, v0
	v_and_b32_e32 v2, 0x7f, v14
	v_cmp_ne_u32_e32 vcc, s86, v2
	v_mov_b32_e32 v1, 0x7f800001
	s_and_saveexec_b64 s[36:37], vcc
	s_cbranch_execz .LBB6_20599
; %bb.20598:                            ;   in Loop: Header=BB6_20564 Depth=3
	v_and_b32_e32 v3, 7, v14
	v_ffbh_u32_e32 v1, v3
	v_min_u32_e32 v6, 32, v1
	v_subrev_u32_e32 v1, 28, v6
	v_lshrrev_b32_e32 v5, 3, v2
	v_cmp_gt_u32_e32 vcc, 8, v2
	v_lshlrev_b64 v[1:2], v1, v[14:15]
	v_sub_u32_e32 v2, 29, v6
	v_and_b32_e32 v1, 7, v1
	v_cndmask_b32_e32 v2, v5, v2, vcc
	v_cndmask_b32_e32 v1, v3, v1, vcc
	v_lshlrev_b32_e32 v0, 24, v0
	v_bfrev_b32_e32 v3, 60
	v_lshlrev_b32_e32 v1, 20, v1
	v_and_b32_e32 v0, 0x80000000, v0
	v_lshl_add_u32 v2, v2, 23, v3
	v_or3_b32 v1, v0, v2, v1
.LBB6_20599:                            ;   in Loop: Header=BB6_20564 Depth=3
	s_or_b64 exec, exec, s[36:37]
.LBB6_20600:                            ;   in Loop: Header=BB6_20564 Depth=3
	s_or_b64 exec, exec, s[34:35]
.LBB6_20601:                            ;   in Loop: Header=BB6_20564 Depth=3
	s_or_b64 exec, exec, s[28:29]
	v_mul_f32_e32 v1, s9, v1
	v_and_b32_e32 v2, 0x7f800000, v1
	v_mov_b32_e32 v3, v51
	v_cmp_ne_u64_e32 vcc, s[76:77], v[2:3]
                                        ; implicit-def: $vgpr26
	s_and_saveexec_b64 s[28:29], vcc
	s_xor_b64 s[34:35], exec, s[28:29]
	s_cbranch_execz .LBB6_20619
; %bb.20602:                            ;   in Loop: Header=BB6_20564 Depth=3
	v_and_b32_e32 v2, 0x7fffffff, v1
	v_mov_b32_e32 v3, v51
	v_cmp_gt_u64_e32 vcc, s[78:79], v[2:3]
	v_and_b32_sdwa v0, v1, s96 dst_sel:DWORD dst_unused:UNUSED_PAD src0_sel:BYTE_3 src1_sel:DWORD
                                        ; implicit-def: $vgpr26
	s_and_saveexec_b64 s[28:29], vcc
	s_xor_b64 s[36:37], exec, s[28:29]
	s_cbranch_execz .LBB6_20616
; %bb.20603:                            ;   in Loop: Header=BB6_20564 Depth=3
	v_cmp_ne_u32_e32 vcc, 0, v1
	v_mov_b32_e32 v26, 0
	s_and_saveexec_b64 s[38:39], vcc
	s_cbranch_execz .LBB6_20615
; %bb.20604:                            ;   in Loop: Header=BB6_20564 Depth=3
	v_and_b32_e32 v3, 0x7fffff, v1
	v_bfe_u32 v1, v1, 23, 8
	v_cmp_gt_u32_e64 s[28:29], s97, v1
	v_sub_u32_e32 v2, 0x79, v1
	v_cmp_eq_u32_e32 vcc, 0, v1
	v_cndmask_b32_e64 v2, 0, v2, s[28:29]
	v_mov_b32_e32 v6, 0x78
	v_or_b32_e32 v5, 0x800000, v3
	v_cndmask_b32_e32 v2, v2, v6, vcc
	v_cndmask_b32_e32 v5, v5, v3, vcc
	v_add_u32_e32 v3, 20, v2
	v_lshlrev_b64 v[14:15], v3, -1
	v_add_u32_e32 v3, 19, v2
	v_lshlrev_b64 v[16:17], v3, 1
	v_mov_b32_e32 v6, v51
	v_bfi_b32 v15, v15, 0, 0
	v_bfi_b32 v14, v14, 0, v5
	v_cmp_eq_u64_e64 s[28:29], v[14:15], v[16:17]
	v_lshrrev_b64 v[14:15], v2, v[5:6]
	v_mov_b32_e32 v16, v15
	v_mov_b32_e32 v15, v14
	s_and_saveexec_b64 s[48:49], s[28:29]
; %bb.20605:                            ;   in Loop: Header=BB6_20564 Depth=3
	v_bfe_u32 v3, v14, 20, 1
	v_add_co_u32_e64 v3, s[28:29], v14, v3
	v_add_co_u32_e64 v15, s[28:29], -1, v3
; %bb.20606:                            ;   in Loop: Header=BB6_20564 Depth=3
	s_or_b64 exec, exec, s[48:49]
	v_add_u32_e32 v1, 0xffffff81, v1
	v_mov_b32_e32 v3, 0xffffff82
	v_cndmask_b32_e32 v1, v1, v3, vcc
	v_lshrrev_b32_e32 v3, 23, v14
	v_add3_u32 v3, v2, v1, v3
	v_add_u32_e32 v2, 6, v3
	v_and_b32_e32 v1, 0xfffff, v15
	v_add_u32_e32 v14, v1, v14
	v_mov_b32_e32 v15, v51
	v_cmp_ne_u32_e32 vcc, 0, v2
                                        ; implicit-def: $vgpr1
	s_and_saveexec_b64 s[28:29], vcc
	s_xor_b64 s[28:29], exec, s[28:29]
; %bb.20607:                            ;   in Loop: Header=BB6_20564 Depth=3
	v_cmp_lt_u64_e32 vcc, s[88:89], v[14:15]
	v_add_u32_e32 v1, 7, v3
	v_cndmask_b32_e32 v1, v2, v1, vcc
	v_cndmask_b32_e64 v2, 0, 1, vcc
	v_lshrrev_b64 v[14:15], v2, v[14:15]
; %bb.20608:                            ;   in Loop: Header=BB6_20564 Depth=3
	s_andn2_saveexec_b64 s[28:29], s[28:29]
; %bb.20609:                            ;   in Loop: Header=BB6_20564 Depth=3
	v_bfe_u32 v1, v14, 23, 1
; %bb.20610:                            ;   in Loop: Header=BB6_20564 Depth=3
	s_or_b64 exec, exec, s[28:29]
	v_lshrrev_b64 v[2:3], 20, v[14:15]
	v_cmp_gt_i32_e32 vcc, 16, v1
	v_cndmask_b32_e32 v15, 0, v3, vcc
	v_cndmask_b32_e32 v14, 7, v2, vcc
	v_cmp_ne_u64_e32 vcc, 0, v[14:15]
	v_cmp_ne_u32_e64 s[28:29], 0, v1
	s_or_b64 s[28:29], s[28:29], vcc
                                        ; implicit-def: $vgpr26
	s_and_saveexec_b64 vcc, s[28:29]
	s_xor_b64 s[28:29], exec, vcc
; %bb.20611:                            ;   in Loop: Header=BB6_20564 Depth=3
	v_min_i32_e32 v1, 15, v1
	v_lshl_or_b32 v0, v1, 3, v0
	v_and_or_b32 v26, v14, 7, v0
                                        ; implicit-def: $vgpr0
; %bb.20612:                            ;   in Loop: Header=BB6_20564 Depth=3
	s_andn2_saveexec_b64 s[28:29], s[28:29]
; %bb.20613:                            ;   in Loop: Header=BB6_20564 Depth=3
	v_mov_b32_e32 v26, v0
; %bb.20614:                            ;   in Loop: Header=BB6_20564 Depth=3
	s_or_b64 exec, exec, s[28:29]
.LBB6_20615:                            ;   in Loop: Header=BB6_20564 Depth=3
	s_or_b64 exec, exec, s[38:39]
                                        ; implicit-def: $vgpr0
.LBB6_20616:                            ;   in Loop: Header=BB6_20564 Depth=3
	s_andn2_saveexec_b64 s[28:29], s[36:37]
; %bb.20617:                            ;   in Loop: Header=BB6_20564 Depth=3
	v_or_b32_e32 v26, 0x7e, v0
; %bb.20618:                            ;   in Loop: Header=BB6_20564 Depth=3
	s_or_b64 exec, exec, s[28:29]
                                        ; implicit-def: $vgpr1
.LBB6_20619:                            ;   in Loop: Header=BB6_20564 Depth=3
	s_andn2_saveexec_b64 s[28:29], s[34:35]
; %bb.20620:                            ;   in Loop: Header=BB6_20564 Depth=3
	v_or_b32_sdwa v26, v1, s86 dst_sel:DWORD dst_unused:UNUSED_PAD src0_sel:BYTE_3 src1_sel:DWORD
; %bb.20621:                            ;   in Loop: Header=BB6_20564 Depth=3
	s_or_b64 exec, exec, s[28:29]
	flat_load_ubyte v0, v[8:9] offset:128 glc slc
	v_mov_b32_e32 v1, 0
	s_waitcnt vmcnt(0) lgkmcnt(0)
	v_cmp_ne_u16_e32 vcc, 0, v0
	s_and_saveexec_b64 s[28:29], vcc
	s_cbranch_execz .LBB6_20627
; %bb.20622:                            ;   in Loop: Header=BB6_20564 Depth=3
	v_cmp_ne_u16_e32 vcc, s96, v0
	v_bfrev_b32_e32 v1, 1
	s_and_saveexec_b64 s[34:35], vcc
	s_cbranch_execz .LBB6_20626
; %bb.20623:                            ;   in Loop: Header=BB6_20564 Depth=3
	v_and_b32_e32 v14, 0xffff, v0
	v_and_b32_e32 v2, 0x7f, v14
	v_cmp_ne_u32_e32 vcc, s86, v2
	v_mov_b32_e32 v1, 0x7f800001
	s_and_saveexec_b64 s[36:37], vcc
	s_cbranch_execz .LBB6_20625
; %bb.20624:                            ;   in Loop: Header=BB6_20564 Depth=3
	v_and_b32_e32 v3, 7, v14
	v_ffbh_u32_e32 v1, v3
	v_min_u32_e32 v6, 32, v1
	v_subrev_u32_e32 v1, 28, v6
	v_lshrrev_b32_e32 v5, 3, v2
	v_cmp_gt_u32_e32 vcc, 8, v2
	v_lshlrev_b64 v[1:2], v1, v[14:15]
	v_sub_u32_e32 v2, 29, v6
	v_and_b32_e32 v1, 7, v1
	v_cndmask_b32_e32 v2, v5, v2, vcc
	v_cndmask_b32_e32 v1, v3, v1, vcc
	v_lshlrev_b32_e32 v0, 24, v0
	v_bfrev_b32_e32 v3, 60
	v_lshlrev_b32_e32 v1, 20, v1
	v_and_b32_e32 v0, 0x80000000, v0
	v_lshl_add_u32 v2, v2, 23, v3
	v_or3_b32 v1, v0, v2, v1
.LBB6_20625:                            ;   in Loop: Header=BB6_20564 Depth=3
	s_or_b64 exec, exec, s[36:37]
.LBB6_20626:                            ;   in Loop: Header=BB6_20564 Depth=3
	s_or_b64 exec, exec, s[34:35]
.LBB6_20627:                            ;   in Loop: Header=BB6_20564 Depth=3
	s_or_b64 exec, exec, s[28:29]
	v_mul_f32_e32 v1, s9, v1
	v_and_b32_e32 v2, 0x7f800000, v1
	v_mov_b32_e32 v3, v51
	v_cmp_ne_u64_e32 vcc, s[76:77], v[2:3]
                                        ; implicit-def: $vgpr33
	s_and_saveexec_b64 s[28:29], vcc
	s_xor_b64 s[34:35], exec, s[28:29]
	s_cbranch_execz .LBB6_20645
; %bb.20628:                            ;   in Loop: Header=BB6_20564 Depth=3
	v_and_b32_e32 v2, 0x7fffffff, v1
	v_mov_b32_e32 v3, v51
	v_cmp_gt_u64_e32 vcc, s[78:79], v[2:3]
	v_and_b32_sdwa v0, v1, s96 dst_sel:DWORD dst_unused:UNUSED_PAD src0_sel:BYTE_3 src1_sel:DWORD
                                        ; implicit-def: $vgpr33
	s_and_saveexec_b64 s[28:29], vcc
	s_xor_b64 s[36:37], exec, s[28:29]
	s_cbranch_execz .LBB6_20642
; %bb.20629:                            ;   in Loop: Header=BB6_20564 Depth=3
	v_cmp_ne_u32_e32 vcc, 0, v1
	v_mov_b32_e32 v33, 0
	s_and_saveexec_b64 s[38:39], vcc
	s_cbranch_execz .LBB6_20641
; %bb.20630:                            ;   in Loop: Header=BB6_20564 Depth=3
	v_and_b32_e32 v3, 0x7fffff, v1
	v_bfe_u32 v1, v1, 23, 8
	v_cmp_gt_u32_e64 s[28:29], s97, v1
	v_sub_u32_e32 v2, 0x79, v1
	v_cmp_eq_u32_e32 vcc, 0, v1
	v_cndmask_b32_e64 v2, 0, v2, s[28:29]
	v_mov_b32_e32 v6, 0x78
	v_or_b32_e32 v5, 0x800000, v3
	v_cndmask_b32_e32 v2, v2, v6, vcc
	v_cndmask_b32_e32 v5, v5, v3, vcc
	v_add_u32_e32 v3, 20, v2
	v_lshlrev_b64 v[14:15], v3, -1
	v_add_u32_e32 v3, 19, v2
	v_lshlrev_b64 v[16:17], v3, 1
	v_mov_b32_e32 v6, v51
	v_bfi_b32 v15, v15, 0, 0
	v_bfi_b32 v14, v14, 0, v5
	v_cmp_eq_u64_e64 s[28:29], v[14:15], v[16:17]
	v_lshrrev_b64 v[14:15], v2, v[5:6]
	v_mov_b32_e32 v16, v15
	v_mov_b32_e32 v15, v14
	s_and_saveexec_b64 s[48:49], s[28:29]
; %bb.20631:                            ;   in Loop: Header=BB6_20564 Depth=3
	v_bfe_u32 v3, v14, 20, 1
	v_add_co_u32_e64 v3, s[28:29], v14, v3
	v_add_co_u32_e64 v15, s[28:29], -1, v3
; %bb.20632:                            ;   in Loop: Header=BB6_20564 Depth=3
	s_or_b64 exec, exec, s[48:49]
	v_add_u32_e32 v1, 0xffffff81, v1
	v_mov_b32_e32 v3, 0xffffff82
	v_cndmask_b32_e32 v1, v1, v3, vcc
	v_lshrrev_b32_e32 v3, 23, v14
	v_add3_u32 v3, v2, v1, v3
	v_add_u32_e32 v2, 6, v3
	v_and_b32_e32 v1, 0xfffff, v15
	v_add_u32_e32 v14, v1, v14
	v_mov_b32_e32 v15, v51
	v_cmp_ne_u32_e32 vcc, 0, v2
                                        ; implicit-def: $vgpr1
	s_and_saveexec_b64 s[28:29], vcc
	s_xor_b64 s[28:29], exec, s[28:29]
; %bb.20633:                            ;   in Loop: Header=BB6_20564 Depth=3
	v_cmp_lt_u64_e32 vcc, s[88:89], v[14:15]
	v_add_u32_e32 v1, 7, v3
	v_cndmask_b32_e32 v1, v2, v1, vcc
	v_cndmask_b32_e64 v2, 0, 1, vcc
	v_lshrrev_b64 v[14:15], v2, v[14:15]
; %bb.20634:                            ;   in Loop: Header=BB6_20564 Depth=3
	s_andn2_saveexec_b64 s[28:29], s[28:29]
; %bb.20635:                            ;   in Loop: Header=BB6_20564 Depth=3
	v_bfe_u32 v1, v14, 23, 1
; %bb.20636:                            ;   in Loop: Header=BB6_20564 Depth=3
	s_or_b64 exec, exec, s[28:29]
	v_lshrrev_b64 v[2:3], 20, v[14:15]
	v_cmp_gt_i32_e32 vcc, 16, v1
	v_cndmask_b32_e32 v15, 0, v3, vcc
	v_cndmask_b32_e32 v14, 7, v2, vcc
	v_cmp_ne_u64_e32 vcc, 0, v[14:15]
	v_cmp_ne_u32_e64 s[28:29], 0, v1
	s_or_b64 s[28:29], s[28:29], vcc
                                        ; implicit-def: $vgpr33
	s_and_saveexec_b64 vcc, s[28:29]
	s_xor_b64 s[28:29], exec, vcc
; %bb.20637:                            ;   in Loop: Header=BB6_20564 Depth=3
	v_min_i32_e32 v1, 15, v1
	v_lshl_or_b32 v0, v1, 3, v0
	v_and_or_b32 v33, v14, 7, v0
                                        ; implicit-def: $vgpr0
; %bb.20638:                            ;   in Loop: Header=BB6_20564 Depth=3
	s_andn2_saveexec_b64 s[28:29], s[28:29]
; %bb.20639:                            ;   in Loop: Header=BB6_20564 Depth=3
	v_mov_b32_e32 v33, v0
; %bb.20640:                            ;   in Loop: Header=BB6_20564 Depth=3
	s_or_b64 exec, exec, s[28:29]
.LBB6_20641:                            ;   in Loop: Header=BB6_20564 Depth=3
	s_or_b64 exec, exec, s[38:39]
                                        ; implicit-def: $vgpr0
.LBB6_20642:                            ;   in Loop: Header=BB6_20564 Depth=3
	s_andn2_saveexec_b64 s[28:29], s[36:37]
; %bb.20643:                            ;   in Loop: Header=BB6_20564 Depth=3
	v_or_b32_e32 v33, 0x7e, v0
; %bb.20644:                            ;   in Loop: Header=BB6_20564 Depth=3
	s_or_b64 exec, exec, s[28:29]
                                        ; implicit-def: $vgpr1
.LBB6_20645:                            ;   in Loop: Header=BB6_20564 Depth=3
	s_andn2_saveexec_b64 s[28:29], s[34:35]
; %bb.20646:                            ;   in Loop: Header=BB6_20564 Depth=3
	v_or_b32_sdwa v33, v1, s86 dst_sel:DWORD dst_unused:UNUSED_PAD src0_sel:BYTE_3 src1_sel:DWORD
; %bb.20647:                            ;   in Loop: Header=BB6_20564 Depth=3
	s_or_b64 exec, exec, s[28:29]
	flat_load_ubyte v0, v[8:9] offset:192 glc slc
	v_mov_b32_e32 v1, 0
	s_waitcnt vmcnt(0) lgkmcnt(0)
	v_cmp_ne_u16_e32 vcc, 0, v0
	s_and_saveexec_b64 s[28:29], vcc
	s_cbranch_execz .LBB6_20653
; %bb.20648:                            ;   in Loop: Header=BB6_20564 Depth=3
	v_cmp_ne_u16_e32 vcc, s96, v0
	v_bfrev_b32_e32 v1, 1
	s_and_saveexec_b64 s[34:35], vcc
	s_cbranch_execz .LBB6_20652
; %bb.20649:                            ;   in Loop: Header=BB6_20564 Depth=3
	v_and_b32_e32 v14, 0xffff, v0
	v_and_b32_e32 v2, 0x7f, v14
	v_cmp_ne_u32_e32 vcc, s86, v2
	v_mov_b32_e32 v1, 0x7f800001
	s_and_saveexec_b64 s[36:37], vcc
	s_cbranch_execz .LBB6_20651
; %bb.20650:                            ;   in Loop: Header=BB6_20564 Depth=3
	v_and_b32_e32 v3, 7, v14
	v_ffbh_u32_e32 v1, v3
	v_min_u32_e32 v6, 32, v1
	v_subrev_u32_e32 v1, 28, v6
	v_lshrrev_b32_e32 v5, 3, v2
	v_cmp_gt_u32_e32 vcc, 8, v2
	v_lshlrev_b64 v[1:2], v1, v[14:15]
	v_sub_u32_e32 v2, 29, v6
	v_and_b32_e32 v1, 7, v1
	v_cndmask_b32_e32 v2, v5, v2, vcc
	v_cndmask_b32_e32 v1, v3, v1, vcc
	v_lshlrev_b32_e32 v0, 24, v0
	v_bfrev_b32_e32 v3, 60
	v_lshlrev_b32_e32 v1, 20, v1
	v_and_b32_e32 v0, 0x80000000, v0
	v_lshl_add_u32 v2, v2, 23, v3
	v_or3_b32 v1, v0, v2, v1
.LBB6_20651:                            ;   in Loop: Header=BB6_20564 Depth=3
	s_or_b64 exec, exec, s[36:37]
.LBB6_20652:                            ;   in Loop: Header=BB6_20564 Depth=3
	s_or_b64 exec, exec, s[34:35]
.LBB6_20653:                            ;   in Loop: Header=BB6_20564 Depth=3
	s_or_b64 exec, exec, s[28:29]
	v_mul_f32_e32 v1, s9, v1
	v_and_b32_e32 v2, 0x7f800000, v1
	v_mov_b32_e32 v3, v51
	v_cmp_ne_u64_e32 vcc, s[76:77], v[2:3]
                                        ; implicit-def: $vgpr48
	s_and_saveexec_b64 s[28:29], vcc
	s_xor_b64 s[34:35], exec, s[28:29]
	s_cbranch_execz .LBB6_20671
; %bb.20654:                            ;   in Loop: Header=BB6_20564 Depth=3
	v_and_b32_e32 v2, 0x7fffffff, v1
	v_mov_b32_e32 v3, v51
	v_cmp_gt_u64_e32 vcc, s[78:79], v[2:3]
	v_and_b32_sdwa v0, v1, s96 dst_sel:DWORD dst_unused:UNUSED_PAD src0_sel:BYTE_3 src1_sel:DWORD
                                        ; implicit-def: $vgpr48
	s_and_saveexec_b64 s[28:29], vcc
	s_xor_b64 s[36:37], exec, s[28:29]
	s_cbranch_execz .LBB6_20668
; %bb.20655:                            ;   in Loop: Header=BB6_20564 Depth=3
	v_cmp_ne_u32_e32 vcc, 0, v1
	v_mov_b32_e32 v48, 0
	s_and_saveexec_b64 s[38:39], vcc
	s_cbranch_execz .LBB6_20667
; %bb.20656:                            ;   in Loop: Header=BB6_20564 Depth=3
	v_and_b32_e32 v3, 0x7fffff, v1
	v_bfe_u32 v1, v1, 23, 8
	v_cmp_gt_u32_e64 s[28:29], s97, v1
	v_sub_u32_e32 v2, 0x79, v1
	v_cmp_eq_u32_e32 vcc, 0, v1
	v_cndmask_b32_e64 v2, 0, v2, s[28:29]
	v_mov_b32_e32 v6, 0x78
	v_or_b32_e32 v5, 0x800000, v3
	v_cndmask_b32_e32 v2, v2, v6, vcc
	v_cndmask_b32_e32 v5, v5, v3, vcc
	v_add_u32_e32 v3, 20, v2
	v_lshlrev_b64 v[14:15], v3, -1
	v_add_u32_e32 v3, 19, v2
	v_lshlrev_b64 v[16:17], v3, 1
	v_mov_b32_e32 v6, v51
	v_bfi_b32 v15, v15, 0, 0
	v_bfi_b32 v14, v14, 0, v5
	v_cmp_eq_u64_e64 s[28:29], v[14:15], v[16:17]
	v_lshrrev_b64 v[14:15], v2, v[5:6]
	v_mov_b32_e32 v16, v15
	v_mov_b32_e32 v15, v14
	s_and_saveexec_b64 s[48:49], s[28:29]
; %bb.20657:                            ;   in Loop: Header=BB6_20564 Depth=3
	v_bfe_u32 v3, v14, 20, 1
	v_add_co_u32_e64 v3, s[28:29], v14, v3
	v_add_co_u32_e64 v15, s[28:29], -1, v3
; %bb.20658:                            ;   in Loop: Header=BB6_20564 Depth=3
	s_or_b64 exec, exec, s[48:49]
	v_add_u32_e32 v1, 0xffffff81, v1
	v_mov_b32_e32 v3, 0xffffff82
	v_cndmask_b32_e32 v1, v1, v3, vcc
	v_lshrrev_b32_e32 v3, 23, v14
	v_add3_u32 v3, v2, v1, v3
	v_add_u32_e32 v2, 6, v3
	v_and_b32_e32 v1, 0xfffff, v15
	v_add_u32_e32 v14, v1, v14
	v_mov_b32_e32 v15, v51
	v_cmp_ne_u32_e32 vcc, 0, v2
                                        ; implicit-def: $vgpr1
	s_and_saveexec_b64 s[28:29], vcc
	s_xor_b64 s[28:29], exec, s[28:29]
; %bb.20659:                            ;   in Loop: Header=BB6_20564 Depth=3
	v_cmp_lt_u64_e32 vcc, s[88:89], v[14:15]
	v_add_u32_e32 v1, 7, v3
	v_cndmask_b32_e32 v1, v2, v1, vcc
	v_cndmask_b32_e64 v2, 0, 1, vcc
	v_lshrrev_b64 v[14:15], v2, v[14:15]
; %bb.20660:                            ;   in Loop: Header=BB6_20564 Depth=3
	s_andn2_saveexec_b64 s[28:29], s[28:29]
; %bb.20661:                            ;   in Loop: Header=BB6_20564 Depth=3
	v_bfe_u32 v1, v14, 23, 1
; %bb.20662:                            ;   in Loop: Header=BB6_20564 Depth=3
	s_or_b64 exec, exec, s[28:29]
	v_lshrrev_b64 v[2:3], 20, v[14:15]
	v_cmp_gt_i32_e32 vcc, 16, v1
	v_cndmask_b32_e32 v15, 0, v3, vcc
	v_cndmask_b32_e32 v14, 7, v2, vcc
	v_cmp_ne_u64_e32 vcc, 0, v[14:15]
	v_cmp_ne_u32_e64 s[28:29], 0, v1
	s_or_b64 s[28:29], s[28:29], vcc
                                        ; implicit-def: $vgpr48
	s_and_saveexec_b64 vcc, s[28:29]
	s_xor_b64 s[28:29], exec, vcc
; %bb.20663:                            ;   in Loop: Header=BB6_20564 Depth=3
	v_min_i32_e32 v1, 15, v1
	v_lshl_or_b32 v0, v1, 3, v0
	v_and_or_b32 v48, v14, 7, v0
                                        ; implicit-def: $vgpr0
; %bb.20664:                            ;   in Loop: Header=BB6_20564 Depth=3
	s_andn2_saveexec_b64 s[28:29], s[28:29]
; %bb.20665:                            ;   in Loop: Header=BB6_20564 Depth=3
	v_mov_b32_e32 v48, v0
; %bb.20666:                            ;   in Loop: Header=BB6_20564 Depth=3
	s_or_b64 exec, exec, s[28:29]
.LBB6_20667:                            ;   in Loop: Header=BB6_20564 Depth=3
	s_or_b64 exec, exec, s[38:39]
                                        ; implicit-def: $vgpr0
.LBB6_20668:                            ;   in Loop: Header=BB6_20564 Depth=3
	s_andn2_saveexec_b64 s[28:29], s[36:37]
; %bb.20669:                            ;   in Loop: Header=BB6_20564 Depth=3
	v_or_b32_e32 v48, 0x7e, v0
; %bb.20670:                            ;   in Loop: Header=BB6_20564 Depth=3
	s_or_b64 exec, exec, s[28:29]
                                        ; implicit-def: $vgpr1
.LBB6_20671:                            ;   in Loop: Header=BB6_20564 Depth=3
	s_andn2_saveexec_b64 s[28:29], s[34:35]
; %bb.20672:                            ;   in Loop: Header=BB6_20564 Depth=3
	v_or_b32_sdwa v48, v1, s86 dst_sel:DWORD dst_unused:UNUSED_PAD src0_sel:BYTE_3 src1_sel:DWORD
; %bb.20673:                            ;   in Loop: Header=BB6_20564 Depth=3
	s_or_b64 exec, exec, s[28:29]
	flat_load_ubyte v0, v[8:9] offset:256 glc slc
	v_mov_b32_e32 v1, 0
	s_waitcnt vmcnt(0) lgkmcnt(0)
	v_cmp_ne_u16_e32 vcc, 0, v0
	s_and_saveexec_b64 s[28:29], vcc
	s_cbranch_execz .LBB6_20679
; %bb.20674:                            ;   in Loop: Header=BB6_20564 Depth=3
	v_cmp_ne_u16_e32 vcc, s96, v0
	v_bfrev_b32_e32 v1, 1
	s_and_saveexec_b64 s[34:35], vcc
	s_cbranch_execz .LBB6_20678
; %bb.20675:                            ;   in Loop: Header=BB6_20564 Depth=3
	v_and_b32_e32 v14, 0xffff, v0
	v_and_b32_e32 v2, 0x7f, v14
	v_cmp_ne_u32_e32 vcc, s86, v2
	v_mov_b32_e32 v1, 0x7f800001
	s_and_saveexec_b64 s[36:37], vcc
	s_cbranch_execz .LBB6_20677
; %bb.20676:                            ;   in Loop: Header=BB6_20564 Depth=3
	v_and_b32_e32 v3, 7, v14
	v_ffbh_u32_e32 v1, v3
	v_min_u32_e32 v6, 32, v1
	v_subrev_u32_e32 v1, 28, v6
	v_lshrrev_b32_e32 v5, 3, v2
	v_cmp_gt_u32_e32 vcc, 8, v2
	v_lshlrev_b64 v[1:2], v1, v[14:15]
	v_sub_u32_e32 v2, 29, v6
	v_and_b32_e32 v1, 7, v1
	v_cndmask_b32_e32 v2, v5, v2, vcc
	v_cndmask_b32_e32 v1, v3, v1, vcc
	v_lshlrev_b32_e32 v0, 24, v0
	v_bfrev_b32_e32 v3, 60
	v_lshlrev_b32_e32 v1, 20, v1
	v_and_b32_e32 v0, 0x80000000, v0
	v_lshl_add_u32 v2, v2, 23, v3
	v_or3_b32 v1, v0, v2, v1
.LBB6_20677:                            ;   in Loop: Header=BB6_20564 Depth=3
	s_or_b64 exec, exec, s[36:37]
.LBB6_20678:                            ;   in Loop: Header=BB6_20564 Depth=3
	s_or_b64 exec, exec, s[34:35]
.LBB6_20679:                            ;   in Loop: Header=BB6_20564 Depth=3
	s_or_b64 exec, exec, s[28:29]
	v_mul_f32_e32 v1, s9, v1
	v_and_b32_e32 v2, 0x7f800000, v1
	v_mov_b32_e32 v3, v51
	v_cmp_ne_u64_e32 vcc, s[76:77], v[2:3]
                                        ; implicit-def: $vgpr41
	s_and_saveexec_b64 s[28:29], vcc
	s_xor_b64 s[34:35], exec, s[28:29]
	s_cbranch_execz .LBB6_20697
; %bb.20680:                            ;   in Loop: Header=BB6_20564 Depth=3
	v_and_b32_e32 v2, 0x7fffffff, v1
	v_mov_b32_e32 v3, v51
	v_cmp_gt_u64_e32 vcc, s[78:79], v[2:3]
	v_and_b32_sdwa v0, v1, s96 dst_sel:DWORD dst_unused:UNUSED_PAD src0_sel:BYTE_3 src1_sel:DWORD
                                        ; implicit-def: $vgpr41
	s_and_saveexec_b64 s[28:29], vcc
	s_xor_b64 s[36:37], exec, s[28:29]
	s_cbranch_execz .LBB6_20694
; %bb.20681:                            ;   in Loop: Header=BB6_20564 Depth=3
	v_cmp_ne_u32_e32 vcc, 0, v1
	v_mov_b32_e32 v41, 0
	s_and_saveexec_b64 s[38:39], vcc
	s_cbranch_execz .LBB6_20693
; %bb.20682:                            ;   in Loop: Header=BB6_20564 Depth=3
	v_and_b32_e32 v3, 0x7fffff, v1
	v_bfe_u32 v1, v1, 23, 8
	v_cmp_gt_u32_e64 s[28:29], s97, v1
	v_sub_u32_e32 v2, 0x79, v1
	v_cmp_eq_u32_e32 vcc, 0, v1
	v_cndmask_b32_e64 v2, 0, v2, s[28:29]
	v_mov_b32_e32 v6, 0x78
	v_or_b32_e32 v5, 0x800000, v3
	v_cndmask_b32_e32 v2, v2, v6, vcc
	v_cndmask_b32_e32 v5, v5, v3, vcc
	v_add_u32_e32 v3, 20, v2
	v_lshlrev_b64 v[14:15], v3, -1
	v_add_u32_e32 v3, 19, v2
	v_lshlrev_b64 v[16:17], v3, 1
	v_mov_b32_e32 v6, v51
	v_bfi_b32 v15, v15, 0, 0
	v_bfi_b32 v14, v14, 0, v5
	v_cmp_eq_u64_e64 s[28:29], v[14:15], v[16:17]
	v_lshrrev_b64 v[14:15], v2, v[5:6]
	v_mov_b32_e32 v16, v15
	v_mov_b32_e32 v15, v14
	s_and_saveexec_b64 s[48:49], s[28:29]
; %bb.20683:                            ;   in Loop: Header=BB6_20564 Depth=3
	v_bfe_u32 v3, v14, 20, 1
	v_add_co_u32_e64 v3, s[28:29], v14, v3
	v_add_co_u32_e64 v15, s[28:29], -1, v3
; %bb.20684:                            ;   in Loop: Header=BB6_20564 Depth=3
	s_or_b64 exec, exec, s[48:49]
	v_add_u32_e32 v1, 0xffffff81, v1
	v_mov_b32_e32 v3, 0xffffff82
	v_cndmask_b32_e32 v1, v1, v3, vcc
	v_lshrrev_b32_e32 v3, 23, v14
	v_add3_u32 v3, v2, v1, v3
	v_add_u32_e32 v2, 6, v3
	v_and_b32_e32 v1, 0xfffff, v15
	v_add_u32_e32 v14, v1, v14
	v_mov_b32_e32 v15, v51
	v_cmp_ne_u32_e32 vcc, 0, v2
                                        ; implicit-def: $vgpr1
	s_and_saveexec_b64 s[28:29], vcc
	s_xor_b64 s[28:29], exec, s[28:29]
; %bb.20685:                            ;   in Loop: Header=BB6_20564 Depth=3
	v_cmp_lt_u64_e32 vcc, s[88:89], v[14:15]
	v_add_u32_e32 v1, 7, v3
	v_cndmask_b32_e32 v1, v2, v1, vcc
	v_cndmask_b32_e64 v2, 0, 1, vcc
	v_lshrrev_b64 v[14:15], v2, v[14:15]
; %bb.20686:                            ;   in Loop: Header=BB6_20564 Depth=3
	s_andn2_saveexec_b64 s[28:29], s[28:29]
; %bb.20687:                            ;   in Loop: Header=BB6_20564 Depth=3
	v_bfe_u32 v1, v14, 23, 1
; %bb.20688:                            ;   in Loop: Header=BB6_20564 Depth=3
	s_or_b64 exec, exec, s[28:29]
	v_lshrrev_b64 v[2:3], 20, v[14:15]
	v_cmp_gt_i32_e32 vcc, 16, v1
	v_cndmask_b32_e32 v15, 0, v3, vcc
	v_cndmask_b32_e32 v14, 7, v2, vcc
	v_cmp_ne_u64_e32 vcc, 0, v[14:15]
	v_cmp_ne_u32_e64 s[28:29], 0, v1
	s_or_b64 s[28:29], s[28:29], vcc
                                        ; implicit-def: $vgpr41
	s_and_saveexec_b64 vcc, s[28:29]
	s_xor_b64 s[28:29], exec, vcc
; %bb.20689:                            ;   in Loop: Header=BB6_20564 Depth=3
	v_min_i32_e32 v1, 15, v1
	v_lshl_or_b32 v0, v1, 3, v0
	v_and_or_b32 v41, v14, 7, v0
                                        ; implicit-def: $vgpr0
; %bb.20690:                            ;   in Loop: Header=BB6_20564 Depth=3
	s_andn2_saveexec_b64 s[28:29], s[28:29]
; %bb.20691:                            ;   in Loop: Header=BB6_20564 Depth=3
	v_mov_b32_e32 v41, v0
; %bb.20692:                            ;   in Loop: Header=BB6_20564 Depth=3
	s_or_b64 exec, exec, s[28:29]
.LBB6_20693:                            ;   in Loop: Header=BB6_20564 Depth=3
	s_or_b64 exec, exec, s[38:39]
                                        ; implicit-def: $vgpr0
.LBB6_20694:                            ;   in Loop: Header=BB6_20564 Depth=3
	s_andn2_saveexec_b64 s[28:29], s[36:37]
; %bb.20695:                            ;   in Loop: Header=BB6_20564 Depth=3
	v_or_b32_e32 v41, 0x7e, v0
; %bb.20696:                            ;   in Loop: Header=BB6_20564 Depth=3
	s_or_b64 exec, exec, s[28:29]
                                        ; implicit-def: $vgpr1
.LBB6_20697:                            ;   in Loop: Header=BB6_20564 Depth=3
	s_andn2_saveexec_b64 s[28:29], s[34:35]
; %bb.20698:                            ;   in Loop: Header=BB6_20564 Depth=3
	v_or_b32_sdwa v41, v1, s86 dst_sel:DWORD dst_unused:UNUSED_PAD src0_sel:BYTE_3 src1_sel:DWORD
; %bb.20699:                            ;   in Loop: Header=BB6_20564 Depth=3
	s_or_b64 exec, exec, s[28:29]
	flat_load_ubyte v0, v[8:9] offset:320 glc slc
	v_mov_b32_e32 v1, 0
	s_waitcnt vmcnt(0) lgkmcnt(0)
	v_cmp_ne_u16_e32 vcc, 0, v0
	s_and_saveexec_b64 s[28:29], vcc
	s_cbranch_execz .LBB6_20705
; %bb.20700:                            ;   in Loop: Header=BB6_20564 Depth=3
	v_cmp_ne_u16_e32 vcc, s96, v0
	v_bfrev_b32_e32 v1, 1
	s_and_saveexec_b64 s[34:35], vcc
	s_cbranch_execz .LBB6_20704
; %bb.20701:                            ;   in Loop: Header=BB6_20564 Depth=3
	v_and_b32_e32 v14, 0xffff, v0
	v_and_b32_e32 v2, 0x7f, v14
	v_cmp_ne_u32_e32 vcc, s86, v2
	v_mov_b32_e32 v1, 0x7f800001
	s_and_saveexec_b64 s[36:37], vcc
	s_cbranch_execz .LBB6_20703
; %bb.20702:                            ;   in Loop: Header=BB6_20564 Depth=3
	v_and_b32_e32 v3, 7, v14
	v_ffbh_u32_e32 v1, v3
	v_min_u32_e32 v6, 32, v1
	v_subrev_u32_e32 v1, 28, v6
	v_lshrrev_b32_e32 v5, 3, v2
	v_cmp_gt_u32_e32 vcc, 8, v2
	v_lshlrev_b64 v[1:2], v1, v[14:15]
	v_sub_u32_e32 v2, 29, v6
	v_and_b32_e32 v1, 7, v1
	v_cndmask_b32_e32 v2, v5, v2, vcc
	v_cndmask_b32_e32 v1, v3, v1, vcc
	v_lshlrev_b32_e32 v0, 24, v0
	v_bfrev_b32_e32 v3, 60
	v_lshlrev_b32_e32 v1, 20, v1
	v_and_b32_e32 v0, 0x80000000, v0
	v_lshl_add_u32 v2, v2, 23, v3
	v_or3_b32 v1, v0, v2, v1
.LBB6_20703:                            ;   in Loop: Header=BB6_20564 Depth=3
	s_or_b64 exec, exec, s[36:37]
.LBB6_20704:                            ;   in Loop: Header=BB6_20564 Depth=3
	s_or_b64 exec, exec, s[34:35]
.LBB6_20705:                            ;   in Loop: Header=BB6_20564 Depth=3
	s_or_b64 exec, exec, s[28:29]
	v_mul_f32_e32 v1, s9, v1
	v_and_b32_e32 v2, 0x7f800000, v1
	v_mov_b32_e32 v3, v51
	v_cmp_ne_u64_e32 vcc, s[76:77], v[2:3]
                                        ; implicit-def: $vgpr44
	s_and_saveexec_b64 s[28:29], vcc
	s_xor_b64 s[34:35], exec, s[28:29]
	s_cbranch_execz .LBB6_20723
; %bb.20706:                            ;   in Loop: Header=BB6_20564 Depth=3
	v_and_b32_e32 v2, 0x7fffffff, v1
	v_mov_b32_e32 v3, v51
	v_cmp_gt_u64_e32 vcc, s[78:79], v[2:3]
	v_and_b32_sdwa v0, v1, s96 dst_sel:DWORD dst_unused:UNUSED_PAD src0_sel:BYTE_3 src1_sel:DWORD
                                        ; implicit-def: $vgpr44
	s_and_saveexec_b64 s[28:29], vcc
	s_xor_b64 s[36:37], exec, s[28:29]
	s_cbranch_execz .LBB6_20720
; %bb.20707:                            ;   in Loop: Header=BB6_20564 Depth=3
	v_cmp_ne_u32_e32 vcc, 0, v1
	v_mov_b32_e32 v44, 0
	s_and_saveexec_b64 s[38:39], vcc
	s_cbranch_execz .LBB6_20719
; %bb.20708:                            ;   in Loop: Header=BB6_20564 Depth=3
	v_and_b32_e32 v3, 0x7fffff, v1
	v_bfe_u32 v1, v1, 23, 8
	v_cmp_gt_u32_e64 s[28:29], s97, v1
	v_sub_u32_e32 v2, 0x79, v1
	v_cmp_eq_u32_e32 vcc, 0, v1
	v_cndmask_b32_e64 v2, 0, v2, s[28:29]
	v_mov_b32_e32 v6, 0x78
	v_or_b32_e32 v5, 0x800000, v3
	v_cndmask_b32_e32 v2, v2, v6, vcc
	v_cndmask_b32_e32 v5, v5, v3, vcc
	v_add_u32_e32 v3, 20, v2
	v_lshlrev_b64 v[14:15], v3, -1
	v_add_u32_e32 v3, 19, v2
	v_lshlrev_b64 v[16:17], v3, 1
	v_mov_b32_e32 v6, v51
	v_bfi_b32 v15, v15, 0, 0
	v_bfi_b32 v14, v14, 0, v5
	v_cmp_eq_u64_e64 s[28:29], v[14:15], v[16:17]
	v_lshrrev_b64 v[14:15], v2, v[5:6]
	v_mov_b32_e32 v16, v15
	v_mov_b32_e32 v15, v14
	s_and_saveexec_b64 s[48:49], s[28:29]
; %bb.20709:                            ;   in Loop: Header=BB6_20564 Depth=3
	v_bfe_u32 v3, v14, 20, 1
	v_add_co_u32_e64 v3, s[28:29], v14, v3
	v_add_co_u32_e64 v15, s[28:29], -1, v3
; %bb.20710:                            ;   in Loop: Header=BB6_20564 Depth=3
	s_or_b64 exec, exec, s[48:49]
	v_add_u32_e32 v1, 0xffffff81, v1
	v_mov_b32_e32 v3, 0xffffff82
	v_cndmask_b32_e32 v1, v1, v3, vcc
	v_lshrrev_b32_e32 v3, 23, v14
	v_add3_u32 v3, v2, v1, v3
	v_add_u32_e32 v2, 6, v3
	v_and_b32_e32 v1, 0xfffff, v15
	v_add_u32_e32 v14, v1, v14
	v_mov_b32_e32 v15, v51
	v_cmp_ne_u32_e32 vcc, 0, v2
                                        ; implicit-def: $vgpr1
	s_and_saveexec_b64 s[28:29], vcc
	s_xor_b64 s[28:29], exec, s[28:29]
; %bb.20711:                            ;   in Loop: Header=BB6_20564 Depth=3
	v_cmp_lt_u64_e32 vcc, s[88:89], v[14:15]
	v_add_u32_e32 v1, 7, v3
	v_cndmask_b32_e32 v1, v2, v1, vcc
	v_cndmask_b32_e64 v2, 0, 1, vcc
	v_lshrrev_b64 v[14:15], v2, v[14:15]
; %bb.20712:                            ;   in Loop: Header=BB6_20564 Depth=3
	s_andn2_saveexec_b64 s[28:29], s[28:29]
; %bb.20713:                            ;   in Loop: Header=BB6_20564 Depth=3
	v_bfe_u32 v1, v14, 23, 1
; %bb.20714:                            ;   in Loop: Header=BB6_20564 Depth=3
	s_or_b64 exec, exec, s[28:29]
	v_lshrrev_b64 v[2:3], 20, v[14:15]
	v_cmp_gt_i32_e32 vcc, 16, v1
	v_cndmask_b32_e32 v15, 0, v3, vcc
	v_cndmask_b32_e32 v14, 7, v2, vcc
	v_cmp_ne_u64_e32 vcc, 0, v[14:15]
	v_cmp_ne_u32_e64 s[28:29], 0, v1
	s_or_b64 s[28:29], s[28:29], vcc
                                        ; implicit-def: $vgpr44
	s_and_saveexec_b64 vcc, s[28:29]
	s_xor_b64 s[28:29], exec, vcc
; %bb.20715:                            ;   in Loop: Header=BB6_20564 Depth=3
	v_min_i32_e32 v1, 15, v1
	v_lshl_or_b32 v0, v1, 3, v0
	v_and_or_b32 v44, v14, 7, v0
                                        ; implicit-def: $vgpr0
; %bb.20716:                            ;   in Loop: Header=BB6_20564 Depth=3
	s_andn2_saveexec_b64 s[28:29], s[28:29]
; %bb.20717:                            ;   in Loop: Header=BB6_20564 Depth=3
	v_mov_b32_e32 v44, v0
; %bb.20718:                            ;   in Loop: Header=BB6_20564 Depth=3
	s_or_b64 exec, exec, s[28:29]
.LBB6_20719:                            ;   in Loop: Header=BB6_20564 Depth=3
	s_or_b64 exec, exec, s[38:39]
                                        ; implicit-def: $vgpr0
.LBB6_20720:                            ;   in Loop: Header=BB6_20564 Depth=3
	s_andn2_saveexec_b64 s[28:29], s[36:37]
; %bb.20721:                            ;   in Loop: Header=BB6_20564 Depth=3
	v_or_b32_e32 v44, 0x7e, v0
; %bb.20722:                            ;   in Loop: Header=BB6_20564 Depth=3
	s_or_b64 exec, exec, s[28:29]
                                        ; implicit-def: $vgpr1
.LBB6_20723:                            ;   in Loop: Header=BB6_20564 Depth=3
	s_andn2_saveexec_b64 s[28:29], s[34:35]
; %bb.20724:                            ;   in Loop: Header=BB6_20564 Depth=3
	v_or_b32_sdwa v44, v1, s86 dst_sel:DWORD dst_unused:UNUSED_PAD src0_sel:BYTE_3 src1_sel:DWORD
; %bb.20725:                            ;   in Loop: Header=BB6_20564 Depth=3
	s_or_b64 exec, exec, s[28:29]
	flat_load_ubyte v0, v[8:9] offset:384 glc slc
	v_mov_b32_e32 v1, 0
	s_waitcnt vmcnt(0) lgkmcnt(0)
	v_cmp_ne_u16_e32 vcc, 0, v0
	s_and_saveexec_b64 s[28:29], vcc
	s_cbranch_execz .LBB6_20731
; %bb.20726:                            ;   in Loop: Header=BB6_20564 Depth=3
	v_cmp_ne_u16_e32 vcc, s96, v0
	v_bfrev_b32_e32 v1, 1
	s_and_saveexec_b64 s[34:35], vcc
	s_cbranch_execz .LBB6_20730
; %bb.20727:                            ;   in Loop: Header=BB6_20564 Depth=3
	v_and_b32_e32 v14, 0xffff, v0
	v_and_b32_e32 v2, 0x7f, v14
	v_cmp_ne_u32_e32 vcc, s86, v2
	v_mov_b32_e32 v1, 0x7f800001
	s_and_saveexec_b64 s[36:37], vcc
	s_cbranch_execz .LBB6_20729
; %bb.20728:                            ;   in Loop: Header=BB6_20564 Depth=3
	v_and_b32_e32 v3, 7, v14
	v_ffbh_u32_e32 v1, v3
	v_min_u32_e32 v6, 32, v1
	v_subrev_u32_e32 v1, 28, v6
	v_lshrrev_b32_e32 v5, 3, v2
	v_cmp_gt_u32_e32 vcc, 8, v2
	v_lshlrev_b64 v[1:2], v1, v[14:15]
	v_sub_u32_e32 v2, 29, v6
	v_and_b32_e32 v1, 7, v1
	v_cndmask_b32_e32 v2, v5, v2, vcc
	v_cndmask_b32_e32 v1, v3, v1, vcc
	v_lshlrev_b32_e32 v0, 24, v0
	v_bfrev_b32_e32 v3, 60
	v_lshlrev_b32_e32 v1, 20, v1
	v_and_b32_e32 v0, 0x80000000, v0
	v_lshl_add_u32 v2, v2, 23, v3
	v_or3_b32 v1, v0, v2, v1
.LBB6_20729:                            ;   in Loop: Header=BB6_20564 Depth=3
	s_or_b64 exec, exec, s[36:37]
.LBB6_20730:                            ;   in Loop: Header=BB6_20564 Depth=3
	s_or_b64 exec, exec, s[34:35]
.LBB6_20731:                            ;   in Loop: Header=BB6_20564 Depth=3
	s_or_b64 exec, exec, s[28:29]
	v_mul_f32_e32 v1, s9, v1
	v_and_b32_e32 v2, 0x7f800000, v1
	v_mov_b32_e32 v3, v51
	v_cmp_ne_u64_e32 vcc, s[76:77], v[2:3]
                                        ; implicit-def: $vgpr43
	s_and_saveexec_b64 s[28:29], vcc
	s_xor_b64 s[34:35], exec, s[28:29]
	s_cbranch_execz .LBB6_20749
; %bb.20732:                            ;   in Loop: Header=BB6_20564 Depth=3
	v_and_b32_e32 v2, 0x7fffffff, v1
	v_mov_b32_e32 v3, v51
	v_cmp_gt_u64_e32 vcc, s[78:79], v[2:3]
	v_and_b32_sdwa v0, v1, s96 dst_sel:DWORD dst_unused:UNUSED_PAD src0_sel:BYTE_3 src1_sel:DWORD
                                        ; implicit-def: $vgpr43
	s_and_saveexec_b64 s[28:29], vcc
	s_xor_b64 s[36:37], exec, s[28:29]
	s_cbranch_execz .LBB6_20746
; %bb.20733:                            ;   in Loop: Header=BB6_20564 Depth=3
	v_cmp_ne_u32_e32 vcc, 0, v1
	v_mov_b32_e32 v43, 0
	s_and_saveexec_b64 s[38:39], vcc
	s_cbranch_execz .LBB6_20745
; %bb.20734:                            ;   in Loop: Header=BB6_20564 Depth=3
	v_and_b32_e32 v3, 0x7fffff, v1
	v_bfe_u32 v1, v1, 23, 8
	v_cmp_gt_u32_e64 s[28:29], s97, v1
	v_sub_u32_e32 v2, 0x79, v1
	v_cmp_eq_u32_e32 vcc, 0, v1
	v_cndmask_b32_e64 v2, 0, v2, s[28:29]
	v_mov_b32_e32 v6, 0x78
	v_or_b32_e32 v5, 0x800000, v3
	v_cndmask_b32_e32 v2, v2, v6, vcc
	v_cndmask_b32_e32 v5, v5, v3, vcc
	v_add_u32_e32 v3, 20, v2
	v_lshlrev_b64 v[14:15], v3, -1
	v_add_u32_e32 v3, 19, v2
	v_lshlrev_b64 v[16:17], v3, 1
	v_mov_b32_e32 v6, v51
	v_bfi_b32 v15, v15, 0, 0
	v_bfi_b32 v14, v14, 0, v5
	v_cmp_eq_u64_e64 s[28:29], v[14:15], v[16:17]
	v_lshrrev_b64 v[14:15], v2, v[5:6]
	v_mov_b32_e32 v16, v15
	v_mov_b32_e32 v15, v14
	s_and_saveexec_b64 s[48:49], s[28:29]
; %bb.20735:                            ;   in Loop: Header=BB6_20564 Depth=3
	v_bfe_u32 v3, v14, 20, 1
	v_add_co_u32_e64 v3, s[28:29], v14, v3
	v_add_co_u32_e64 v15, s[28:29], -1, v3
; %bb.20736:                            ;   in Loop: Header=BB6_20564 Depth=3
	s_or_b64 exec, exec, s[48:49]
	v_add_u32_e32 v1, 0xffffff81, v1
	v_mov_b32_e32 v3, 0xffffff82
	v_cndmask_b32_e32 v1, v1, v3, vcc
	v_lshrrev_b32_e32 v3, 23, v14
	v_add3_u32 v3, v2, v1, v3
	v_add_u32_e32 v2, 6, v3
	v_and_b32_e32 v1, 0xfffff, v15
	v_add_u32_e32 v14, v1, v14
	v_mov_b32_e32 v15, v51
	v_cmp_ne_u32_e32 vcc, 0, v2
                                        ; implicit-def: $vgpr1
	s_and_saveexec_b64 s[28:29], vcc
	s_xor_b64 s[28:29], exec, s[28:29]
; %bb.20737:                            ;   in Loop: Header=BB6_20564 Depth=3
	v_cmp_lt_u64_e32 vcc, s[88:89], v[14:15]
	v_add_u32_e32 v1, 7, v3
	v_cndmask_b32_e32 v1, v2, v1, vcc
	v_cndmask_b32_e64 v2, 0, 1, vcc
	v_lshrrev_b64 v[14:15], v2, v[14:15]
; %bb.20738:                            ;   in Loop: Header=BB6_20564 Depth=3
	s_andn2_saveexec_b64 s[28:29], s[28:29]
; %bb.20739:                            ;   in Loop: Header=BB6_20564 Depth=3
	v_bfe_u32 v1, v14, 23, 1
; %bb.20740:                            ;   in Loop: Header=BB6_20564 Depth=3
	s_or_b64 exec, exec, s[28:29]
	v_lshrrev_b64 v[2:3], 20, v[14:15]
	v_cmp_gt_i32_e32 vcc, 16, v1
	v_cndmask_b32_e32 v15, 0, v3, vcc
	v_cndmask_b32_e32 v14, 7, v2, vcc
	v_cmp_ne_u64_e32 vcc, 0, v[14:15]
	v_cmp_ne_u32_e64 s[28:29], 0, v1
	s_or_b64 s[28:29], s[28:29], vcc
                                        ; implicit-def: $vgpr43
	s_and_saveexec_b64 vcc, s[28:29]
	s_xor_b64 s[28:29], exec, vcc
; %bb.20741:                            ;   in Loop: Header=BB6_20564 Depth=3
	v_min_i32_e32 v1, 15, v1
	v_lshl_or_b32 v0, v1, 3, v0
	v_and_or_b32 v43, v14, 7, v0
                                        ; implicit-def: $vgpr0
; %bb.20742:                            ;   in Loop: Header=BB6_20564 Depth=3
	s_andn2_saveexec_b64 s[28:29], s[28:29]
; %bb.20743:                            ;   in Loop: Header=BB6_20564 Depth=3
	v_mov_b32_e32 v43, v0
; %bb.20744:                            ;   in Loop: Header=BB6_20564 Depth=3
	s_or_b64 exec, exec, s[28:29]
.LBB6_20745:                            ;   in Loop: Header=BB6_20564 Depth=3
	s_or_b64 exec, exec, s[38:39]
                                        ; implicit-def: $vgpr0
.LBB6_20746:                            ;   in Loop: Header=BB6_20564 Depth=3
	s_andn2_saveexec_b64 s[28:29], s[36:37]
; %bb.20747:                            ;   in Loop: Header=BB6_20564 Depth=3
	v_or_b32_e32 v43, 0x7e, v0
; %bb.20748:                            ;   in Loop: Header=BB6_20564 Depth=3
	s_or_b64 exec, exec, s[28:29]
                                        ; implicit-def: $vgpr1
.LBB6_20749:                            ;   in Loop: Header=BB6_20564 Depth=3
	s_andn2_saveexec_b64 s[28:29], s[34:35]
; %bb.20750:                            ;   in Loop: Header=BB6_20564 Depth=3
	v_or_b32_sdwa v43, v1, s86 dst_sel:DWORD dst_unused:UNUSED_PAD src0_sel:BYTE_3 src1_sel:DWORD
; %bb.20751:                            ;   in Loop: Header=BB6_20564 Depth=3
	s_or_b64 exec, exec, s[28:29]
	flat_load_ubyte v0, v[8:9] offset:448 glc slc
	v_mov_b32_e32 v1, 0
	s_waitcnt vmcnt(0) lgkmcnt(0)
	v_cmp_ne_u16_e32 vcc, 0, v0
	s_and_saveexec_b64 s[28:29], vcc
	s_cbranch_execz .LBB6_20757
; %bb.20752:                            ;   in Loop: Header=BB6_20564 Depth=3
	v_cmp_ne_u16_e32 vcc, s96, v0
	v_bfrev_b32_e32 v1, 1
	s_and_saveexec_b64 s[34:35], vcc
	s_cbranch_execz .LBB6_20756
; %bb.20753:                            ;   in Loop: Header=BB6_20564 Depth=3
	v_and_b32_e32 v14, 0xffff, v0
	v_and_b32_e32 v2, 0x7f, v14
	v_cmp_ne_u32_e32 vcc, s86, v2
	v_mov_b32_e32 v1, 0x7f800001
	s_and_saveexec_b64 s[36:37], vcc
	s_cbranch_execz .LBB6_20755
; %bb.20754:                            ;   in Loop: Header=BB6_20564 Depth=3
	v_and_b32_e32 v3, 7, v14
	v_ffbh_u32_e32 v1, v3
	v_min_u32_e32 v6, 32, v1
	v_subrev_u32_e32 v1, 28, v6
	v_lshrrev_b32_e32 v5, 3, v2
	v_cmp_gt_u32_e32 vcc, 8, v2
	v_lshlrev_b64 v[1:2], v1, v[14:15]
	v_sub_u32_e32 v2, 29, v6
	v_and_b32_e32 v1, 7, v1
	v_cndmask_b32_e32 v2, v5, v2, vcc
	v_cndmask_b32_e32 v1, v3, v1, vcc
	v_lshlrev_b32_e32 v0, 24, v0
	v_bfrev_b32_e32 v3, 60
	v_lshlrev_b32_e32 v1, 20, v1
	v_and_b32_e32 v0, 0x80000000, v0
	v_lshl_add_u32 v2, v2, 23, v3
	v_or3_b32 v1, v0, v2, v1
.LBB6_20755:                            ;   in Loop: Header=BB6_20564 Depth=3
	s_or_b64 exec, exec, s[36:37]
.LBB6_20756:                            ;   in Loop: Header=BB6_20564 Depth=3
	s_or_b64 exec, exec, s[34:35]
.LBB6_20757:                            ;   in Loop: Header=BB6_20564 Depth=3
	s_or_b64 exec, exec, s[28:29]
	v_mul_f32_e32 v1, s9, v1
	v_and_b32_e32 v2, 0x7f800000, v1
	v_mov_b32_e32 v3, v51
	v_cmp_ne_u64_e32 vcc, s[76:77], v[2:3]
                                        ; implicit-def: $vgpr40
	s_and_saveexec_b64 s[28:29], vcc
	s_xor_b64 s[34:35], exec, s[28:29]
	s_cbranch_execz .LBB6_20775
; %bb.20758:                            ;   in Loop: Header=BB6_20564 Depth=3
	v_and_b32_e32 v2, 0x7fffffff, v1
	v_mov_b32_e32 v3, v51
	v_cmp_gt_u64_e32 vcc, s[78:79], v[2:3]
	v_and_b32_sdwa v0, v1, s96 dst_sel:DWORD dst_unused:UNUSED_PAD src0_sel:BYTE_3 src1_sel:DWORD
                                        ; implicit-def: $vgpr40
	s_and_saveexec_b64 s[28:29], vcc
	s_xor_b64 s[36:37], exec, s[28:29]
	s_cbranch_execz .LBB6_20772
; %bb.20759:                            ;   in Loop: Header=BB6_20564 Depth=3
	v_cmp_ne_u32_e32 vcc, 0, v1
	v_mov_b32_e32 v40, 0
	s_and_saveexec_b64 s[38:39], vcc
	s_cbranch_execz .LBB6_20771
; %bb.20760:                            ;   in Loop: Header=BB6_20564 Depth=3
	v_and_b32_e32 v3, 0x7fffff, v1
	v_bfe_u32 v1, v1, 23, 8
	v_cmp_gt_u32_e64 s[28:29], s97, v1
	v_sub_u32_e32 v2, 0x79, v1
	v_cmp_eq_u32_e32 vcc, 0, v1
	v_cndmask_b32_e64 v2, 0, v2, s[28:29]
	v_mov_b32_e32 v6, 0x78
	v_or_b32_e32 v5, 0x800000, v3
	v_cndmask_b32_e32 v2, v2, v6, vcc
	v_cndmask_b32_e32 v5, v5, v3, vcc
	v_add_u32_e32 v3, 20, v2
	v_lshlrev_b64 v[14:15], v3, -1
	v_add_u32_e32 v3, 19, v2
	v_lshlrev_b64 v[16:17], v3, 1
	v_mov_b32_e32 v6, v51
	v_bfi_b32 v15, v15, 0, 0
	v_bfi_b32 v14, v14, 0, v5
	v_cmp_eq_u64_e64 s[28:29], v[14:15], v[16:17]
	v_lshrrev_b64 v[14:15], v2, v[5:6]
	v_mov_b32_e32 v16, v15
	v_mov_b32_e32 v15, v14
	s_and_saveexec_b64 s[48:49], s[28:29]
; %bb.20761:                            ;   in Loop: Header=BB6_20564 Depth=3
	v_bfe_u32 v3, v14, 20, 1
	v_add_co_u32_e64 v3, s[28:29], v14, v3
	v_add_co_u32_e64 v15, s[28:29], -1, v3
; %bb.20762:                            ;   in Loop: Header=BB6_20564 Depth=3
	s_or_b64 exec, exec, s[48:49]
	v_add_u32_e32 v1, 0xffffff81, v1
	v_mov_b32_e32 v3, 0xffffff82
	v_cndmask_b32_e32 v1, v1, v3, vcc
	v_lshrrev_b32_e32 v3, 23, v14
	v_add3_u32 v3, v2, v1, v3
	v_add_u32_e32 v2, 6, v3
	v_and_b32_e32 v1, 0xfffff, v15
	v_add_u32_e32 v14, v1, v14
	v_mov_b32_e32 v15, v51
	v_cmp_ne_u32_e32 vcc, 0, v2
                                        ; implicit-def: $vgpr1
	s_and_saveexec_b64 s[28:29], vcc
	s_xor_b64 s[28:29], exec, s[28:29]
; %bb.20763:                            ;   in Loop: Header=BB6_20564 Depth=3
	v_cmp_lt_u64_e32 vcc, s[88:89], v[14:15]
	v_add_u32_e32 v1, 7, v3
	v_cndmask_b32_e32 v1, v2, v1, vcc
	v_cndmask_b32_e64 v2, 0, 1, vcc
	v_lshrrev_b64 v[14:15], v2, v[14:15]
; %bb.20764:                            ;   in Loop: Header=BB6_20564 Depth=3
	s_andn2_saveexec_b64 s[28:29], s[28:29]
; %bb.20765:                            ;   in Loop: Header=BB6_20564 Depth=3
	v_bfe_u32 v1, v14, 23, 1
; %bb.20766:                            ;   in Loop: Header=BB6_20564 Depth=3
	s_or_b64 exec, exec, s[28:29]
	v_lshrrev_b64 v[2:3], 20, v[14:15]
	v_cmp_gt_i32_e32 vcc, 16, v1
	v_cndmask_b32_e32 v15, 0, v3, vcc
	v_cndmask_b32_e32 v14, 7, v2, vcc
	v_cmp_ne_u64_e32 vcc, 0, v[14:15]
	v_cmp_ne_u32_e64 s[28:29], 0, v1
	s_or_b64 s[28:29], s[28:29], vcc
                                        ; implicit-def: $vgpr40
	s_and_saveexec_b64 vcc, s[28:29]
	s_xor_b64 s[28:29], exec, vcc
; %bb.20767:                            ;   in Loop: Header=BB6_20564 Depth=3
	v_min_i32_e32 v1, 15, v1
	v_lshl_or_b32 v0, v1, 3, v0
	v_and_or_b32 v40, v14, 7, v0
                                        ; implicit-def: $vgpr0
; %bb.20768:                            ;   in Loop: Header=BB6_20564 Depth=3
	s_andn2_saveexec_b64 s[28:29], s[28:29]
; %bb.20769:                            ;   in Loop: Header=BB6_20564 Depth=3
	v_mov_b32_e32 v40, v0
; %bb.20770:                            ;   in Loop: Header=BB6_20564 Depth=3
	s_or_b64 exec, exec, s[28:29]
.LBB6_20771:                            ;   in Loop: Header=BB6_20564 Depth=3
	s_or_b64 exec, exec, s[38:39]
                                        ; implicit-def: $vgpr0
.LBB6_20772:                            ;   in Loop: Header=BB6_20564 Depth=3
	s_andn2_saveexec_b64 s[28:29], s[36:37]
; %bb.20773:                            ;   in Loop: Header=BB6_20564 Depth=3
	v_or_b32_e32 v40, 0x7e, v0
; %bb.20774:                            ;   in Loop: Header=BB6_20564 Depth=3
	s_or_b64 exec, exec, s[28:29]
                                        ; implicit-def: $vgpr1
.LBB6_20775:                            ;   in Loop: Header=BB6_20564 Depth=3
	s_andn2_saveexec_b64 s[28:29], s[34:35]
; %bb.20776:                            ;   in Loop: Header=BB6_20564 Depth=3
	v_or_b32_sdwa v40, v1, s86 dst_sel:DWORD dst_unused:UNUSED_PAD src0_sel:BYTE_3 src1_sel:DWORD
; %bb.20777:                            ;   in Loop: Header=BB6_20564 Depth=3
	s_or_b64 exec, exec, s[28:29]
	flat_load_ubyte v0, v[8:9] offset:512 glc slc
	v_mov_b32_e32 v1, 0
	s_waitcnt vmcnt(0) lgkmcnt(0)
	v_cmp_ne_u16_e32 vcc, 0, v0
	s_and_saveexec_b64 s[28:29], vcc
	s_cbranch_execz .LBB6_20783
; %bb.20778:                            ;   in Loop: Header=BB6_20564 Depth=3
	v_cmp_ne_u16_e32 vcc, s96, v0
	v_bfrev_b32_e32 v1, 1
	s_and_saveexec_b64 s[34:35], vcc
	s_cbranch_execz .LBB6_20782
; %bb.20779:                            ;   in Loop: Header=BB6_20564 Depth=3
	v_and_b32_e32 v14, 0xffff, v0
	v_and_b32_e32 v2, 0x7f, v14
	v_cmp_ne_u32_e32 vcc, s86, v2
	v_mov_b32_e32 v1, 0x7f800001
	s_and_saveexec_b64 s[36:37], vcc
	s_cbranch_execz .LBB6_20781
; %bb.20780:                            ;   in Loop: Header=BB6_20564 Depth=3
	v_and_b32_e32 v3, 7, v14
	v_ffbh_u32_e32 v1, v3
	v_min_u32_e32 v6, 32, v1
	v_subrev_u32_e32 v1, 28, v6
	v_lshrrev_b32_e32 v5, 3, v2
	v_cmp_gt_u32_e32 vcc, 8, v2
	v_lshlrev_b64 v[1:2], v1, v[14:15]
	v_sub_u32_e32 v2, 29, v6
	v_and_b32_e32 v1, 7, v1
	v_cndmask_b32_e32 v2, v5, v2, vcc
	v_cndmask_b32_e32 v1, v3, v1, vcc
	v_lshlrev_b32_e32 v0, 24, v0
	v_bfrev_b32_e32 v3, 60
	v_lshlrev_b32_e32 v1, 20, v1
	v_and_b32_e32 v0, 0x80000000, v0
	v_lshl_add_u32 v2, v2, 23, v3
	v_or3_b32 v1, v0, v2, v1
.LBB6_20781:                            ;   in Loop: Header=BB6_20564 Depth=3
	s_or_b64 exec, exec, s[36:37]
.LBB6_20782:                            ;   in Loop: Header=BB6_20564 Depth=3
	s_or_b64 exec, exec, s[34:35]
.LBB6_20783:                            ;   in Loop: Header=BB6_20564 Depth=3
	s_or_b64 exec, exec, s[28:29]
	v_mul_f32_e32 v1, s9, v1
	v_and_b32_e32 v2, 0x7f800000, v1
	v_mov_b32_e32 v3, v51
	v_cmp_ne_u64_e32 vcc, s[76:77], v[2:3]
                                        ; implicit-def: $vgpr55
	s_and_saveexec_b64 s[28:29], vcc
	s_xor_b64 s[34:35], exec, s[28:29]
	s_cbranch_execz .LBB6_20801
; %bb.20784:                            ;   in Loop: Header=BB6_20564 Depth=3
	v_and_b32_e32 v2, 0x7fffffff, v1
	v_mov_b32_e32 v3, v51
	v_cmp_gt_u64_e32 vcc, s[78:79], v[2:3]
	v_and_b32_sdwa v0, v1, s96 dst_sel:DWORD dst_unused:UNUSED_PAD src0_sel:BYTE_3 src1_sel:DWORD
                                        ; implicit-def: $vgpr55
	s_and_saveexec_b64 s[28:29], vcc
	s_xor_b64 s[36:37], exec, s[28:29]
	s_cbranch_execz .LBB6_20798
; %bb.20785:                            ;   in Loop: Header=BB6_20564 Depth=3
	v_cmp_ne_u32_e32 vcc, 0, v1
	v_mov_b32_e32 v55, 0
	s_and_saveexec_b64 s[38:39], vcc
	s_cbranch_execz .LBB6_20797
; %bb.20786:                            ;   in Loop: Header=BB6_20564 Depth=3
	v_and_b32_e32 v3, 0x7fffff, v1
	v_bfe_u32 v1, v1, 23, 8
	v_cmp_gt_u32_e64 s[28:29], s97, v1
	v_sub_u32_e32 v2, 0x79, v1
	v_cmp_eq_u32_e32 vcc, 0, v1
	v_cndmask_b32_e64 v2, 0, v2, s[28:29]
	v_mov_b32_e32 v6, 0x78
	v_or_b32_e32 v5, 0x800000, v3
	v_cndmask_b32_e32 v2, v2, v6, vcc
	v_cndmask_b32_e32 v5, v5, v3, vcc
	v_add_u32_e32 v3, 20, v2
	v_lshlrev_b64 v[14:15], v3, -1
	v_add_u32_e32 v3, 19, v2
	v_lshlrev_b64 v[16:17], v3, 1
	v_mov_b32_e32 v6, v51
	v_bfi_b32 v15, v15, 0, 0
	v_bfi_b32 v14, v14, 0, v5
	v_cmp_eq_u64_e64 s[28:29], v[14:15], v[16:17]
	v_lshrrev_b64 v[14:15], v2, v[5:6]
	v_mov_b32_e32 v16, v15
	v_mov_b32_e32 v15, v14
	s_and_saveexec_b64 s[48:49], s[28:29]
; %bb.20787:                            ;   in Loop: Header=BB6_20564 Depth=3
	v_bfe_u32 v3, v14, 20, 1
	v_add_co_u32_e64 v3, s[28:29], v14, v3
	v_add_co_u32_e64 v15, s[28:29], -1, v3
; %bb.20788:                            ;   in Loop: Header=BB6_20564 Depth=3
	s_or_b64 exec, exec, s[48:49]
	v_add_u32_e32 v1, 0xffffff81, v1
	v_mov_b32_e32 v3, 0xffffff82
	v_cndmask_b32_e32 v1, v1, v3, vcc
	v_lshrrev_b32_e32 v3, 23, v14
	v_add3_u32 v3, v2, v1, v3
	v_add_u32_e32 v2, 6, v3
	v_and_b32_e32 v1, 0xfffff, v15
	v_add_u32_e32 v14, v1, v14
	v_mov_b32_e32 v15, v51
	v_cmp_ne_u32_e32 vcc, 0, v2
                                        ; implicit-def: $vgpr1
	s_and_saveexec_b64 s[28:29], vcc
	s_xor_b64 s[28:29], exec, s[28:29]
; %bb.20789:                            ;   in Loop: Header=BB6_20564 Depth=3
	v_cmp_lt_u64_e32 vcc, s[88:89], v[14:15]
	v_add_u32_e32 v1, 7, v3
	v_cndmask_b32_e32 v1, v2, v1, vcc
	v_cndmask_b32_e64 v2, 0, 1, vcc
	v_lshrrev_b64 v[14:15], v2, v[14:15]
; %bb.20790:                            ;   in Loop: Header=BB6_20564 Depth=3
	s_andn2_saveexec_b64 s[28:29], s[28:29]
; %bb.20791:                            ;   in Loop: Header=BB6_20564 Depth=3
	v_bfe_u32 v1, v14, 23, 1
; %bb.20792:                            ;   in Loop: Header=BB6_20564 Depth=3
	s_or_b64 exec, exec, s[28:29]
	v_lshrrev_b64 v[2:3], 20, v[14:15]
	v_cmp_gt_i32_e32 vcc, 16, v1
	v_cndmask_b32_e32 v15, 0, v3, vcc
	v_cndmask_b32_e32 v14, 7, v2, vcc
	v_cmp_ne_u64_e32 vcc, 0, v[14:15]
	v_cmp_ne_u32_e64 s[28:29], 0, v1
	s_or_b64 s[28:29], s[28:29], vcc
                                        ; implicit-def: $vgpr55
	s_and_saveexec_b64 vcc, s[28:29]
	s_xor_b64 s[28:29], exec, vcc
; %bb.20793:                            ;   in Loop: Header=BB6_20564 Depth=3
	v_min_i32_e32 v1, 15, v1
	v_lshl_or_b32 v0, v1, 3, v0
	v_and_or_b32 v55, v14, 7, v0
                                        ; implicit-def: $vgpr0
; %bb.20794:                            ;   in Loop: Header=BB6_20564 Depth=3
	s_andn2_saveexec_b64 s[28:29], s[28:29]
; %bb.20795:                            ;   in Loop: Header=BB6_20564 Depth=3
	v_mov_b32_e32 v55, v0
; %bb.20796:                            ;   in Loop: Header=BB6_20564 Depth=3
	s_or_b64 exec, exec, s[28:29]
.LBB6_20797:                            ;   in Loop: Header=BB6_20564 Depth=3
	s_or_b64 exec, exec, s[38:39]
                                        ; implicit-def: $vgpr0
.LBB6_20798:                            ;   in Loop: Header=BB6_20564 Depth=3
	s_andn2_saveexec_b64 s[28:29], s[36:37]
; %bb.20799:                            ;   in Loop: Header=BB6_20564 Depth=3
	v_or_b32_e32 v55, 0x7e, v0
; %bb.20800:                            ;   in Loop: Header=BB6_20564 Depth=3
	s_or_b64 exec, exec, s[28:29]
                                        ; implicit-def: $vgpr1
.LBB6_20801:                            ;   in Loop: Header=BB6_20564 Depth=3
	s_andn2_saveexec_b64 s[28:29], s[34:35]
; %bb.20802:                            ;   in Loop: Header=BB6_20564 Depth=3
	v_or_b32_sdwa v55, v1, s86 dst_sel:DWORD dst_unused:UNUSED_PAD src0_sel:BYTE_3 src1_sel:DWORD
; %bb.20803:                            ;   in Loop: Header=BB6_20564 Depth=3
	s_or_b64 exec, exec, s[28:29]
	flat_load_ubyte v0, v[8:9] offset:576 glc slc
	v_mov_b32_e32 v1, 0
	s_waitcnt vmcnt(0) lgkmcnt(0)
	v_cmp_ne_u16_e32 vcc, 0, v0
	s_and_saveexec_b64 s[28:29], vcc
	s_cbranch_execz .LBB6_20809
; %bb.20804:                            ;   in Loop: Header=BB6_20564 Depth=3
	v_cmp_ne_u16_e32 vcc, s96, v0
	v_bfrev_b32_e32 v1, 1
	s_and_saveexec_b64 s[34:35], vcc
	s_cbranch_execz .LBB6_20808
; %bb.20805:                            ;   in Loop: Header=BB6_20564 Depth=3
	v_and_b32_e32 v14, 0xffff, v0
	v_and_b32_e32 v2, 0x7f, v14
	v_cmp_ne_u32_e32 vcc, s86, v2
	v_mov_b32_e32 v1, 0x7f800001
	s_and_saveexec_b64 s[36:37], vcc
	s_cbranch_execz .LBB6_20807
; %bb.20806:                            ;   in Loop: Header=BB6_20564 Depth=3
	v_and_b32_e32 v3, 7, v14
	v_ffbh_u32_e32 v1, v3
	v_min_u32_e32 v6, 32, v1
	v_subrev_u32_e32 v1, 28, v6
	v_lshrrev_b32_e32 v5, 3, v2
	v_cmp_gt_u32_e32 vcc, 8, v2
	v_lshlrev_b64 v[1:2], v1, v[14:15]
	v_sub_u32_e32 v2, 29, v6
	v_and_b32_e32 v1, 7, v1
	v_cndmask_b32_e32 v2, v5, v2, vcc
	v_cndmask_b32_e32 v1, v3, v1, vcc
	v_lshlrev_b32_e32 v0, 24, v0
	v_bfrev_b32_e32 v3, 60
	v_lshlrev_b32_e32 v1, 20, v1
	v_and_b32_e32 v0, 0x80000000, v0
	v_lshl_add_u32 v2, v2, 23, v3
	v_or3_b32 v1, v0, v2, v1
.LBB6_20807:                            ;   in Loop: Header=BB6_20564 Depth=3
	s_or_b64 exec, exec, s[36:37]
.LBB6_20808:                            ;   in Loop: Header=BB6_20564 Depth=3
	s_or_b64 exec, exec, s[34:35]
.LBB6_20809:                            ;   in Loop: Header=BB6_20564 Depth=3
	s_or_b64 exec, exec, s[28:29]
	v_mul_f32_e32 v1, s9, v1
	v_and_b32_e32 v2, 0x7f800000, v1
	v_mov_b32_e32 v3, v51
	v_cmp_ne_u64_e32 vcc, s[76:77], v[2:3]
                                        ; implicit-def: $vgpr54
	s_and_saveexec_b64 s[28:29], vcc
	s_xor_b64 s[34:35], exec, s[28:29]
	s_cbranch_execz .LBB6_20827
; %bb.20810:                            ;   in Loop: Header=BB6_20564 Depth=3
	v_and_b32_e32 v2, 0x7fffffff, v1
	v_mov_b32_e32 v3, v51
	v_cmp_gt_u64_e32 vcc, s[78:79], v[2:3]
	v_and_b32_sdwa v0, v1, s96 dst_sel:DWORD dst_unused:UNUSED_PAD src0_sel:BYTE_3 src1_sel:DWORD
                                        ; implicit-def: $vgpr54
	s_and_saveexec_b64 s[28:29], vcc
	s_xor_b64 s[36:37], exec, s[28:29]
	s_cbranch_execz .LBB6_20824
; %bb.20811:                            ;   in Loop: Header=BB6_20564 Depth=3
	v_cmp_ne_u32_e32 vcc, 0, v1
	v_mov_b32_e32 v54, 0
	s_and_saveexec_b64 s[38:39], vcc
	s_cbranch_execz .LBB6_20823
; %bb.20812:                            ;   in Loop: Header=BB6_20564 Depth=3
	v_and_b32_e32 v3, 0x7fffff, v1
	v_bfe_u32 v1, v1, 23, 8
	v_cmp_gt_u32_e64 s[28:29], s97, v1
	v_sub_u32_e32 v2, 0x79, v1
	v_cmp_eq_u32_e32 vcc, 0, v1
	v_cndmask_b32_e64 v2, 0, v2, s[28:29]
	v_mov_b32_e32 v6, 0x78
	v_or_b32_e32 v5, 0x800000, v3
	v_cndmask_b32_e32 v2, v2, v6, vcc
	v_cndmask_b32_e32 v5, v5, v3, vcc
	v_add_u32_e32 v3, 20, v2
	v_lshlrev_b64 v[14:15], v3, -1
	v_add_u32_e32 v3, 19, v2
	v_lshlrev_b64 v[16:17], v3, 1
	v_mov_b32_e32 v6, v51
	v_bfi_b32 v15, v15, 0, 0
	v_bfi_b32 v14, v14, 0, v5
	v_cmp_eq_u64_e64 s[28:29], v[14:15], v[16:17]
	v_lshrrev_b64 v[14:15], v2, v[5:6]
	v_mov_b32_e32 v16, v15
	v_mov_b32_e32 v15, v14
	s_and_saveexec_b64 s[48:49], s[28:29]
; %bb.20813:                            ;   in Loop: Header=BB6_20564 Depth=3
	v_bfe_u32 v3, v14, 20, 1
	v_add_co_u32_e64 v3, s[28:29], v14, v3
	v_add_co_u32_e64 v15, s[28:29], -1, v3
; %bb.20814:                            ;   in Loop: Header=BB6_20564 Depth=3
	s_or_b64 exec, exec, s[48:49]
	v_add_u32_e32 v1, 0xffffff81, v1
	v_mov_b32_e32 v3, 0xffffff82
	v_cndmask_b32_e32 v1, v1, v3, vcc
	v_lshrrev_b32_e32 v3, 23, v14
	v_add3_u32 v3, v2, v1, v3
	v_add_u32_e32 v2, 6, v3
	v_and_b32_e32 v1, 0xfffff, v15
	v_add_u32_e32 v14, v1, v14
	v_mov_b32_e32 v15, v51
	v_cmp_ne_u32_e32 vcc, 0, v2
                                        ; implicit-def: $vgpr1
	s_and_saveexec_b64 s[28:29], vcc
	s_xor_b64 s[28:29], exec, s[28:29]
; %bb.20815:                            ;   in Loop: Header=BB6_20564 Depth=3
	v_cmp_lt_u64_e32 vcc, s[88:89], v[14:15]
	v_add_u32_e32 v1, 7, v3
	v_cndmask_b32_e32 v1, v2, v1, vcc
	v_cndmask_b32_e64 v2, 0, 1, vcc
	v_lshrrev_b64 v[14:15], v2, v[14:15]
; %bb.20816:                            ;   in Loop: Header=BB6_20564 Depth=3
	s_andn2_saveexec_b64 s[28:29], s[28:29]
; %bb.20817:                            ;   in Loop: Header=BB6_20564 Depth=3
	v_bfe_u32 v1, v14, 23, 1
; %bb.20818:                            ;   in Loop: Header=BB6_20564 Depth=3
	s_or_b64 exec, exec, s[28:29]
	v_lshrrev_b64 v[2:3], 20, v[14:15]
	v_cmp_gt_i32_e32 vcc, 16, v1
	v_cndmask_b32_e32 v15, 0, v3, vcc
	v_cndmask_b32_e32 v14, 7, v2, vcc
	v_cmp_ne_u64_e32 vcc, 0, v[14:15]
	v_cmp_ne_u32_e64 s[28:29], 0, v1
	s_or_b64 s[28:29], s[28:29], vcc
                                        ; implicit-def: $vgpr54
	s_and_saveexec_b64 vcc, s[28:29]
	s_xor_b64 s[28:29], exec, vcc
; %bb.20819:                            ;   in Loop: Header=BB6_20564 Depth=3
	v_min_i32_e32 v1, 15, v1
	v_lshl_or_b32 v0, v1, 3, v0
	v_and_or_b32 v54, v14, 7, v0
                                        ; implicit-def: $vgpr0
; %bb.20820:                            ;   in Loop: Header=BB6_20564 Depth=3
	s_andn2_saveexec_b64 s[28:29], s[28:29]
; %bb.20821:                            ;   in Loop: Header=BB6_20564 Depth=3
	v_mov_b32_e32 v54, v0
; %bb.20822:                            ;   in Loop: Header=BB6_20564 Depth=3
	s_or_b64 exec, exec, s[28:29]
.LBB6_20823:                            ;   in Loop: Header=BB6_20564 Depth=3
	s_or_b64 exec, exec, s[38:39]
                                        ; implicit-def: $vgpr0
.LBB6_20824:                            ;   in Loop: Header=BB6_20564 Depth=3
	s_andn2_saveexec_b64 s[28:29], s[36:37]
; %bb.20825:                            ;   in Loop: Header=BB6_20564 Depth=3
	v_or_b32_e32 v54, 0x7e, v0
; %bb.20826:                            ;   in Loop: Header=BB6_20564 Depth=3
	s_or_b64 exec, exec, s[28:29]
                                        ; implicit-def: $vgpr1
.LBB6_20827:                            ;   in Loop: Header=BB6_20564 Depth=3
	s_andn2_saveexec_b64 s[28:29], s[34:35]
; %bb.20828:                            ;   in Loop: Header=BB6_20564 Depth=3
	v_or_b32_sdwa v54, v1, s86 dst_sel:DWORD dst_unused:UNUSED_PAD src0_sel:BYTE_3 src1_sel:DWORD
; %bb.20829:                            ;   in Loop: Header=BB6_20564 Depth=3
	s_or_b64 exec, exec, s[28:29]
	flat_load_ubyte v0, v[8:9] offset:640 glc slc
	v_mov_b32_e32 v1, 0
	s_waitcnt vmcnt(0) lgkmcnt(0)
	v_cmp_ne_u16_e32 vcc, 0, v0
	s_and_saveexec_b64 s[28:29], vcc
	s_cbranch_execz .LBB6_20835
; %bb.20830:                            ;   in Loop: Header=BB6_20564 Depth=3
	v_cmp_ne_u16_e32 vcc, s96, v0
	v_bfrev_b32_e32 v1, 1
	s_and_saveexec_b64 s[34:35], vcc
	s_cbranch_execz .LBB6_20834
; %bb.20831:                            ;   in Loop: Header=BB6_20564 Depth=3
	v_and_b32_e32 v14, 0xffff, v0
	v_and_b32_e32 v2, 0x7f, v14
	v_cmp_ne_u32_e32 vcc, s86, v2
	v_mov_b32_e32 v1, 0x7f800001
	s_and_saveexec_b64 s[36:37], vcc
	s_cbranch_execz .LBB6_20833
; %bb.20832:                            ;   in Loop: Header=BB6_20564 Depth=3
	v_and_b32_e32 v3, 7, v14
	v_ffbh_u32_e32 v1, v3
	v_min_u32_e32 v6, 32, v1
	v_subrev_u32_e32 v1, 28, v6
	v_lshrrev_b32_e32 v5, 3, v2
	v_cmp_gt_u32_e32 vcc, 8, v2
	v_lshlrev_b64 v[1:2], v1, v[14:15]
	v_sub_u32_e32 v2, 29, v6
	v_and_b32_e32 v1, 7, v1
	v_cndmask_b32_e32 v2, v5, v2, vcc
	v_cndmask_b32_e32 v1, v3, v1, vcc
	v_lshlrev_b32_e32 v0, 24, v0
	v_bfrev_b32_e32 v3, 60
	v_lshlrev_b32_e32 v1, 20, v1
	v_and_b32_e32 v0, 0x80000000, v0
	v_lshl_add_u32 v2, v2, 23, v3
	v_or3_b32 v1, v0, v2, v1
.LBB6_20833:                            ;   in Loop: Header=BB6_20564 Depth=3
	s_or_b64 exec, exec, s[36:37]
.LBB6_20834:                            ;   in Loop: Header=BB6_20564 Depth=3
	s_or_b64 exec, exec, s[34:35]
.LBB6_20835:                            ;   in Loop: Header=BB6_20564 Depth=3
	s_or_b64 exec, exec, s[28:29]
	v_mul_f32_e32 v1, s9, v1
	v_and_b32_e32 v2, 0x7f800000, v1
	v_mov_b32_e32 v3, v51
	v_cmp_ne_u64_e32 vcc, s[76:77], v[2:3]
                                        ; implicit-def: $vgpr53
	s_and_saveexec_b64 s[28:29], vcc
	s_xor_b64 s[34:35], exec, s[28:29]
	s_cbranch_execz .LBB6_20853
; %bb.20836:                            ;   in Loop: Header=BB6_20564 Depth=3
	v_and_b32_e32 v2, 0x7fffffff, v1
	v_mov_b32_e32 v3, v51
	v_cmp_gt_u64_e32 vcc, s[78:79], v[2:3]
	v_and_b32_sdwa v0, v1, s96 dst_sel:DWORD dst_unused:UNUSED_PAD src0_sel:BYTE_3 src1_sel:DWORD
                                        ; implicit-def: $vgpr53
	s_and_saveexec_b64 s[28:29], vcc
	s_xor_b64 s[36:37], exec, s[28:29]
	s_cbranch_execz .LBB6_20850
; %bb.20837:                            ;   in Loop: Header=BB6_20564 Depth=3
	v_cmp_ne_u32_e32 vcc, 0, v1
	v_mov_b32_e32 v53, 0
	s_and_saveexec_b64 s[38:39], vcc
	s_cbranch_execz .LBB6_20849
; %bb.20838:                            ;   in Loop: Header=BB6_20564 Depth=3
	v_and_b32_e32 v3, 0x7fffff, v1
	v_bfe_u32 v1, v1, 23, 8
	v_cmp_gt_u32_e64 s[28:29], s97, v1
	v_sub_u32_e32 v2, 0x79, v1
	v_cmp_eq_u32_e32 vcc, 0, v1
	v_cndmask_b32_e64 v2, 0, v2, s[28:29]
	v_mov_b32_e32 v6, 0x78
	v_or_b32_e32 v5, 0x800000, v3
	v_cndmask_b32_e32 v2, v2, v6, vcc
	v_cndmask_b32_e32 v5, v5, v3, vcc
	v_add_u32_e32 v3, 20, v2
	v_lshlrev_b64 v[14:15], v3, -1
	v_add_u32_e32 v3, 19, v2
	v_lshlrev_b64 v[16:17], v3, 1
	v_mov_b32_e32 v6, v51
	v_bfi_b32 v15, v15, 0, 0
	v_bfi_b32 v14, v14, 0, v5
	v_cmp_eq_u64_e64 s[28:29], v[14:15], v[16:17]
	v_lshrrev_b64 v[14:15], v2, v[5:6]
	v_mov_b32_e32 v16, v15
	v_mov_b32_e32 v15, v14
	s_and_saveexec_b64 s[48:49], s[28:29]
; %bb.20839:                            ;   in Loop: Header=BB6_20564 Depth=3
	v_bfe_u32 v3, v14, 20, 1
	v_add_co_u32_e64 v3, s[28:29], v14, v3
	v_add_co_u32_e64 v15, s[28:29], -1, v3
; %bb.20840:                            ;   in Loop: Header=BB6_20564 Depth=3
	s_or_b64 exec, exec, s[48:49]
	v_add_u32_e32 v1, 0xffffff81, v1
	v_mov_b32_e32 v3, 0xffffff82
	v_cndmask_b32_e32 v1, v1, v3, vcc
	v_lshrrev_b32_e32 v3, 23, v14
	v_add3_u32 v3, v2, v1, v3
	v_add_u32_e32 v2, 6, v3
	v_and_b32_e32 v1, 0xfffff, v15
	v_add_u32_e32 v14, v1, v14
	v_mov_b32_e32 v15, v51
	v_cmp_ne_u32_e32 vcc, 0, v2
                                        ; implicit-def: $vgpr1
	s_and_saveexec_b64 s[28:29], vcc
	s_xor_b64 s[28:29], exec, s[28:29]
; %bb.20841:                            ;   in Loop: Header=BB6_20564 Depth=3
	v_cmp_lt_u64_e32 vcc, s[88:89], v[14:15]
	v_add_u32_e32 v1, 7, v3
	v_cndmask_b32_e32 v1, v2, v1, vcc
	v_cndmask_b32_e64 v2, 0, 1, vcc
	v_lshrrev_b64 v[14:15], v2, v[14:15]
; %bb.20842:                            ;   in Loop: Header=BB6_20564 Depth=3
	s_andn2_saveexec_b64 s[28:29], s[28:29]
; %bb.20843:                            ;   in Loop: Header=BB6_20564 Depth=3
	v_bfe_u32 v1, v14, 23, 1
; %bb.20844:                            ;   in Loop: Header=BB6_20564 Depth=3
	s_or_b64 exec, exec, s[28:29]
	v_lshrrev_b64 v[2:3], 20, v[14:15]
	v_cmp_gt_i32_e32 vcc, 16, v1
	v_cndmask_b32_e32 v15, 0, v3, vcc
	v_cndmask_b32_e32 v14, 7, v2, vcc
	v_cmp_ne_u64_e32 vcc, 0, v[14:15]
	v_cmp_ne_u32_e64 s[28:29], 0, v1
	s_or_b64 s[28:29], s[28:29], vcc
                                        ; implicit-def: $vgpr53
	s_and_saveexec_b64 vcc, s[28:29]
	s_xor_b64 s[28:29], exec, vcc
; %bb.20845:                            ;   in Loop: Header=BB6_20564 Depth=3
	v_min_i32_e32 v1, 15, v1
	v_lshl_or_b32 v0, v1, 3, v0
	v_and_or_b32 v53, v14, 7, v0
                                        ; implicit-def: $vgpr0
; %bb.20846:                            ;   in Loop: Header=BB6_20564 Depth=3
	s_andn2_saveexec_b64 s[28:29], s[28:29]
; %bb.20847:                            ;   in Loop: Header=BB6_20564 Depth=3
	v_mov_b32_e32 v53, v0
; %bb.20848:                            ;   in Loop: Header=BB6_20564 Depth=3
	s_or_b64 exec, exec, s[28:29]
.LBB6_20849:                            ;   in Loop: Header=BB6_20564 Depth=3
	s_or_b64 exec, exec, s[38:39]
                                        ; implicit-def: $vgpr0
.LBB6_20850:                            ;   in Loop: Header=BB6_20564 Depth=3
	s_andn2_saveexec_b64 s[28:29], s[36:37]
; %bb.20851:                            ;   in Loop: Header=BB6_20564 Depth=3
	v_or_b32_e32 v53, 0x7e, v0
; %bb.20852:                            ;   in Loop: Header=BB6_20564 Depth=3
	s_or_b64 exec, exec, s[28:29]
                                        ; implicit-def: $vgpr1
.LBB6_20853:                            ;   in Loop: Header=BB6_20564 Depth=3
	s_andn2_saveexec_b64 s[28:29], s[34:35]
; %bb.20854:                            ;   in Loop: Header=BB6_20564 Depth=3
	v_or_b32_sdwa v53, v1, s86 dst_sel:DWORD dst_unused:UNUSED_PAD src0_sel:BYTE_3 src1_sel:DWORD
; %bb.20855:                            ;   in Loop: Header=BB6_20564 Depth=3
	s_or_b64 exec, exec, s[28:29]
	flat_load_ubyte v0, v[8:9] offset:704 glc slc
	v_mov_b32_e32 v1, 0
	s_waitcnt vmcnt(0) lgkmcnt(0)
	v_cmp_ne_u16_e32 vcc, 0, v0
	s_and_saveexec_b64 s[28:29], vcc
	s_cbranch_execz .LBB6_20861
; %bb.20856:                            ;   in Loop: Header=BB6_20564 Depth=3
	v_cmp_ne_u16_e32 vcc, s96, v0
	v_bfrev_b32_e32 v1, 1
	s_and_saveexec_b64 s[34:35], vcc
	s_cbranch_execz .LBB6_20860
; %bb.20857:                            ;   in Loop: Header=BB6_20564 Depth=3
	v_and_b32_e32 v14, 0xffff, v0
	v_and_b32_e32 v2, 0x7f, v14
	v_cmp_ne_u32_e32 vcc, s86, v2
	v_mov_b32_e32 v1, 0x7f800001
	s_and_saveexec_b64 s[36:37], vcc
	s_cbranch_execz .LBB6_20859
; %bb.20858:                            ;   in Loop: Header=BB6_20564 Depth=3
	v_and_b32_e32 v3, 7, v14
	v_ffbh_u32_e32 v1, v3
	v_min_u32_e32 v6, 32, v1
	v_subrev_u32_e32 v1, 28, v6
	v_lshrrev_b32_e32 v5, 3, v2
	v_cmp_gt_u32_e32 vcc, 8, v2
	v_lshlrev_b64 v[1:2], v1, v[14:15]
	v_sub_u32_e32 v2, 29, v6
	v_and_b32_e32 v1, 7, v1
	v_cndmask_b32_e32 v2, v5, v2, vcc
	v_cndmask_b32_e32 v1, v3, v1, vcc
	v_lshlrev_b32_e32 v0, 24, v0
	v_bfrev_b32_e32 v3, 60
	v_lshlrev_b32_e32 v1, 20, v1
	v_and_b32_e32 v0, 0x80000000, v0
	v_lshl_add_u32 v2, v2, 23, v3
	v_or3_b32 v1, v0, v2, v1
.LBB6_20859:                            ;   in Loop: Header=BB6_20564 Depth=3
	s_or_b64 exec, exec, s[36:37]
.LBB6_20860:                            ;   in Loop: Header=BB6_20564 Depth=3
	s_or_b64 exec, exec, s[34:35]
.LBB6_20861:                            ;   in Loop: Header=BB6_20564 Depth=3
	s_or_b64 exec, exec, s[28:29]
	v_mul_f32_e32 v1, s9, v1
	v_and_b32_e32 v2, 0x7f800000, v1
	v_mov_b32_e32 v3, v51
	v_cmp_ne_u64_e32 vcc, s[76:77], v[2:3]
                                        ; implicit-def: $vgpr52
	s_and_saveexec_b64 s[28:29], vcc
	s_xor_b64 s[34:35], exec, s[28:29]
	s_cbranch_execz .LBB6_20879
; %bb.20862:                            ;   in Loop: Header=BB6_20564 Depth=3
	v_and_b32_e32 v2, 0x7fffffff, v1
	v_mov_b32_e32 v3, v51
	v_cmp_gt_u64_e32 vcc, s[78:79], v[2:3]
	v_and_b32_sdwa v0, v1, s96 dst_sel:DWORD dst_unused:UNUSED_PAD src0_sel:BYTE_3 src1_sel:DWORD
                                        ; implicit-def: $vgpr52
	s_and_saveexec_b64 s[28:29], vcc
	s_xor_b64 s[36:37], exec, s[28:29]
	s_cbranch_execz .LBB6_20876
; %bb.20863:                            ;   in Loop: Header=BB6_20564 Depth=3
	v_cmp_ne_u32_e32 vcc, 0, v1
	v_mov_b32_e32 v52, 0
	s_and_saveexec_b64 s[38:39], vcc
	s_cbranch_execz .LBB6_20875
; %bb.20864:                            ;   in Loop: Header=BB6_20564 Depth=3
	v_and_b32_e32 v3, 0x7fffff, v1
	v_bfe_u32 v1, v1, 23, 8
	v_cmp_gt_u32_e64 s[28:29], s97, v1
	v_sub_u32_e32 v2, 0x79, v1
	v_cmp_eq_u32_e32 vcc, 0, v1
	v_cndmask_b32_e64 v2, 0, v2, s[28:29]
	v_mov_b32_e32 v6, 0x78
	v_or_b32_e32 v5, 0x800000, v3
	v_cndmask_b32_e32 v2, v2, v6, vcc
	v_cndmask_b32_e32 v5, v5, v3, vcc
	v_add_u32_e32 v3, 20, v2
	v_lshlrev_b64 v[14:15], v3, -1
	v_add_u32_e32 v3, 19, v2
	v_lshlrev_b64 v[16:17], v3, 1
	v_mov_b32_e32 v6, v51
	v_bfi_b32 v15, v15, 0, 0
	v_bfi_b32 v14, v14, 0, v5
	v_cmp_eq_u64_e64 s[28:29], v[14:15], v[16:17]
	v_lshrrev_b64 v[14:15], v2, v[5:6]
	v_mov_b32_e32 v16, v15
	v_mov_b32_e32 v15, v14
	s_and_saveexec_b64 s[48:49], s[28:29]
; %bb.20865:                            ;   in Loop: Header=BB6_20564 Depth=3
	v_bfe_u32 v3, v14, 20, 1
	v_add_co_u32_e64 v3, s[28:29], v14, v3
	v_add_co_u32_e64 v15, s[28:29], -1, v3
; %bb.20866:                            ;   in Loop: Header=BB6_20564 Depth=3
	s_or_b64 exec, exec, s[48:49]
	v_add_u32_e32 v1, 0xffffff81, v1
	v_mov_b32_e32 v3, 0xffffff82
	v_cndmask_b32_e32 v1, v1, v3, vcc
	v_lshrrev_b32_e32 v3, 23, v14
	v_add3_u32 v3, v2, v1, v3
	v_add_u32_e32 v2, 6, v3
	v_and_b32_e32 v1, 0xfffff, v15
	v_add_u32_e32 v14, v1, v14
	v_mov_b32_e32 v15, v51
	v_cmp_ne_u32_e32 vcc, 0, v2
                                        ; implicit-def: $vgpr1
	s_and_saveexec_b64 s[28:29], vcc
	s_xor_b64 s[28:29], exec, s[28:29]
; %bb.20867:                            ;   in Loop: Header=BB6_20564 Depth=3
	v_cmp_lt_u64_e32 vcc, s[88:89], v[14:15]
	v_add_u32_e32 v1, 7, v3
	v_cndmask_b32_e32 v1, v2, v1, vcc
	v_cndmask_b32_e64 v2, 0, 1, vcc
	v_lshrrev_b64 v[14:15], v2, v[14:15]
; %bb.20868:                            ;   in Loop: Header=BB6_20564 Depth=3
	s_andn2_saveexec_b64 s[28:29], s[28:29]
; %bb.20869:                            ;   in Loop: Header=BB6_20564 Depth=3
	v_bfe_u32 v1, v14, 23, 1
; %bb.20870:                            ;   in Loop: Header=BB6_20564 Depth=3
	s_or_b64 exec, exec, s[28:29]
	v_lshrrev_b64 v[2:3], 20, v[14:15]
	v_cmp_gt_i32_e32 vcc, 16, v1
	v_cndmask_b32_e32 v15, 0, v3, vcc
	v_cndmask_b32_e32 v14, 7, v2, vcc
	v_cmp_ne_u64_e32 vcc, 0, v[14:15]
	v_cmp_ne_u32_e64 s[28:29], 0, v1
	s_or_b64 s[28:29], s[28:29], vcc
                                        ; implicit-def: $vgpr52
	s_and_saveexec_b64 vcc, s[28:29]
	s_xor_b64 s[28:29], exec, vcc
; %bb.20871:                            ;   in Loop: Header=BB6_20564 Depth=3
	v_min_i32_e32 v1, 15, v1
	v_lshl_or_b32 v0, v1, 3, v0
	v_and_or_b32 v52, v14, 7, v0
                                        ; implicit-def: $vgpr0
; %bb.20872:                            ;   in Loop: Header=BB6_20564 Depth=3
	s_andn2_saveexec_b64 s[28:29], s[28:29]
; %bb.20873:                            ;   in Loop: Header=BB6_20564 Depth=3
	v_mov_b32_e32 v52, v0
; %bb.20874:                            ;   in Loop: Header=BB6_20564 Depth=3
	s_or_b64 exec, exec, s[28:29]
.LBB6_20875:                            ;   in Loop: Header=BB6_20564 Depth=3
	s_or_b64 exec, exec, s[38:39]
                                        ; implicit-def: $vgpr0
.LBB6_20876:                            ;   in Loop: Header=BB6_20564 Depth=3
	s_andn2_saveexec_b64 s[28:29], s[36:37]
; %bb.20877:                            ;   in Loop: Header=BB6_20564 Depth=3
	v_or_b32_e32 v52, 0x7e, v0
; %bb.20878:                            ;   in Loop: Header=BB6_20564 Depth=3
	s_or_b64 exec, exec, s[28:29]
                                        ; implicit-def: $vgpr1
.LBB6_20879:                            ;   in Loop: Header=BB6_20564 Depth=3
	s_andn2_saveexec_b64 s[28:29], s[34:35]
; %bb.20880:                            ;   in Loop: Header=BB6_20564 Depth=3
	v_or_b32_sdwa v52, v1, s86 dst_sel:DWORD dst_unused:UNUSED_PAD src0_sel:BYTE_3 src1_sel:DWORD
; %bb.20881:                            ;   in Loop: Header=BB6_20564 Depth=3
	s_or_b64 exec, exec, s[28:29]
	flat_load_ubyte v0, v[8:9] offset:768 glc slc
	v_mov_b32_e32 v1, 0
	s_waitcnt vmcnt(0) lgkmcnt(0)
	v_cmp_ne_u16_e32 vcc, 0, v0
	s_and_saveexec_b64 s[28:29], vcc
	s_cbranch_execz .LBB6_20887
; %bb.20882:                            ;   in Loop: Header=BB6_20564 Depth=3
	v_cmp_ne_u16_e32 vcc, s96, v0
	v_bfrev_b32_e32 v1, 1
	s_and_saveexec_b64 s[34:35], vcc
	s_cbranch_execz .LBB6_20886
; %bb.20883:                            ;   in Loop: Header=BB6_20564 Depth=3
	v_and_b32_e32 v14, 0xffff, v0
	v_and_b32_e32 v2, 0x7f, v14
	v_cmp_ne_u32_e32 vcc, s86, v2
	v_mov_b32_e32 v1, 0x7f800001
	s_and_saveexec_b64 s[36:37], vcc
	s_cbranch_execz .LBB6_20885
; %bb.20884:                            ;   in Loop: Header=BB6_20564 Depth=3
	v_and_b32_e32 v3, 7, v14
	v_ffbh_u32_e32 v1, v3
	v_min_u32_e32 v6, 32, v1
	v_subrev_u32_e32 v1, 28, v6
	v_lshrrev_b32_e32 v5, 3, v2
	v_cmp_gt_u32_e32 vcc, 8, v2
	v_lshlrev_b64 v[1:2], v1, v[14:15]
	v_sub_u32_e32 v2, 29, v6
	v_and_b32_e32 v1, 7, v1
	v_cndmask_b32_e32 v2, v5, v2, vcc
	v_cndmask_b32_e32 v1, v3, v1, vcc
	v_lshlrev_b32_e32 v0, 24, v0
	v_bfrev_b32_e32 v3, 60
	v_lshlrev_b32_e32 v1, 20, v1
	v_and_b32_e32 v0, 0x80000000, v0
	v_lshl_add_u32 v2, v2, 23, v3
	v_or3_b32 v1, v0, v2, v1
.LBB6_20885:                            ;   in Loop: Header=BB6_20564 Depth=3
	s_or_b64 exec, exec, s[36:37]
.LBB6_20886:                            ;   in Loop: Header=BB6_20564 Depth=3
	s_or_b64 exec, exec, s[34:35]
.LBB6_20887:                            ;   in Loop: Header=BB6_20564 Depth=3
	s_or_b64 exec, exec, s[28:29]
	v_mul_f32_e32 v1, s9, v1
	v_and_b32_e32 v2, 0x7f800000, v1
	v_mov_b32_e32 v3, v51
	v_cmp_ne_u64_e32 vcc, s[76:77], v[2:3]
                                        ; implicit-def: $vgpr50
	s_and_saveexec_b64 s[28:29], vcc
	s_xor_b64 s[34:35], exec, s[28:29]
	s_cbranch_execz .LBB6_20905
; %bb.20888:                            ;   in Loop: Header=BB6_20564 Depth=3
	v_and_b32_e32 v2, 0x7fffffff, v1
	v_mov_b32_e32 v3, v51
	v_cmp_gt_u64_e32 vcc, s[78:79], v[2:3]
	v_and_b32_sdwa v0, v1, s96 dst_sel:DWORD dst_unused:UNUSED_PAD src0_sel:BYTE_3 src1_sel:DWORD
                                        ; implicit-def: $vgpr50
	s_and_saveexec_b64 s[28:29], vcc
	s_xor_b64 s[36:37], exec, s[28:29]
	s_cbranch_execz .LBB6_20902
; %bb.20889:                            ;   in Loop: Header=BB6_20564 Depth=3
	v_cmp_ne_u32_e32 vcc, 0, v1
	v_mov_b32_e32 v50, 0
	s_and_saveexec_b64 s[38:39], vcc
	s_cbranch_execz .LBB6_20901
; %bb.20890:                            ;   in Loop: Header=BB6_20564 Depth=3
	v_and_b32_e32 v3, 0x7fffff, v1
	v_bfe_u32 v1, v1, 23, 8
	v_cmp_gt_u32_e64 s[28:29], s97, v1
	v_sub_u32_e32 v2, 0x79, v1
	v_cmp_eq_u32_e32 vcc, 0, v1
	v_cndmask_b32_e64 v2, 0, v2, s[28:29]
	v_mov_b32_e32 v6, 0x78
	v_or_b32_e32 v5, 0x800000, v3
	v_cndmask_b32_e32 v2, v2, v6, vcc
	v_cndmask_b32_e32 v5, v5, v3, vcc
	v_add_u32_e32 v3, 20, v2
	v_lshlrev_b64 v[14:15], v3, -1
	v_add_u32_e32 v3, 19, v2
	v_lshlrev_b64 v[16:17], v3, 1
	v_mov_b32_e32 v6, v51
	v_bfi_b32 v15, v15, 0, 0
	v_bfi_b32 v14, v14, 0, v5
	v_cmp_eq_u64_e64 s[28:29], v[14:15], v[16:17]
	v_lshrrev_b64 v[14:15], v2, v[5:6]
	v_mov_b32_e32 v16, v15
	v_mov_b32_e32 v15, v14
	s_and_saveexec_b64 s[48:49], s[28:29]
; %bb.20891:                            ;   in Loop: Header=BB6_20564 Depth=3
	v_bfe_u32 v3, v14, 20, 1
	v_add_co_u32_e64 v3, s[28:29], v14, v3
	v_add_co_u32_e64 v15, s[28:29], -1, v3
; %bb.20892:                            ;   in Loop: Header=BB6_20564 Depth=3
	s_or_b64 exec, exec, s[48:49]
	v_add_u32_e32 v1, 0xffffff81, v1
	v_mov_b32_e32 v3, 0xffffff82
	v_cndmask_b32_e32 v1, v1, v3, vcc
	v_lshrrev_b32_e32 v3, 23, v14
	v_add3_u32 v3, v2, v1, v3
	v_add_u32_e32 v2, 6, v3
	v_and_b32_e32 v1, 0xfffff, v15
	v_add_u32_e32 v14, v1, v14
	v_mov_b32_e32 v15, v51
	v_cmp_ne_u32_e32 vcc, 0, v2
                                        ; implicit-def: $vgpr1
	s_and_saveexec_b64 s[28:29], vcc
	s_xor_b64 s[28:29], exec, s[28:29]
; %bb.20893:                            ;   in Loop: Header=BB6_20564 Depth=3
	v_cmp_lt_u64_e32 vcc, s[88:89], v[14:15]
	v_add_u32_e32 v1, 7, v3
	v_cndmask_b32_e32 v1, v2, v1, vcc
	v_cndmask_b32_e64 v2, 0, 1, vcc
	v_lshrrev_b64 v[14:15], v2, v[14:15]
; %bb.20894:                            ;   in Loop: Header=BB6_20564 Depth=3
	s_andn2_saveexec_b64 s[28:29], s[28:29]
; %bb.20895:                            ;   in Loop: Header=BB6_20564 Depth=3
	v_bfe_u32 v1, v14, 23, 1
; %bb.20896:                            ;   in Loop: Header=BB6_20564 Depth=3
	s_or_b64 exec, exec, s[28:29]
	v_lshrrev_b64 v[2:3], 20, v[14:15]
	v_cmp_gt_i32_e32 vcc, 16, v1
	v_cndmask_b32_e32 v15, 0, v3, vcc
	v_cndmask_b32_e32 v14, 7, v2, vcc
	v_cmp_ne_u64_e32 vcc, 0, v[14:15]
	v_cmp_ne_u32_e64 s[28:29], 0, v1
	s_or_b64 s[28:29], s[28:29], vcc
                                        ; implicit-def: $vgpr50
	s_and_saveexec_b64 vcc, s[28:29]
	s_xor_b64 s[28:29], exec, vcc
; %bb.20897:                            ;   in Loop: Header=BB6_20564 Depth=3
	v_min_i32_e32 v1, 15, v1
	v_lshl_or_b32 v0, v1, 3, v0
	v_and_or_b32 v50, v14, 7, v0
                                        ; implicit-def: $vgpr0
; %bb.20898:                            ;   in Loop: Header=BB6_20564 Depth=3
	s_andn2_saveexec_b64 s[28:29], s[28:29]
; %bb.20899:                            ;   in Loop: Header=BB6_20564 Depth=3
	v_mov_b32_e32 v50, v0
; %bb.20900:                            ;   in Loop: Header=BB6_20564 Depth=3
	s_or_b64 exec, exec, s[28:29]
.LBB6_20901:                            ;   in Loop: Header=BB6_20564 Depth=3
	s_or_b64 exec, exec, s[38:39]
                                        ; implicit-def: $vgpr0
.LBB6_20902:                            ;   in Loop: Header=BB6_20564 Depth=3
	s_andn2_saveexec_b64 s[28:29], s[36:37]
; %bb.20903:                            ;   in Loop: Header=BB6_20564 Depth=3
	v_or_b32_e32 v50, 0x7e, v0
; %bb.20904:                            ;   in Loop: Header=BB6_20564 Depth=3
	s_or_b64 exec, exec, s[28:29]
                                        ; implicit-def: $vgpr1
.LBB6_20905:                            ;   in Loop: Header=BB6_20564 Depth=3
	s_andn2_saveexec_b64 s[28:29], s[34:35]
; %bb.20906:                            ;   in Loop: Header=BB6_20564 Depth=3
	v_or_b32_sdwa v50, v1, s86 dst_sel:DWORD dst_unused:UNUSED_PAD src0_sel:BYTE_3 src1_sel:DWORD
; %bb.20907:                            ;   in Loop: Header=BB6_20564 Depth=3
	s_or_b64 exec, exec, s[28:29]
	flat_load_ubyte v0, v[8:9] offset:832 glc slc
	v_mov_b32_e32 v1, 0
	s_waitcnt vmcnt(0) lgkmcnt(0)
	v_cmp_ne_u16_e32 vcc, 0, v0
	s_and_saveexec_b64 s[28:29], vcc
	s_cbranch_execz .LBB6_20913
; %bb.20908:                            ;   in Loop: Header=BB6_20564 Depth=3
	v_cmp_ne_u16_e32 vcc, s96, v0
	v_bfrev_b32_e32 v1, 1
	s_and_saveexec_b64 s[34:35], vcc
	s_cbranch_execz .LBB6_20912
; %bb.20909:                            ;   in Loop: Header=BB6_20564 Depth=3
	v_and_b32_e32 v14, 0xffff, v0
	v_and_b32_e32 v2, 0x7f, v14
	v_cmp_ne_u32_e32 vcc, s86, v2
	v_mov_b32_e32 v1, 0x7f800001
	s_and_saveexec_b64 s[36:37], vcc
	s_cbranch_execz .LBB6_20911
; %bb.20910:                            ;   in Loop: Header=BB6_20564 Depth=3
	v_and_b32_e32 v3, 7, v14
	v_ffbh_u32_e32 v1, v3
	v_min_u32_e32 v6, 32, v1
	v_subrev_u32_e32 v1, 28, v6
	v_lshrrev_b32_e32 v5, 3, v2
	v_cmp_gt_u32_e32 vcc, 8, v2
	v_lshlrev_b64 v[1:2], v1, v[14:15]
	v_sub_u32_e32 v2, 29, v6
	v_and_b32_e32 v1, 7, v1
	v_cndmask_b32_e32 v2, v5, v2, vcc
	v_cndmask_b32_e32 v1, v3, v1, vcc
	v_lshlrev_b32_e32 v0, 24, v0
	v_bfrev_b32_e32 v3, 60
	v_lshlrev_b32_e32 v1, 20, v1
	v_and_b32_e32 v0, 0x80000000, v0
	v_lshl_add_u32 v2, v2, 23, v3
	v_or3_b32 v1, v0, v2, v1
.LBB6_20911:                            ;   in Loop: Header=BB6_20564 Depth=3
	s_or_b64 exec, exec, s[36:37]
.LBB6_20912:                            ;   in Loop: Header=BB6_20564 Depth=3
	s_or_b64 exec, exec, s[34:35]
.LBB6_20913:                            ;   in Loop: Header=BB6_20564 Depth=3
	s_or_b64 exec, exec, s[28:29]
	v_mul_f32_e32 v1, s9, v1
	v_and_b32_e32 v2, 0x7f800000, v1
	v_mov_b32_e32 v3, v51
	v_cmp_ne_u64_e32 vcc, s[76:77], v[2:3]
                                        ; implicit-def: $vgpr39
	s_and_saveexec_b64 s[28:29], vcc
	s_xor_b64 s[34:35], exec, s[28:29]
	s_cbranch_execz .LBB6_20931
; %bb.20914:                            ;   in Loop: Header=BB6_20564 Depth=3
	v_and_b32_e32 v2, 0x7fffffff, v1
	v_mov_b32_e32 v3, v51
	v_cmp_gt_u64_e32 vcc, s[78:79], v[2:3]
	v_and_b32_sdwa v0, v1, s96 dst_sel:DWORD dst_unused:UNUSED_PAD src0_sel:BYTE_3 src1_sel:DWORD
                                        ; implicit-def: $vgpr39
	s_and_saveexec_b64 s[28:29], vcc
	s_xor_b64 s[36:37], exec, s[28:29]
	s_cbranch_execz .LBB6_20928
; %bb.20915:                            ;   in Loop: Header=BB6_20564 Depth=3
	v_cmp_ne_u32_e32 vcc, 0, v1
	v_mov_b32_e32 v39, 0
	s_and_saveexec_b64 s[38:39], vcc
	s_cbranch_execz .LBB6_20927
; %bb.20916:                            ;   in Loop: Header=BB6_20564 Depth=3
	v_and_b32_e32 v3, 0x7fffff, v1
	v_bfe_u32 v1, v1, 23, 8
	v_cmp_gt_u32_e64 s[28:29], s97, v1
	v_sub_u32_e32 v2, 0x79, v1
	v_cmp_eq_u32_e32 vcc, 0, v1
	v_cndmask_b32_e64 v2, 0, v2, s[28:29]
	v_mov_b32_e32 v6, 0x78
	v_or_b32_e32 v5, 0x800000, v3
	v_cndmask_b32_e32 v2, v2, v6, vcc
	v_cndmask_b32_e32 v5, v5, v3, vcc
	v_add_u32_e32 v3, 20, v2
	v_lshlrev_b64 v[14:15], v3, -1
	v_add_u32_e32 v3, 19, v2
	v_lshlrev_b64 v[16:17], v3, 1
	v_mov_b32_e32 v6, v51
	v_bfi_b32 v15, v15, 0, 0
	v_bfi_b32 v14, v14, 0, v5
	v_cmp_eq_u64_e64 s[28:29], v[14:15], v[16:17]
	v_lshrrev_b64 v[14:15], v2, v[5:6]
	v_mov_b32_e32 v16, v15
	v_mov_b32_e32 v15, v14
	s_and_saveexec_b64 s[48:49], s[28:29]
; %bb.20917:                            ;   in Loop: Header=BB6_20564 Depth=3
	v_bfe_u32 v3, v14, 20, 1
	v_add_co_u32_e64 v3, s[28:29], v14, v3
	v_add_co_u32_e64 v15, s[28:29], -1, v3
; %bb.20918:                            ;   in Loop: Header=BB6_20564 Depth=3
	s_or_b64 exec, exec, s[48:49]
	v_add_u32_e32 v1, 0xffffff81, v1
	v_mov_b32_e32 v3, 0xffffff82
	v_cndmask_b32_e32 v1, v1, v3, vcc
	v_lshrrev_b32_e32 v3, 23, v14
	v_add3_u32 v3, v2, v1, v3
	v_add_u32_e32 v2, 6, v3
	v_and_b32_e32 v1, 0xfffff, v15
	v_add_u32_e32 v14, v1, v14
	v_mov_b32_e32 v15, v51
	v_cmp_ne_u32_e32 vcc, 0, v2
                                        ; implicit-def: $vgpr1
	s_and_saveexec_b64 s[28:29], vcc
	s_xor_b64 s[28:29], exec, s[28:29]
; %bb.20919:                            ;   in Loop: Header=BB6_20564 Depth=3
	v_cmp_lt_u64_e32 vcc, s[88:89], v[14:15]
	v_add_u32_e32 v1, 7, v3
	v_cndmask_b32_e32 v1, v2, v1, vcc
	v_cndmask_b32_e64 v2, 0, 1, vcc
	v_lshrrev_b64 v[14:15], v2, v[14:15]
; %bb.20920:                            ;   in Loop: Header=BB6_20564 Depth=3
	s_andn2_saveexec_b64 s[28:29], s[28:29]
; %bb.20921:                            ;   in Loop: Header=BB6_20564 Depth=3
	v_bfe_u32 v1, v14, 23, 1
; %bb.20922:                            ;   in Loop: Header=BB6_20564 Depth=3
	s_or_b64 exec, exec, s[28:29]
	v_lshrrev_b64 v[2:3], 20, v[14:15]
	v_cmp_gt_i32_e32 vcc, 16, v1
	v_cndmask_b32_e32 v15, 0, v3, vcc
	v_cndmask_b32_e32 v14, 7, v2, vcc
	v_cmp_ne_u64_e32 vcc, 0, v[14:15]
	v_cmp_ne_u32_e64 s[28:29], 0, v1
	s_or_b64 s[28:29], s[28:29], vcc
                                        ; implicit-def: $vgpr39
	s_and_saveexec_b64 vcc, s[28:29]
	s_xor_b64 s[28:29], exec, vcc
; %bb.20923:                            ;   in Loop: Header=BB6_20564 Depth=3
	v_min_i32_e32 v1, 15, v1
	v_lshl_or_b32 v0, v1, 3, v0
	v_and_or_b32 v39, v14, 7, v0
                                        ; implicit-def: $vgpr0
; %bb.20924:                            ;   in Loop: Header=BB6_20564 Depth=3
	s_andn2_saveexec_b64 s[28:29], s[28:29]
; %bb.20925:                            ;   in Loop: Header=BB6_20564 Depth=3
	v_mov_b32_e32 v39, v0
; %bb.20926:                            ;   in Loop: Header=BB6_20564 Depth=3
	s_or_b64 exec, exec, s[28:29]
.LBB6_20927:                            ;   in Loop: Header=BB6_20564 Depth=3
	s_or_b64 exec, exec, s[38:39]
                                        ; implicit-def: $vgpr0
.LBB6_20928:                            ;   in Loop: Header=BB6_20564 Depth=3
	s_andn2_saveexec_b64 s[28:29], s[36:37]
; %bb.20929:                            ;   in Loop: Header=BB6_20564 Depth=3
	v_or_b32_e32 v39, 0x7e, v0
; %bb.20930:                            ;   in Loop: Header=BB6_20564 Depth=3
	s_or_b64 exec, exec, s[28:29]
                                        ; implicit-def: $vgpr1
.LBB6_20931:                            ;   in Loop: Header=BB6_20564 Depth=3
	s_andn2_saveexec_b64 s[28:29], s[34:35]
; %bb.20932:                            ;   in Loop: Header=BB6_20564 Depth=3
	v_or_b32_sdwa v39, v1, s86 dst_sel:DWORD dst_unused:UNUSED_PAD src0_sel:BYTE_3 src1_sel:DWORD
; %bb.20933:                            ;   in Loop: Header=BB6_20564 Depth=3
	s_or_b64 exec, exec, s[28:29]
	flat_load_ubyte v0, v[8:9] offset:896 glc slc
	v_mov_b32_e32 v1, 0
	s_waitcnt vmcnt(0) lgkmcnt(0)
	v_cmp_ne_u16_e32 vcc, 0, v0
	s_and_saveexec_b64 s[28:29], vcc
	s_cbranch_execz .LBB6_20939
; %bb.20934:                            ;   in Loop: Header=BB6_20564 Depth=3
	v_cmp_ne_u16_e32 vcc, s96, v0
	v_bfrev_b32_e32 v1, 1
	s_and_saveexec_b64 s[34:35], vcc
	s_cbranch_execz .LBB6_20938
; %bb.20935:                            ;   in Loop: Header=BB6_20564 Depth=3
	v_and_b32_e32 v14, 0xffff, v0
	v_and_b32_e32 v2, 0x7f, v14
	v_cmp_ne_u32_e32 vcc, s86, v2
	v_mov_b32_e32 v1, 0x7f800001
	s_and_saveexec_b64 s[36:37], vcc
	s_cbranch_execz .LBB6_20937
; %bb.20936:                            ;   in Loop: Header=BB6_20564 Depth=3
	v_and_b32_e32 v3, 7, v14
	v_ffbh_u32_e32 v1, v3
	v_min_u32_e32 v6, 32, v1
	v_subrev_u32_e32 v1, 28, v6
	v_lshrrev_b32_e32 v5, 3, v2
	v_cmp_gt_u32_e32 vcc, 8, v2
	v_lshlrev_b64 v[1:2], v1, v[14:15]
	v_sub_u32_e32 v2, 29, v6
	v_and_b32_e32 v1, 7, v1
	v_cndmask_b32_e32 v2, v5, v2, vcc
	v_cndmask_b32_e32 v1, v3, v1, vcc
	v_lshlrev_b32_e32 v0, 24, v0
	v_bfrev_b32_e32 v3, 60
	v_lshlrev_b32_e32 v1, 20, v1
	v_and_b32_e32 v0, 0x80000000, v0
	v_lshl_add_u32 v2, v2, 23, v3
	v_or3_b32 v1, v0, v2, v1
.LBB6_20937:                            ;   in Loop: Header=BB6_20564 Depth=3
	s_or_b64 exec, exec, s[36:37]
.LBB6_20938:                            ;   in Loop: Header=BB6_20564 Depth=3
	s_or_b64 exec, exec, s[34:35]
.LBB6_20939:                            ;   in Loop: Header=BB6_20564 Depth=3
	s_or_b64 exec, exec, s[28:29]
	v_mul_f32_e32 v1, s9, v1
	v_and_b32_e32 v2, 0x7f800000, v1
	v_mov_b32_e32 v3, v51
	v_cmp_ne_u64_e32 vcc, s[76:77], v[2:3]
                                        ; implicit-def: $vgpr38
	s_and_saveexec_b64 s[28:29], vcc
	s_xor_b64 s[34:35], exec, s[28:29]
	s_cbranch_execz .LBB6_20957
; %bb.20940:                            ;   in Loop: Header=BB6_20564 Depth=3
	v_and_b32_e32 v2, 0x7fffffff, v1
	v_mov_b32_e32 v3, v51
	v_cmp_gt_u64_e32 vcc, s[78:79], v[2:3]
	v_and_b32_sdwa v0, v1, s96 dst_sel:DWORD dst_unused:UNUSED_PAD src0_sel:BYTE_3 src1_sel:DWORD
                                        ; implicit-def: $vgpr38
	s_and_saveexec_b64 s[28:29], vcc
	s_xor_b64 s[36:37], exec, s[28:29]
	s_cbranch_execz .LBB6_20954
; %bb.20941:                            ;   in Loop: Header=BB6_20564 Depth=3
	v_cmp_ne_u32_e32 vcc, 0, v1
	v_mov_b32_e32 v38, 0
	s_and_saveexec_b64 s[38:39], vcc
	s_cbranch_execz .LBB6_20953
; %bb.20942:                            ;   in Loop: Header=BB6_20564 Depth=3
	v_and_b32_e32 v3, 0x7fffff, v1
	v_bfe_u32 v1, v1, 23, 8
	v_cmp_gt_u32_e64 s[28:29], s97, v1
	v_sub_u32_e32 v2, 0x79, v1
	v_cmp_eq_u32_e32 vcc, 0, v1
	v_cndmask_b32_e64 v2, 0, v2, s[28:29]
	v_mov_b32_e32 v6, 0x78
	v_or_b32_e32 v5, 0x800000, v3
	v_cndmask_b32_e32 v2, v2, v6, vcc
	v_cndmask_b32_e32 v5, v5, v3, vcc
	v_add_u32_e32 v3, 20, v2
	v_lshlrev_b64 v[14:15], v3, -1
	v_add_u32_e32 v3, 19, v2
	v_lshlrev_b64 v[16:17], v3, 1
	v_mov_b32_e32 v6, v51
	v_bfi_b32 v15, v15, 0, 0
	v_bfi_b32 v14, v14, 0, v5
	v_cmp_eq_u64_e64 s[28:29], v[14:15], v[16:17]
	v_lshrrev_b64 v[14:15], v2, v[5:6]
	v_mov_b32_e32 v16, v15
	v_mov_b32_e32 v15, v14
	s_and_saveexec_b64 s[48:49], s[28:29]
; %bb.20943:                            ;   in Loop: Header=BB6_20564 Depth=3
	v_bfe_u32 v3, v14, 20, 1
	v_add_co_u32_e64 v3, s[28:29], v14, v3
	v_add_co_u32_e64 v15, s[28:29], -1, v3
; %bb.20944:                            ;   in Loop: Header=BB6_20564 Depth=3
	s_or_b64 exec, exec, s[48:49]
	v_add_u32_e32 v1, 0xffffff81, v1
	v_mov_b32_e32 v3, 0xffffff82
	v_cndmask_b32_e32 v1, v1, v3, vcc
	v_lshrrev_b32_e32 v3, 23, v14
	v_add3_u32 v3, v2, v1, v3
	v_add_u32_e32 v2, 6, v3
	v_and_b32_e32 v1, 0xfffff, v15
	v_add_u32_e32 v14, v1, v14
	v_mov_b32_e32 v15, v51
	v_cmp_ne_u32_e32 vcc, 0, v2
                                        ; implicit-def: $vgpr1
	s_and_saveexec_b64 s[28:29], vcc
	s_xor_b64 s[28:29], exec, s[28:29]
; %bb.20945:                            ;   in Loop: Header=BB6_20564 Depth=3
	v_cmp_lt_u64_e32 vcc, s[88:89], v[14:15]
	v_add_u32_e32 v1, 7, v3
	v_cndmask_b32_e32 v1, v2, v1, vcc
	v_cndmask_b32_e64 v2, 0, 1, vcc
	v_lshrrev_b64 v[14:15], v2, v[14:15]
; %bb.20946:                            ;   in Loop: Header=BB6_20564 Depth=3
	s_andn2_saveexec_b64 s[28:29], s[28:29]
; %bb.20947:                            ;   in Loop: Header=BB6_20564 Depth=3
	v_bfe_u32 v1, v14, 23, 1
; %bb.20948:                            ;   in Loop: Header=BB6_20564 Depth=3
	s_or_b64 exec, exec, s[28:29]
	v_lshrrev_b64 v[2:3], 20, v[14:15]
	v_cmp_gt_i32_e32 vcc, 16, v1
	v_cndmask_b32_e32 v15, 0, v3, vcc
	v_cndmask_b32_e32 v14, 7, v2, vcc
	v_cmp_ne_u64_e32 vcc, 0, v[14:15]
	v_cmp_ne_u32_e64 s[28:29], 0, v1
	s_or_b64 s[28:29], s[28:29], vcc
                                        ; implicit-def: $vgpr38
	s_and_saveexec_b64 vcc, s[28:29]
	s_xor_b64 s[28:29], exec, vcc
; %bb.20949:                            ;   in Loop: Header=BB6_20564 Depth=3
	v_min_i32_e32 v1, 15, v1
	v_lshl_or_b32 v0, v1, 3, v0
	v_and_or_b32 v38, v14, 7, v0
                                        ; implicit-def: $vgpr0
; %bb.20950:                            ;   in Loop: Header=BB6_20564 Depth=3
	s_andn2_saveexec_b64 s[28:29], s[28:29]
; %bb.20951:                            ;   in Loop: Header=BB6_20564 Depth=3
	v_mov_b32_e32 v38, v0
; %bb.20952:                            ;   in Loop: Header=BB6_20564 Depth=3
	s_or_b64 exec, exec, s[28:29]
.LBB6_20953:                            ;   in Loop: Header=BB6_20564 Depth=3
	s_or_b64 exec, exec, s[38:39]
                                        ; implicit-def: $vgpr0
.LBB6_20954:                            ;   in Loop: Header=BB6_20564 Depth=3
	s_andn2_saveexec_b64 s[28:29], s[36:37]
; %bb.20955:                            ;   in Loop: Header=BB6_20564 Depth=3
	v_or_b32_e32 v38, 0x7e, v0
; %bb.20956:                            ;   in Loop: Header=BB6_20564 Depth=3
	s_or_b64 exec, exec, s[28:29]
                                        ; implicit-def: $vgpr1
.LBB6_20957:                            ;   in Loop: Header=BB6_20564 Depth=3
	s_andn2_saveexec_b64 s[28:29], s[34:35]
; %bb.20958:                            ;   in Loop: Header=BB6_20564 Depth=3
	v_or_b32_sdwa v38, v1, s86 dst_sel:DWORD dst_unused:UNUSED_PAD src0_sel:BYTE_3 src1_sel:DWORD
; %bb.20959:                            ;   in Loop: Header=BB6_20564 Depth=3
	s_or_b64 exec, exec, s[28:29]
	flat_load_ubyte v0, v[8:9] offset:960 glc slc
	v_mov_b32_e32 v1, 0
	s_waitcnt vmcnt(0) lgkmcnt(0)
	v_cmp_ne_u16_e32 vcc, 0, v0
	s_and_saveexec_b64 s[28:29], vcc
	s_cbranch_execz .LBB6_20965
; %bb.20960:                            ;   in Loop: Header=BB6_20564 Depth=3
	v_cmp_ne_u16_e32 vcc, s96, v0
	v_bfrev_b32_e32 v1, 1
	s_and_saveexec_b64 s[34:35], vcc
	s_cbranch_execz .LBB6_20964
; %bb.20961:                            ;   in Loop: Header=BB6_20564 Depth=3
	v_and_b32_e32 v14, 0xffff, v0
	v_and_b32_e32 v2, 0x7f, v14
	v_cmp_ne_u32_e32 vcc, s86, v2
	v_mov_b32_e32 v1, 0x7f800001
	s_and_saveexec_b64 s[36:37], vcc
	s_cbranch_execz .LBB6_20963
; %bb.20962:                            ;   in Loop: Header=BB6_20564 Depth=3
	v_and_b32_e32 v3, 7, v14
	v_ffbh_u32_e32 v1, v3
	v_min_u32_e32 v6, 32, v1
	v_subrev_u32_e32 v1, 28, v6
	v_lshrrev_b32_e32 v5, 3, v2
	v_cmp_gt_u32_e32 vcc, 8, v2
	v_lshlrev_b64 v[1:2], v1, v[14:15]
	v_sub_u32_e32 v2, 29, v6
	v_and_b32_e32 v1, 7, v1
	v_cndmask_b32_e32 v2, v5, v2, vcc
	v_cndmask_b32_e32 v1, v3, v1, vcc
	v_lshlrev_b32_e32 v0, 24, v0
	v_bfrev_b32_e32 v3, 60
	v_lshlrev_b32_e32 v1, 20, v1
	v_and_b32_e32 v0, 0x80000000, v0
	v_lshl_add_u32 v2, v2, 23, v3
	v_or3_b32 v1, v0, v2, v1
.LBB6_20963:                            ;   in Loop: Header=BB6_20564 Depth=3
	s_or_b64 exec, exec, s[36:37]
.LBB6_20964:                            ;   in Loop: Header=BB6_20564 Depth=3
	s_or_b64 exec, exec, s[34:35]
.LBB6_20965:                            ;   in Loop: Header=BB6_20564 Depth=3
	s_or_b64 exec, exec, s[28:29]
	v_mul_f32_e32 v1, s9, v1
	v_and_b32_e32 v2, 0x7f800000, v1
	v_mov_b32_e32 v3, v51
	v_cmp_ne_u64_e32 vcc, s[76:77], v[2:3]
                                        ; implicit-def: $vgpr37
	s_and_saveexec_b64 s[28:29], vcc
	s_xor_b64 s[34:35], exec, s[28:29]
	s_cbranch_execz .LBB6_20983
; %bb.20966:                            ;   in Loop: Header=BB6_20564 Depth=3
	v_and_b32_e32 v2, 0x7fffffff, v1
	v_mov_b32_e32 v3, v51
	v_cmp_gt_u64_e32 vcc, s[78:79], v[2:3]
	v_and_b32_sdwa v0, v1, s96 dst_sel:DWORD dst_unused:UNUSED_PAD src0_sel:BYTE_3 src1_sel:DWORD
                                        ; implicit-def: $vgpr37
	s_and_saveexec_b64 s[28:29], vcc
	s_xor_b64 s[36:37], exec, s[28:29]
	s_cbranch_execz .LBB6_20980
; %bb.20967:                            ;   in Loop: Header=BB6_20564 Depth=3
	v_cmp_ne_u32_e32 vcc, 0, v1
	v_mov_b32_e32 v37, 0
	s_and_saveexec_b64 s[38:39], vcc
	s_cbranch_execz .LBB6_20979
; %bb.20968:                            ;   in Loop: Header=BB6_20564 Depth=3
	v_and_b32_e32 v3, 0x7fffff, v1
	v_bfe_u32 v1, v1, 23, 8
	v_cmp_gt_u32_e64 s[28:29], s97, v1
	v_sub_u32_e32 v2, 0x79, v1
	v_cmp_eq_u32_e32 vcc, 0, v1
	v_cndmask_b32_e64 v2, 0, v2, s[28:29]
	v_mov_b32_e32 v6, 0x78
	v_or_b32_e32 v5, 0x800000, v3
	v_cndmask_b32_e32 v2, v2, v6, vcc
	v_cndmask_b32_e32 v5, v5, v3, vcc
	v_add_u32_e32 v3, 20, v2
	v_lshlrev_b64 v[14:15], v3, -1
	v_add_u32_e32 v3, 19, v2
	v_lshlrev_b64 v[16:17], v3, 1
	v_mov_b32_e32 v6, v51
	v_bfi_b32 v15, v15, 0, 0
	v_bfi_b32 v14, v14, 0, v5
	v_cmp_eq_u64_e64 s[28:29], v[14:15], v[16:17]
	v_lshrrev_b64 v[14:15], v2, v[5:6]
	v_mov_b32_e32 v16, v15
	v_mov_b32_e32 v15, v14
	s_and_saveexec_b64 s[48:49], s[28:29]
; %bb.20969:                            ;   in Loop: Header=BB6_20564 Depth=3
	v_bfe_u32 v3, v14, 20, 1
	v_add_co_u32_e64 v3, s[28:29], v14, v3
	v_add_co_u32_e64 v15, s[28:29], -1, v3
; %bb.20970:                            ;   in Loop: Header=BB6_20564 Depth=3
	s_or_b64 exec, exec, s[48:49]
	v_add_u32_e32 v1, 0xffffff81, v1
	v_mov_b32_e32 v3, 0xffffff82
	v_cndmask_b32_e32 v1, v1, v3, vcc
	v_lshrrev_b32_e32 v3, 23, v14
	v_add3_u32 v3, v2, v1, v3
	v_add_u32_e32 v2, 6, v3
	v_and_b32_e32 v1, 0xfffff, v15
	v_add_u32_e32 v14, v1, v14
	v_mov_b32_e32 v15, v51
	v_cmp_ne_u32_e32 vcc, 0, v2
                                        ; implicit-def: $vgpr1
	s_and_saveexec_b64 s[28:29], vcc
	s_xor_b64 s[28:29], exec, s[28:29]
; %bb.20971:                            ;   in Loop: Header=BB6_20564 Depth=3
	v_cmp_lt_u64_e32 vcc, s[88:89], v[14:15]
	v_add_u32_e32 v1, 7, v3
	v_cndmask_b32_e32 v1, v2, v1, vcc
	v_cndmask_b32_e64 v2, 0, 1, vcc
	v_lshrrev_b64 v[14:15], v2, v[14:15]
; %bb.20972:                            ;   in Loop: Header=BB6_20564 Depth=3
	s_andn2_saveexec_b64 s[28:29], s[28:29]
; %bb.20973:                            ;   in Loop: Header=BB6_20564 Depth=3
	v_bfe_u32 v1, v14, 23, 1
; %bb.20974:                            ;   in Loop: Header=BB6_20564 Depth=3
	s_or_b64 exec, exec, s[28:29]
	v_lshrrev_b64 v[2:3], 20, v[14:15]
	v_cmp_gt_i32_e32 vcc, 16, v1
	v_cndmask_b32_e32 v15, 0, v3, vcc
	v_cndmask_b32_e32 v14, 7, v2, vcc
	v_cmp_ne_u64_e32 vcc, 0, v[14:15]
	v_cmp_ne_u32_e64 s[28:29], 0, v1
	s_or_b64 s[28:29], s[28:29], vcc
                                        ; implicit-def: $vgpr37
	s_and_saveexec_b64 vcc, s[28:29]
	s_xor_b64 s[28:29], exec, vcc
; %bb.20975:                            ;   in Loop: Header=BB6_20564 Depth=3
	v_min_i32_e32 v1, 15, v1
	v_lshl_or_b32 v0, v1, 3, v0
	v_and_or_b32 v37, v14, 7, v0
                                        ; implicit-def: $vgpr0
; %bb.20976:                            ;   in Loop: Header=BB6_20564 Depth=3
	s_andn2_saveexec_b64 s[28:29], s[28:29]
; %bb.20977:                            ;   in Loop: Header=BB6_20564 Depth=3
	v_mov_b32_e32 v37, v0
; %bb.20978:                            ;   in Loop: Header=BB6_20564 Depth=3
	s_or_b64 exec, exec, s[28:29]
.LBB6_20979:                            ;   in Loop: Header=BB6_20564 Depth=3
	s_or_b64 exec, exec, s[38:39]
                                        ; implicit-def: $vgpr0
.LBB6_20980:                            ;   in Loop: Header=BB6_20564 Depth=3
	s_andn2_saveexec_b64 s[28:29], s[36:37]
; %bb.20981:                            ;   in Loop: Header=BB6_20564 Depth=3
	v_or_b32_e32 v37, 0x7e, v0
; %bb.20982:                            ;   in Loop: Header=BB6_20564 Depth=3
	s_or_b64 exec, exec, s[28:29]
                                        ; implicit-def: $vgpr1
.LBB6_20983:                            ;   in Loop: Header=BB6_20564 Depth=3
	s_andn2_saveexec_b64 s[28:29], s[34:35]
; %bb.20984:                            ;   in Loop: Header=BB6_20564 Depth=3
	v_or_b32_sdwa v37, v1, s86 dst_sel:DWORD dst_unused:UNUSED_PAD src0_sel:BYTE_3 src1_sel:DWORD
; %bb.20985:                            ;   in Loop: Header=BB6_20564 Depth=3
	s_or_b64 exec, exec, s[28:29]
	flat_load_ubyte v0, v[8:9] offset:1024 glc slc
	v_mov_b32_e32 v1, 0
	s_waitcnt vmcnt(0) lgkmcnt(0)
	v_cmp_ne_u16_e32 vcc, 0, v0
	s_and_saveexec_b64 s[28:29], vcc
	s_cbranch_execz .LBB6_20991
; %bb.20986:                            ;   in Loop: Header=BB6_20564 Depth=3
	v_cmp_ne_u16_e32 vcc, s96, v0
	v_bfrev_b32_e32 v1, 1
	s_and_saveexec_b64 s[34:35], vcc
	s_cbranch_execz .LBB6_20990
; %bb.20987:                            ;   in Loop: Header=BB6_20564 Depth=3
	v_and_b32_e32 v14, 0xffff, v0
	v_and_b32_e32 v2, 0x7f, v14
	v_cmp_ne_u32_e32 vcc, s86, v2
	v_mov_b32_e32 v1, 0x7f800001
	s_and_saveexec_b64 s[36:37], vcc
	s_cbranch_execz .LBB6_20989
; %bb.20988:                            ;   in Loop: Header=BB6_20564 Depth=3
	v_and_b32_e32 v3, 7, v14
	v_ffbh_u32_e32 v1, v3
	v_min_u32_e32 v6, 32, v1
	v_subrev_u32_e32 v1, 28, v6
	v_lshrrev_b32_e32 v5, 3, v2
	v_cmp_gt_u32_e32 vcc, 8, v2
	v_lshlrev_b64 v[1:2], v1, v[14:15]
	v_sub_u32_e32 v2, 29, v6
	v_and_b32_e32 v1, 7, v1
	v_cndmask_b32_e32 v2, v5, v2, vcc
	v_cndmask_b32_e32 v1, v3, v1, vcc
	v_lshlrev_b32_e32 v0, 24, v0
	v_bfrev_b32_e32 v3, 60
	v_lshlrev_b32_e32 v1, 20, v1
	v_and_b32_e32 v0, 0x80000000, v0
	v_lshl_add_u32 v2, v2, 23, v3
	v_or3_b32 v1, v0, v2, v1
.LBB6_20989:                            ;   in Loop: Header=BB6_20564 Depth=3
	s_or_b64 exec, exec, s[36:37]
.LBB6_20990:                            ;   in Loop: Header=BB6_20564 Depth=3
	s_or_b64 exec, exec, s[34:35]
.LBB6_20991:                            ;   in Loop: Header=BB6_20564 Depth=3
	s_or_b64 exec, exec, s[28:29]
	v_mul_f32_e32 v1, s9, v1
	v_and_b32_e32 v2, 0x7f800000, v1
	v_mov_b32_e32 v3, v51
	v_cmp_ne_u64_e32 vcc, s[76:77], v[2:3]
                                        ; implicit-def: $vgpr36
	s_and_saveexec_b64 s[28:29], vcc
	s_xor_b64 s[34:35], exec, s[28:29]
	s_cbranch_execz .LBB6_21009
; %bb.20992:                            ;   in Loop: Header=BB6_20564 Depth=3
	v_and_b32_e32 v2, 0x7fffffff, v1
	v_mov_b32_e32 v3, v51
	v_cmp_gt_u64_e32 vcc, s[78:79], v[2:3]
	v_and_b32_sdwa v0, v1, s96 dst_sel:DWORD dst_unused:UNUSED_PAD src0_sel:BYTE_3 src1_sel:DWORD
                                        ; implicit-def: $vgpr36
	s_and_saveexec_b64 s[28:29], vcc
	s_xor_b64 s[36:37], exec, s[28:29]
	s_cbranch_execz .LBB6_21006
; %bb.20993:                            ;   in Loop: Header=BB6_20564 Depth=3
	v_cmp_ne_u32_e32 vcc, 0, v1
	v_mov_b32_e32 v36, 0
	s_and_saveexec_b64 s[38:39], vcc
	s_cbranch_execz .LBB6_21005
; %bb.20994:                            ;   in Loop: Header=BB6_20564 Depth=3
	v_and_b32_e32 v3, 0x7fffff, v1
	v_bfe_u32 v1, v1, 23, 8
	v_cmp_gt_u32_e64 s[28:29], s97, v1
	v_sub_u32_e32 v2, 0x79, v1
	v_cmp_eq_u32_e32 vcc, 0, v1
	v_cndmask_b32_e64 v2, 0, v2, s[28:29]
	v_mov_b32_e32 v6, 0x78
	v_or_b32_e32 v5, 0x800000, v3
	v_cndmask_b32_e32 v2, v2, v6, vcc
	v_cndmask_b32_e32 v5, v5, v3, vcc
	v_add_u32_e32 v3, 20, v2
	v_lshlrev_b64 v[14:15], v3, -1
	v_add_u32_e32 v3, 19, v2
	v_lshlrev_b64 v[16:17], v3, 1
	v_mov_b32_e32 v6, v51
	v_bfi_b32 v15, v15, 0, 0
	v_bfi_b32 v14, v14, 0, v5
	v_cmp_eq_u64_e64 s[28:29], v[14:15], v[16:17]
	v_lshrrev_b64 v[14:15], v2, v[5:6]
	v_mov_b32_e32 v16, v15
	v_mov_b32_e32 v15, v14
	s_and_saveexec_b64 s[48:49], s[28:29]
; %bb.20995:                            ;   in Loop: Header=BB6_20564 Depth=3
	v_bfe_u32 v3, v14, 20, 1
	v_add_co_u32_e64 v3, s[28:29], v14, v3
	v_add_co_u32_e64 v15, s[28:29], -1, v3
; %bb.20996:                            ;   in Loop: Header=BB6_20564 Depth=3
	s_or_b64 exec, exec, s[48:49]
	v_add_u32_e32 v1, 0xffffff81, v1
	v_mov_b32_e32 v3, 0xffffff82
	v_cndmask_b32_e32 v1, v1, v3, vcc
	v_lshrrev_b32_e32 v3, 23, v14
	v_add3_u32 v3, v2, v1, v3
	v_add_u32_e32 v2, 6, v3
	v_and_b32_e32 v1, 0xfffff, v15
	v_add_u32_e32 v14, v1, v14
	v_mov_b32_e32 v15, v51
	v_cmp_ne_u32_e32 vcc, 0, v2
                                        ; implicit-def: $vgpr1
	s_and_saveexec_b64 s[28:29], vcc
	s_xor_b64 s[28:29], exec, s[28:29]
; %bb.20997:                            ;   in Loop: Header=BB6_20564 Depth=3
	v_cmp_lt_u64_e32 vcc, s[88:89], v[14:15]
	v_add_u32_e32 v1, 7, v3
	v_cndmask_b32_e32 v1, v2, v1, vcc
	v_cndmask_b32_e64 v2, 0, 1, vcc
	v_lshrrev_b64 v[14:15], v2, v[14:15]
; %bb.20998:                            ;   in Loop: Header=BB6_20564 Depth=3
	s_andn2_saveexec_b64 s[28:29], s[28:29]
; %bb.20999:                            ;   in Loop: Header=BB6_20564 Depth=3
	v_bfe_u32 v1, v14, 23, 1
; %bb.21000:                            ;   in Loop: Header=BB6_20564 Depth=3
	s_or_b64 exec, exec, s[28:29]
	v_lshrrev_b64 v[2:3], 20, v[14:15]
	v_cmp_gt_i32_e32 vcc, 16, v1
	v_cndmask_b32_e32 v15, 0, v3, vcc
	v_cndmask_b32_e32 v14, 7, v2, vcc
	v_cmp_ne_u64_e32 vcc, 0, v[14:15]
	v_cmp_ne_u32_e64 s[28:29], 0, v1
	s_or_b64 s[28:29], s[28:29], vcc
                                        ; implicit-def: $vgpr36
	s_and_saveexec_b64 vcc, s[28:29]
	s_xor_b64 s[28:29], exec, vcc
; %bb.21001:                            ;   in Loop: Header=BB6_20564 Depth=3
	v_min_i32_e32 v1, 15, v1
	v_lshl_or_b32 v0, v1, 3, v0
	v_and_or_b32 v36, v14, 7, v0
                                        ; implicit-def: $vgpr0
; %bb.21002:                            ;   in Loop: Header=BB6_20564 Depth=3
	s_andn2_saveexec_b64 s[28:29], s[28:29]
; %bb.21003:                            ;   in Loop: Header=BB6_20564 Depth=3
	v_mov_b32_e32 v36, v0
; %bb.21004:                            ;   in Loop: Header=BB6_20564 Depth=3
	s_or_b64 exec, exec, s[28:29]
.LBB6_21005:                            ;   in Loop: Header=BB6_20564 Depth=3
	s_or_b64 exec, exec, s[38:39]
                                        ; implicit-def: $vgpr0
.LBB6_21006:                            ;   in Loop: Header=BB6_20564 Depth=3
	s_andn2_saveexec_b64 s[28:29], s[36:37]
; %bb.21007:                            ;   in Loop: Header=BB6_20564 Depth=3
	v_or_b32_e32 v36, 0x7e, v0
; %bb.21008:                            ;   in Loop: Header=BB6_20564 Depth=3
	s_or_b64 exec, exec, s[28:29]
                                        ; implicit-def: $vgpr1
.LBB6_21009:                            ;   in Loop: Header=BB6_20564 Depth=3
	s_andn2_saveexec_b64 s[28:29], s[34:35]
; %bb.21010:                            ;   in Loop: Header=BB6_20564 Depth=3
	v_or_b32_sdwa v36, v1, s86 dst_sel:DWORD dst_unused:UNUSED_PAD src0_sel:BYTE_3 src1_sel:DWORD
; %bb.21011:                            ;   in Loop: Header=BB6_20564 Depth=3
	s_or_b64 exec, exec, s[28:29]
	flat_load_ubyte v0, v[8:9] offset:1088 glc slc
	v_mov_b32_e32 v1, 0
	s_waitcnt vmcnt(0) lgkmcnt(0)
	v_cmp_ne_u16_e32 vcc, 0, v0
	s_and_saveexec_b64 s[28:29], vcc
	s_cbranch_execz .LBB6_21017
; %bb.21012:                            ;   in Loop: Header=BB6_20564 Depth=3
	v_cmp_ne_u16_e32 vcc, s96, v0
	v_bfrev_b32_e32 v1, 1
	s_and_saveexec_b64 s[34:35], vcc
	s_cbranch_execz .LBB6_21016
; %bb.21013:                            ;   in Loop: Header=BB6_20564 Depth=3
	v_and_b32_e32 v14, 0xffff, v0
	v_and_b32_e32 v2, 0x7f, v14
	v_cmp_ne_u32_e32 vcc, s86, v2
	v_mov_b32_e32 v1, 0x7f800001
	s_and_saveexec_b64 s[36:37], vcc
	s_cbranch_execz .LBB6_21015
; %bb.21014:                            ;   in Loop: Header=BB6_20564 Depth=3
	v_and_b32_e32 v3, 7, v14
	v_ffbh_u32_e32 v1, v3
	v_min_u32_e32 v6, 32, v1
	v_subrev_u32_e32 v1, 28, v6
	v_lshrrev_b32_e32 v5, 3, v2
	v_cmp_gt_u32_e32 vcc, 8, v2
	v_lshlrev_b64 v[1:2], v1, v[14:15]
	v_sub_u32_e32 v2, 29, v6
	v_and_b32_e32 v1, 7, v1
	v_cndmask_b32_e32 v2, v5, v2, vcc
	v_cndmask_b32_e32 v1, v3, v1, vcc
	v_lshlrev_b32_e32 v0, 24, v0
	v_bfrev_b32_e32 v3, 60
	v_lshlrev_b32_e32 v1, 20, v1
	v_and_b32_e32 v0, 0x80000000, v0
	v_lshl_add_u32 v2, v2, 23, v3
	v_or3_b32 v1, v0, v2, v1
.LBB6_21015:                            ;   in Loop: Header=BB6_20564 Depth=3
	s_or_b64 exec, exec, s[36:37]
.LBB6_21016:                            ;   in Loop: Header=BB6_20564 Depth=3
	s_or_b64 exec, exec, s[34:35]
.LBB6_21017:                            ;   in Loop: Header=BB6_20564 Depth=3
	s_or_b64 exec, exec, s[28:29]
	v_mul_f32_e32 v1, s9, v1
	v_and_b32_e32 v2, 0x7f800000, v1
	v_mov_b32_e32 v3, v51
	v_cmp_ne_u64_e32 vcc, s[76:77], v[2:3]
                                        ; implicit-def: $vgpr0
                                        ; kill: killed $vgpr0
	s_and_saveexec_b64 s[28:29], vcc
	s_xor_b64 s[34:35], exec, s[28:29]
	s_cbranch_execz .LBB6_21035
; %bb.21018:                            ;   in Loop: Header=BB6_20564 Depth=3
	v_and_b32_e32 v2, 0x7fffffff, v1
	v_mov_b32_e32 v3, v51
	v_cmp_gt_u64_e32 vcc, s[78:79], v[2:3]
	v_and_b32_sdwa v0, v1, s96 dst_sel:DWORD dst_unused:UNUSED_PAD src0_sel:BYTE_3 src1_sel:DWORD
                                        ; implicit-def: $vgpr2
                                        ; kill: killed $vgpr2
	s_and_saveexec_b64 s[28:29], vcc
	s_xor_b64 s[36:37], exec, s[28:29]
	s_cbranch_execz .LBB6_21032
; %bb.21019:                            ;   in Loop: Header=BB6_20564 Depth=3
	v_cmp_ne_u32_e32 vcc, 0, v1
	v_mov_b32_e32 v2, 0
	buffer_store_dword v2, off, s[0:3], s33 offset:148 ; 4-byte Folded Spill
	s_and_saveexec_b64 s[38:39], vcc
	s_cbranch_execz .LBB6_21031
; %bb.21020:                            ;   in Loop: Header=BB6_20564 Depth=3
	v_and_b32_e32 v3, 0x7fffff, v1
	v_bfe_u32 v1, v1, 23, 8
	v_cmp_gt_u32_e64 s[28:29], s97, v1
	v_sub_u32_e32 v2, 0x79, v1
	v_cmp_eq_u32_e32 vcc, 0, v1
	v_cndmask_b32_e64 v2, 0, v2, s[28:29]
	v_mov_b32_e32 v6, 0x78
	v_or_b32_e32 v5, 0x800000, v3
	v_cndmask_b32_e32 v2, v2, v6, vcc
	v_cndmask_b32_e32 v5, v5, v3, vcc
	v_add_u32_e32 v3, 20, v2
	v_lshlrev_b64 v[14:15], v3, -1
	v_add_u32_e32 v3, 19, v2
	v_lshlrev_b64 v[16:17], v3, 1
	v_mov_b32_e32 v6, v51
	v_bfi_b32 v15, v15, 0, 0
	v_bfi_b32 v14, v14, 0, v5
	v_cmp_eq_u64_e64 s[28:29], v[14:15], v[16:17]
	v_lshrrev_b64 v[14:15], v2, v[5:6]
	v_mov_b32_e32 v16, v15
	v_mov_b32_e32 v15, v14
	s_and_saveexec_b64 s[48:49], s[28:29]
; %bb.21021:                            ;   in Loop: Header=BB6_20564 Depth=3
	v_bfe_u32 v3, v14, 20, 1
	v_add_co_u32_e64 v3, s[28:29], v14, v3
	v_add_co_u32_e64 v15, s[28:29], -1, v3
; %bb.21022:                            ;   in Loop: Header=BB6_20564 Depth=3
	s_or_b64 exec, exec, s[48:49]
	v_add_u32_e32 v1, 0xffffff81, v1
	v_mov_b32_e32 v3, 0xffffff82
	v_cndmask_b32_e32 v1, v1, v3, vcc
	v_lshrrev_b32_e32 v3, 23, v14
	v_add3_u32 v3, v2, v1, v3
	v_add_u32_e32 v2, 6, v3
	v_and_b32_e32 v1, 0xfffff, v15
	v_add_u32_e32 v14, v1, v14
	v_mov_b32_e32 v15, v51
	v_cmp_ne_u32_e32 vcc, 0, v2
                                        ; implicit-def: $vgpr1
	s_and_saveexec_b64 s[28:29], vcc
	s_xor_b64 s[28:29], exec, s[28:29]
; %bb.21023:                            ;   in Loop: Header=BB6_20564 Depth=3
	v_cmp_lt_u64_e32 vcc, s[88:89], v[14:15]
	v_add_u32_e32 v1, 7, v3
	v_cndmask_b32_e32 v1, v2, v1, vcc
	v_cndmask_b32_e64 v2, 0, 1, vcc
	v_lshrrev_b64 v[14:15], v2, v[14:15]
; %bb.21024:                            ;   in Loop: Header=BB6_20564 Depth=3
	s_andn2_saveexec_b64 s[28:29], s[28:29]
; %bb.21025:                            ;   in Loop: Header=BB6_20564 Depth=3
	v_bfe_u32 v1, v14, 23, 1
; %bb.21026:                            ;   in Loop: Header=BB6_20564 Depth=3
	s_or_b64 exec, exec, s[28:29]
	v_lshrrev_b64 v[2:3], 20, v[14:15]
	v_cmp_gt_i32_e32 vcc, 16, v1
	v_cndmask_b32_e32 v15, 0, v3, vcc
	v_cndmask_b32_e32 v14, 7, v2, vcc
	v_cmp_ne_u64_e32 vcc, 0, v[14:15]
	v_cmp_ne_u32_e64 s[28:29], 0, v1
	s_or_b64 s[28:29], s[28:29], vcc
                                        ; implicit-def: $vgpr2
                                        ; kill: killed $vgpr2
	s_and_saveexec_b64 vcc, s[28:29]
	s_xor_b64 s[28:29], exec, vcc
	s_cbranch_execz .LBB6_21028
; %bb.21027:                            ;   in Loop: Header=BB6_20564 Depth=3
	v_min_i32_e32 v1, 15, v1
	v_lshl_or_b32 v0, v1, 3, v0
	v_and_or_b32 v0, v14, 7, v0
	buffer_store_dword v0, off, s[0:3], s33 offset:148 ; 4-byte Folded Spill
                                        ; implicit-def: $vgpr0
.LBB6_21028:                            ;   in Loop: Header=BB6_20564 Depth=3
	s_andn2_saveexec_b64 s[28:29], s[28:29]
	s_cbranch_execz .LBB6_21030
; %bb.21029:                            ;   in Loop: Header=BB6_20564 Depth=3
	buffer_store_dword v0, off, s[0:3], s33 offset:148 ; 4-byte Folded Spill
.LBB6_21030:                            ;   in Loop: Header=BB6_20564 Depth=3
	s_or_b64 exec, exec, s[28:29]
.LBB6_21031:                            ;   in Loop: Header=BB6_20564 Depth=3
	s_or_b64 exec, exec, s[38:39]
                                        ; implicit-def: $vgpr0
.LBB6_21032:                            ;   in Loop: Header=BB6_20564 Depth=3
	s_andn2_saveexec_b64 s[28:29], s[36:37]
	s_cbranch_execz .LBB6_21034
; %bb.21033:                            ;   in Loop: Header=BB6_20564 Depth=3
	v_or_b32_e32 v0, 0x7e, v0
	buffer_store_dword v0, off, s[0:3], s33 offset:148 ; 4-byte Folded Spill
.LBB6_21034:                            ;   in Loop: Header=BB6_20564 Depth=3
	s_or_b64 exec, exec, s[28:29]
                                        ; implicit-def: $vgpr1
.LBB6_21035:                            ;   in Loop: Header=BB6_20564 Depth=3
	s_andn2_saveexec_b64 s[28:29], s[34:35]
	s_cbranch_execz .LBB6_21037
; %bb.21036:                            ;   in Loop: Header=BB6_20564 Depth=3
	v_or_b32_sdwa v0, v1, s86 dst_sel:DWORD dst_unused:UNUSED_PAD src0_sel:BYTE_3 src1_sel:DWORD
	buffer_store_dword v0, off, s[0:3], s33 offset:148 ; 4-byte Folded Spill
.LBB6_21037:                            ;   in Loop: Header=BB6_20564 Depth=3
	s_or_b64 exec, exec, s[28:29]
	flat_load_ubyte v0, v[8:9] offset:1152 glc slc
	v_mov_b32_e32 v1, 0
	s_waitcnt vmcnt(0) lgkmcnt(0)
	v_cmp_ne_u16_e32 vcc, 0, v0
	s_and_saveexec_b64 s[28:29], vcc
	s_cbranch_execz .LBB6_21043
; %bb.21038:                            ;   in Loop: Header=BB6_20564 Depth=3
	v_cmp_ne_u16_e32 vcc, s96, v0
	v_bfrev_b32_e32 v1, 1
	s_and_saveexec_b64 s[34:35], vcc
	s_cbranch_execz .LBB6_21042
; %bb.21039:                            ;   in Loop: Header=BB6_20564 Depth=3
	v_and_b32_e32 v14, 0xffff, v0
	v_and_b32_e32 v2, 0x7f, v14
	v_cmp_ne_u32_e32 vcc, s86, v2
	v_mov_b32_e32 v1, 0x7f800001
	s_and_saveexec_b64 s[36:37], vcc
	s_cbranch_execz .LBB6_21041
; %bb.21040:                            ;   in Loop: Header=BB6_20564 Depth=3
	v_and_b32_e32 v3, 7, v14
	v_ffbh_u32_e32 v1, v3
	v_min_u32_e32 v6, 32, v1
	v_subrev_u32_e32 v1, 28, v6
	v_lshrrev_b32_e32 v5, 3, v2
	v_cmp_gt_u32_e32 vcc, 8, v2
	v_lshlrev_b64 v[1:2], v1, v[14:15]
	v_sub_u32_e32 v2, 29, v6
	v_and_b32_e32 v1, 7, v1
	v_cndmask_b32_e32 v2, v5, v2, vcc
	v_cndmask_b32_e32 v1, v3, v1, vcc
	v_lshlrev_b32_e32 v0, 24, v0
	v_bfrev_b32_e32 v3, 60
	v_lshlrev_b32_e32 v1, 20, v1
	v_and_b32_e32 v0, 0x80000000, v0
	v_lshl_add_u32 v2, v2, 23, v3
	v_or3_b32 v1, v0, v2, v1
.LBB6_21041:                            ;   in Loop: Header=BB6_20564 Depth=3
	s_or_b64 exec, exec, s[36:37]
.LBB6_21042:                            ;   in Loop: Header=BB6_20564 Depth=3
	s_or_b64 exec, exec, s[34:35]
.LBB6_21043:                            ;   in Loop: Header=BB6_20564 Depth=3
	s_or_b64 exec, exec, s[28:29]
	v_mul_f32_e32 v1, s9, v1
	v_and_b32_e32 v2, 0x7f800000, v1
	v_mov_b32_e32 v3, v51
	v_cmp_ne_u64_e32 vcc, s[76:77], v[2:3]
                                        ; implicit-def: $vgpr0
                                        ; kill: killed $vgpr0
	s_and_saveexec_b64 s[28:29], vcc
	s_xor_b64 s[34:35], exec, s[28:29]
	s_cbranch_execz .LBB6_21061
; %bb.21044:                            ;   in Loop: Header=BB6_20564 Depth=3
	v_and_b32_e32 v2, 0x7fffffff, v1
	v_mov_b32_e32 v3, v51
	v_cmp_gt_u64_e32 vcc, s[78:79], v[2:3]
	v_and_b32_sdwa v0, v1, s96 dst_sel:DWORD dst_unused:UNUSED_PAD src0_sel:BYTE_3 src1_sel:DWORD
                                        ; implicit-def: $vgpr2
                                        ; kill: killed $vgpr2
	s_and_saveexec_b64 s[28:29], vcc
	s_xor_b64 s[36:37], exec, s[28:29]
	s_cbranch_execz .LBB6_21058
; %bb.21045:                            ;   in Loop: Header=BB6_20564 Depth=3
	v_cmp_ne_u32_e32 vcc, 0, v1
	v_mov_b32_e32 v2, 0
	buffer_store_dword v2, off, s[0:3], s33 offset:144 ; 4-byte Folded Spill
	s_and_saveexec_b64 s[38:39], vcc
	s_cbranch_execz .LBB6_21057
; %bb.21046:                            ;   in Loop: Header=BB6_20564 Depth=3
	v_and_b32_e32 v3, 0x7fffff, v1
	v_bfe_u32 v1, v1, 23, 8
	v_cmp_gt_u32_e64 s[28:29], s97, v1
	v_sub_u32_e32 v2, 0x79, v1
	v_cmp_eq_u32_e32 vcc, 0, v1
	v_cndmask_b32_e64 v2, 0, v2, s[28:29]
	v_mov_b32_e32 v6, 0x78
	v_or_b32_e32 v5, 0x800000, v3
	v_cndmask_b32_e32 v2, v2, v6, vcc
	v_cndmask_b32_e32 v5, v5, v3, vcc
	v_add_u32_e32 v3, 20, v2
	v_lshlrev_b64 v[14:15], v3, -1
	v_add_u32_e32 v3, 19, v2
	v_lshlrev_b64 v[16:17], v3, 1
	v_mov_b32_e32 v6, v51
	v_bfi_b32 v15, v15, 0, 0
	v_bfi_b32 v14, v14, 0, v5
	v_cmp_eq_u64_e64 s[28:29], v[14:15], v[16:17]
	v_lshrrev_b64 v[14:15], v2, v[5:6]
	v_mov_b32_e32 v16, v15
	v_mov_b32_e32 v15, v14
	s_and_saveexec_b64 s[48:49], s[28:29]
; %bb.21047:                            ;   in Loop: Header=BB6_20564 Depth=3
	v_bfe_u32 v3, v14, 20, 1
	v_add_co_u32_e64 v3, s[28:29], v14, v3
	v_add_co_u32_e64 v15, s[28:29], -1, v3
; %bb.21048:                            ;   in Loop: Header=BB6_20564 Depth=3
	s_or_b64 exec, exec, s[48:49]
	v_add_u32_e32 v1, 0xffffff81, v1
	v_mov_b32_e32 v3, 0xffffff82
	v_cndmask_b32_e32 v1, v1, v3, vcc
	v_lshrrev_b32_e32 v3, 23, v14
	v_add3_u32 v3, v2, v1, v3
	v_add_u32_e32 v2, 6, v3
	v_and_b32_e32 v1, 0xfffff, v15
	v_add_u32_e32 v14, v1, v14
	v_mov_b32_e32 v15, v51
	v_cmp_ne_u32_e32 vcc, 0, v2
                                        ; implicit-def: $vgpr1
	s_and_saveexec_b64 s[28:29], vcc
	s_xor_b64 s[28:29], exec, s[28:29]
; %bb.21049:                            ;   in Loop: Header=BB6_20564 Depth=3
	v_cmp_lt_u64_e32 vcc, s[88:89], v[14:15]
	v_add_u32_e32 v1, 7, v3
	v_cndmask_b32_e32 v1, v2, v1, vcc
	v_cndmask_b32_e64 v2, 0, 1, vcc
	v_lshrrev_b64 v[14:15], v2, v[14:15]
; %bb.21050:                            ;   in Loop: Header=BB6_20564 Depth=3
	s_andn2_saveexec_b64 s[28:29], s[28:29]
; %bb.21051:                            ;   in Loop: Header=BB6_20564 Depth=3
	v_bfe_u32 v1, v14, 23, 1
; %bb.21052:                            ;   in Loop: Header=BB6_20564 Depth=3
	s_or_b64 exec, exec, s[28:29]
	v_lshrrev_b64 v[2:3], 20, v[14:15]
	v_cmp_gt_i32_e32 vcc, 16, v1
	v_cndmask_b32_e32 v15, 0, v3, vcc
	v_cndmask_b32_e32 v14, 7, v2, vcc
	v_cmp_ne_u64_e32 vcc, 0, v[14:15]
	v_cmp_ne_u32_e64 s[28:29], 0, v1
	s_or_b64 s[28:29], s[28:29], vcc
                                        ; implicit-def: $vgpr2
                                        ; kill: killed $vgpr2
	s_and_saveexec_b64 vcc, s[28:29]
	s_xor_b64 s[28:29], exec, vcc
	s_cbranch_execz .LBB6_21054
; %bb.21053:                            ;   in Loop: Header=BB6_20564 Depth=3
	v_min_i32_e32 v1, 15, v1
	v_lshl_or_b32 v0, v1, 3, v0
	v_and_or_b32 v0, v14, 7, v0
	buffer_store_dword v0, off, s[0:3], s33 offset:144 ; 4-byte Folded Spill
                                        ; implicit-def: $vgpr0
.LBB6_21054:                            ;   in Loop: Header=BB6_20564 Depth=3
	s_andn2_saveexec_b64 s[28:29], s[28:29]
	s_cbranch_execz .LBB6_21056
; %bb.21055:                            ;   in Loop: Header=BB6_20564 Depth=3
	buffer_store_dword v0, off, s[0:3], s33 offset:144 ; 4-byte Folded Spill
.LBB6_21056:                            ;   in Loop: Header=BB6_20564 Depth=3
	s_or_b64 exec, exec, s[28:29]
.LBB6_21057:                            ;   in Loop: Header=BB6_20564 Depth=3
	s_or_b64 exec, exec, s[38:39]
                                        ; implicit-def: $vgpr0
.LBB6_21058:                            ;   in Loop: Header=BB6_20564 Depth=3
	s_andn2_saveexec_b64 s[28:29], s[36:37]
	s_cbranch_execz .LBB6_21060
; %bb.21059:                            ;   in Loop: Header=BB6_20564 Depth=3
	v_or_b32_e32 v0, 0x7e, v0
	buffer_store_dword v0, off, s[0:3], s33 offset:144 ; 4-byte Folded Spill
.LBB6_21060:                            ;   in Loop: Header=BB6_20564 Depth=3
	s_or_b64 exec, exec, s[28:29]
                                        ; implicit-def: $vgpr1
.LBB6_21061:                            ;   in Loop: Header=BB6_20564 Depth=3
	s_andn2_saveexec_b64 s[28:29], s[34:35]
	s_cbranch_execz .LBB6_21063
; %bb.21062:                            ;   in Loop: Header=BB6_20564 Depth=3
	v_or_b32_sdwa v0, v1, s86 dst_sel:DWORD dst_unused:UNUSED_PAD src0_sel:BYTE_3 src1_sel:DWORD
	buffer_store_dword v0, off, s[0:3], s33 offset:144 ; 4-byte Folded Spill
.LBB6_21063:                            ;   in Loop: Header=BB6_20564 Depth=3
	s_or_b64 exec, exec, s[28:29]
	flat_load_ubyte v0, v[8:9] offset:1216 glc slc
	v_mov_b32_e32 v1, 0
	s_waitcnt vmcnt(0) lgkmcnt(0)
	v_cmp_ne_u16_e32 vcc, 0, v0
	s_and_saveexec_b64 s[28:29], vcc
	s_cbranch_execz .LBB6_21069
; %bb.21064:                            ;   in Loop: Header=BB6_20564 Depth=3
	v_cmp_ne_u16_e32 vcc, s96, v0
	v_bfrev_b32_e32 v1, 1
	s_and_saveexec_b64 s[34:35], vcc
	s_cbranch_execz .LBB6_21068
; %bb.21065:                            ;   in Loop: Header=BB6_20564 Depth=3
	v_and_b32_e32 v14, 0xffff, v0
	v_and_b32_e32 v2, 0x7f, v14
	v_cmp_ne_u32_e32 vcc, s86, v2
	v_mov_b32_e32 v1, 0x7f800001
	s_and_saveexec_b64 s[36:37], vcc
	s_cbranch_execz .LBB6_21067
; %bb.21066:                            ;   in Loop: Header=BB6_20564 Depth=3
	v_and_b32_e32 v3, 7, v14
	v_ffbh_u32_e32 v1, v3
	v_min_u32_e32 v6, 32, v1
	v_subrev_u32_e32 v1, 28, v6
	v_lshrrev_b32_e32 v5, 3, v2
	v_cmp_gt_u32_e32 vcc, 8, v2
	v_lshlrev_b64 v[1:2], v1, v[14:15]
	v_sub_u32_e32 v2, 29, v6
	v_and_b32_e32 v1, 7, v1
	v_cndmask_b32_e32 v2, v5, v2, vcc
	v_cndmask_b32_e32 v1, v3, v1, vcc
	v_lshlrev_b32_e32 v0, 24, v0
	v_bfrev_b32_e32 v3, 60
	v_lshlrev_b32_e32 v1, 20, v1
	v_and_b32_e32 v0, 0x80000000, v0
	v_lshl_add_u32 v2, v2, 23, v3
	v_or3_b32 v1, v0, v2, v1
.LBB6_21067:                            ;   in Loop: Header=BB6_20564 Depth=3
	s_or_b64 exec, exec, s[36:37]
.LBB6_21068:                            ;   in Loop: Header=BB6_20564 Depth=3
	s_or_b64 exec, exec, s[34:35]
.LBB6_21069:                            ;   in Loop: Header=BB6_20564 Depth=3
	s_or_b64 exec, exec, s[28:29]
	v_mul_f32_e32 v1, s9, v1
	v_and_b32_e32 v2, 0x7f800000, v1
	v_mov_b32_e32 v3, v51
	v_cmp_ne_u64_e32 vcc, s[76:77], v[2:3]
                                        ; implicit-def: $vgpr0
                                        ; kill: killed $vgpr0
	s_and_saveexec_b64 s[28:29], vcc
	s_xor_b64 s[34:35], exec, s[28:29]
	s_cbranch_execz .LBB6_21087
; %bb.21070:                            ;   in Loop: Header=BB6_20564 Depth=3
	v_and_b32_e32 v2, 0x7fffffff, v1
	v_mov_b32_e32 v3, v51
	v_cmp_gt_u64_e32 vcc, s[78:79], v[2:3]
	v_and_b32_sdwa v0, v1, s96 dst_sel:DWORD dst_unused:UNUSED_PAD src0_sel:BYTE_3 src1_sel:DWORD
                                        ; implicit-def: $vgpr2
                                        ; kill: killed $vgpr2
	s_and_saveexec_b64 s[28:29], vcc
	s_xor_b64 s[36:37], exec, s[28:29]
	s_cbranch_execz .LBB6_21084
; %bb.21071:                            ;   in Loop: Header=BB6_20564 Depth=3
	v_cmp_ne_u32_e32 vcc, 0, v1
	v_mov_b32_e32 v2, 0
	buffer_store_dword v2, off, s[0:3], s33 offset:140 ; 4-byte Folded Spill
	s_and_saveexec_b64 s[38:39], vcc
	s_cbranch_execz .LBB6_21083
; %bb.21072:                            ;   in Loop: Header=BB6_20564 Depth=3
	v_and_b32_e32 v3, 0x7fffff, v1
	v_bfe_u32 v1, v1, 23, 8
	v_cmp_gt_u32_e64 s[28:29], s97, v1
	v_sub_u32_e32 v2, 0x79, v1
	v_cmp_eq_u32_e32 vcc, 0, v1
	v_cndmask_b32_e64 v2, 0, v2, s[28:29]
	v_mov_b32_e32 v6, 0x78
	v_or_b32_e32 v5, 0x800000, v3
	v_cndmask_b32_e32 v2, v2, v6, vcc
	v_cndmask_b32_e32 v5, v5, v3, vcc
	v_add_u32_e32 v3, 20, v2
	v_lshlrev_b64 v[14:15], v3, -1
	v_add_u32_e32 v3, 19, v2
	v_lshlrev_b64 v[16:17], v3, 1
	v_mov_b32_e32 v6, v51
	v_bfi_b32 v15, v15, 0, 0
	v_bfi_b32 v14, v14, 0, v5
	v_cmp_eq_u64_e64 s[28:29], v[14:15], v[16:17]
	v_lshrrev_b64 v[14:15], v2, v[5:6]
	v_mov_b32_e32 v16, v15
	v_mov_b32_e32 v15, v14
	s_and_saveexec_b64 s[48:49], s[28:29]
; %bb.21073:                            ;   in Loop: Header=BB6_20564 Depth=3
	v_bfe_u32 v3, v14, 20, 1
	v_add_co_u32_e64 v3, s[28:29], v14, v3
	v_add_co_u32_e64 v15, s[28:29], -1, v3
; %bb.21074:                            ;   in Loop: Header=BB6_20564 Depth=3
	s_or_b64 exec, exec, s[48:49]
	v_add_u32_e32 v1, 0xffffff81, v1
	v_mov_b32_e32 v3, 0xffffff82
	v_cndmask_b32_e32 v1, v1, v3, vcc
	v_lshrrev_b32_e32 v3, 23, v14
	v_add3_u32 v3, v2, v1, v3
	v_add_u32_e32 v2, 6, v3
	v_and_b32_e32 v1, 0xfffff, v15
	v_add_u32_e32 v14, v1, v14
	v_mov_b32_e32 v15, v51
	v_cmp_ne_u32_e32 vcc, 0, v2
                                        ; implicit-def: $vgpr1
	s_and_saveexec_b64 s[28:29], vcc
	s_xor_b64 s[28:29], exec, s[28:29]
; %bb.21075:                            ;   in Loop: Header=BB6_20564 Depth=3
	v_cmp_lt_u64_e32 vcc, s[88:89], v[14:15]
	v_add_u32_e32 v1, 7, v3
	v_cndmask_b32_e32 v1, v2, v1, vcc
	v_cndmask_b32_e64 v2, 0, 1, vcc
	v_lshrrev_b64 v[14:15], v2, v[14:15]
; %bb.21076:                            ;   in Loop: Header=BB6_20564 Depth=3
	s_andn2_saveexec_b64 s[28:29], s[28:29]
; %bb.21077:                            ;   in Loop: Header=BB6_20564 Depth=3
	v_bfe_u32 v1, v14, 23, 1
; %bb.21078:                            ;   in Loop: Header=BB6_20564 Depth=3
	s_or_b64 exec, exec, s[28:29]
	v_lshrrev_b64 v[2:3], 20, v[14:15]
	v_cmp_gt_i32_e32 vcc, 16, v1
	v_cndmask_b32_e32 v15, 0, v3, vcc
	v_cndmask_b32_e32 v14, 7, v2, vcc
	v_cmp_ne_u64_e32 vcc, 0, v[14:15]
	v_cmp_ne_u32_e64 s[28:29], 0, v1
	s_or_b64 s[28:29], s[28:29], vcc
                                        ; implicit-def: $vgpr2
                                        ; kill: killed $vgpr2
	s_and_saveexec_b64 vcc, s[28:29]
	s_xor_b64 s[28:29], exec, vcc
	s_cbranch_execz .LBB6_21080
; %bb.21079:                            ;   in Loop: Header=BB6_20564 Depth=3
	v_min_i32_e32 v1, 15, v1
	v_lshl_or_b32 v0, v1, 3, v0
	v_and_or_b32 v0, v14, 7, v0
	buffer_store_dword v0, off, s[0:3], s33 offset:140 ; 4-byte Folded Spill
                                        ; implicit-def: $vgpr0
.LBB6_21080:                            ;   in Loop: Header=BB6_20564 Depth=3
	s_andn2_saveexec_b64 s[28:29], s[28:29]
	s_cbranch_execz .LBB6_21082
; %bb.21081:                            ;   in Loop: Header=BB6_20564 Depth=3
	buffer_store_dword v0, off, s[0:3], s33 offset:140 ; 4-byte Folded Spill
.LBB6_21082:                            ;   in Loop: Header=BB6_20564 Depth=3
	s_or_b64 exec, exec, s[28:29]
.LBB6_21083:                            ;   in Loop: Header=BB6_20564 Depth=3
	s_or_b64 exec, exec, s[38:39]
                                        ; implicit-def: $vgpr0
.LBB6_21084:                            ;   in Loop: Header=BB6_20564 Depth=3
	s_andn2_saveexec_b64 s[28:29], s[36:37]
	s_cbranch_execz .LBB6_21086
; %bb.21085:                            ;   in Loop: Header=BB6_20564 Depth=3
	v_or_b32_e32 v0, 0x7e, v0
	buffer_store_dword v0, off, s[0:3], s33 offset:140 ; 4-byte Folded Spill
.LBB6_21086:                            ;   in Loop: Header=BB6_20564 Depth=3
	s_or_b64 exec, exec, s[28:29]
                                        ; implicit-def: $vgpr1
.LBB6_21087:                            ;   in Loop: Header=BB6_20564 Depth=3
	s_andn2_saveexec_b64 s[28:29], s[34:35]
	s_cbranch_execz .LBB6_21089
; %bb.21088:                            ;   in Loop: Header=BB6_20564 Depth=3
	v_or_b32_sdwa v0, v1, s86 dst_sel:DWORD dst_unused:UNUSED_PAD src0_sel:BYTE_3 src1_sel:DWORD
	buffer_store_dword v0, off, s[0:3], s33 offset:140 ; 4-byte Folded Spill
.LBB6_21089:                            ;   in Loop: Header=BB6_20564 Depth=3
	s_or_b64 exec, exec, s[28:29]
	flat_load_ubyte v0, v[8:9] offset:1280 glc slc
	v_mov_b32_e32 v1, 0
	s_waitcnt vmcnt(0) lgkmcnt(0)
	v_cmp_ne_u16_e32 vcc, 0, v0
	s_and_saveexec_b64 s[28:29], vcc
	s_cbranch_execz .LBB6_21095
; %bb.21090:                            ;   in Loop: Header=BB6_20564 Depth=3
	v_cmp_ne_u16_e32 vcc, s96, v0
	v_bfrev_b32_e32 v1, 1
	s_and_saveexec_b64 s[34:35], vcc
	s_cbranch_execz .LBB6_21094
; %bb.21091:                            ;   in Loop: Header=BB6_20564 Depth=3
	v_and_b32_e32 v14, 0xffff, v0
	v_and_b32_e32 v2, 0x7f, v14
	v_cmp_ne_u32_e32 vcc, s86, v2
	v_mov_b32_e32 v1, 0x7f800001
	s_and_saveexec_b64 s[36:37], vcc
	s_cbranch_execz .LBB6_21093
; %bb.21092:                            ;   in Loop: Header=BB6_20564 Depth=3
	v_and_b32_e32 v3, 7, v14
	v_ffbh_u32_e32 v1, v3
	v_min_u32_e32 v6, 32, v1
	v_subrev_u32_e32 v1, 28, v6
	v_lshrrev_b32_e32 v5, 3, v2
	v_cmp_gt_u32_e32 vcc, 8, v2
	v_lshlrev_b64 v[1:2], v1, v[14:15]
	v_sub_u32_e32 v2, 29, v6
	v_and_b32_e32 v1, 7, v1
	v_cndmask_b32_e32 v2, v5, v2, vcc
	v_cndmask_b32_e32 v1, v3, v1, vcc
	v_lshlrev_b32_e32 v0, 24, v0
	v_bfrev_b32_e32 v3, 60
	v_lshlrev_b32_e32 v1, 20, v1
	v_and_b32_e32 v0, 0x80000000, v0
	v_lshl_add_u32 v2, v2, 23, v3
	v_or3_b32 v1, v0, v2, v1
.LBB6_21093:                            ;   in Loop: Header=BB6_20564 Depth=3
	s_or_b64 exec, exec, s[36:37]
.LBB6_21094:                            ;   in Loop: Header=BB6_20564 Depth=3
	s_or_b64 exec, exec, s[34:35]
.LBB6_21095:                            ;   in Loop: Header=BB6_20564 Depth=3
	s_or_b64 exec, exec, s[28:29]
	v_mul_f32_e32 v1, s9, v1
	v_and_b32_e32 v2, 0x7f800000, v1
	v_mov_b32_e32 v3, v51
	v_cmp_ne_u64_e32 vcc, s[76:77], v[2:3]
                                        ; implicit-def: $vgpr0
                                        ; kill: killed $vgpr0
	s_and_saveexec_b64 s[28:29], vcc
	s_xor_b64 s[34:35], exec, s[28:29]
	s_cbranch_execz .LBB6_21113
; %bb.21096:                            ;   in Loop: Header=BB6_20564 Depth=3
	v_and_b32_e32 v2, 0x7fffffff, v1
	v_mov_b32_e32 v3, v51
	v_cmp_gt_u64_e32 vcc, s[78:79], v[2:3]
	v_and_b32_sdwa v0, v1, s96 dst_sel:DWORD dst_unused:UNUSED_PAD src0_sel:BYTE_3 src1_sel:DWORD
                                        ; implicit-def: $vgpr2
                                        ; kill: killed $vgpr2
	s_and_saveexec_b64 s[28:29], vcc
	s_xor_b64 s[36:37], exec, s[28:29]
	s_cbranch_execz .LBB6_21110
; %bb.21097:                            ;   in Loop: Header=BB6_20564 Depth=3
	v_cmp_ne_u32_e32 vcc, 0, v1
	v_mov_b32_e32 v2, 0
	buffer_store_dword v2, off, s[0:3], s33 offset:136 ; 4-byte Folded Spill
	s_and_saveexec_b64 s[38:39], vcc
	s_cbranch_execz .LBB6_21109
; %bb.21098:                            ;   in Loop: Header=BB6_20564 Depth=3
	v_and_b32_e32 v3, 0x7fffff, v1
	v_bfe_u32 v1, v1, 23, 8
	v_cmp_gt_u32_e64 s[28:29], s97, v1
	v_sub_u32_e32 v2, 0x79, v1
	v_cmp_eq_u32_e32 vcc, 0, v1
	v_cndmask_b32_e64 v2, 0, v2, s[28:29]
	v_mov_b32_e32 v6, 0x78
	v_or_b32_e32 v5, 0x800000, v3
	v_cndmask_b32_e32 v2, v2, v6, vcc
	v_cndmask_b32_e32 v5, v5, v3, vcc
	v_add_u32_e32 v3, 20, v2
	v_lshlrev_b64 v[14:15], v3, -1
	v_add_u32_e32 v3, 19, v2
	v_lshlrev_b64 v[16:17], v3, 1
	v_mov_b32_e32 v6, v51
	v_bfi_b32 v15, v15, 0, 0
	v_bfi_b32 v14, v14, 0, v5
	v_cmp_eq_u64_e64 s[28:29], v[14:15], v[16:17]
	v_lshrrev_b64 v[14:15], v2, v[5:6]
	v_mov_b32_e32 v16, v15
	v_mov_b32_e32 v15, v14
	s_and_saveexec_b64 s[48:49], s[28:29]
; %bb.21099:                            ;   in Loop: Header=BB6_20564 Depth=3
	v_bfe_u32 v3, v14, 20, 1
	v_add_co_u32_e64 v3, s[28:29], v14, v3
	v_add_co_u32_e64 v15, s[28:29], -1, v3
; %bb.21100:                            ;   in Loop: Header=BB6_20564 Depth=3
	s_or_b64 exec, exec, s[48:49]
	v_add_u32_e32 v1, 0xffffff81, v1
	v_mov_b32_e32 v3, 0xffffff82
	v_cndmask_b32_e32 v1, v1, v3, vcc
	v_lshrrev_b32_e32 v3, 23, v14
	v_add3_u32 v3, v2, v1, v3
	v_add_u32_e32 v2, 6, v3
	v_and_b32_e32 v1, 0xfffff, v15
	v_add_u32_e32 v14, v1, v14
	v_mov_b32_e32 v15, v51
	v_cmp_ne_u32_e32 vcc, 0, v2
                                        ; implicit-def: $vgpr1
	s_and_saveexec_b64 s[28:29], vcc
	s_xor_b64 s[28:29], exec, s[28:29]
; %bb.21101:                            ;   in Loop: Header=BB6_20564 Depth=3
	v_cmp_lt_u64_e32 vcc, s[88:89], v[14:15]
	v_add_u32_e32 v1, 7, v3
	v_cndmask_b32_e32 v1, v2, v1, vcc
	v_cndmask_b32_e64 v2, 0, 1, vcc
	v_lshrrev_b64 v[14:15], v2, v[14:15]
; %bb.21102:                            ;   in Loop: Header=BB6_20564 Depth=3
	s_andn2_saveexec_b64 s[28:29], s[28:29]
; %bb.21103:                            ;   in Loop: Header=BB6_20564 Depth=3
	v_bfe_u32 v1, v14, 23, 1
; %bb.21104:                            ;   in Loop: Header=BB6_20564 Depth=3
	s_or_b64 exec, exec, s[28:29]
	v_lshrrev_b64 v[2:3], 20, v[14:15]
	v_cmp_gt_i32_e32 vcc, 16, v1
	v_cndmask_b32_e32 v15, 0, v3, vcc
	v_cndmask_b32_e32 v14, 7, v2, vcc
	v_cmp_ne_u64_e32 vcc, 0, v[14:15]
	v_cmp_ne_u32_e64 s[28:29], 0, v1
	s_or_b64 s[28:29], s[28:29], vcc
                                        ; implicit-def: $vgpr2
                                        ; kill: killed $vgpr2
	s_and_saveexec_b64 vcc, s[28:29]
	s_xor_b64 s[28:29], exec, vcc
	s_cbranch_execz .LBB6_21106
; %bb.21105:                            ;   in Loop: Header=BB6_20564 Depth=3
	v_min_i32_e32 v1, 15, v1
	v_lshl_or_b32 v0, v1, 3, v0
	v_and_or_b32 v0, v14, 7, v0
	buffer_store_dword v0, off, s[0:3], s33 offset:136 ; 4-byte Folded Spill
                                        ; implicit-def: $vgpr0
.LBB6_21106:                            ;   in Loop: Header=BB6_20564 Depth=3
	s_andn2_saveexec_b64 s[28:29], s[28:29]
	s_cbranch_execz .LBB6_21108
; %bb.21107:                            ;   in Loop: Header=BB6_20564 Depth=3
	buffer_store_dword v0, off, s[0:3], s33 offset:136 ; 4-byte Folded Spill
.LBB6_21108:                            ;   in Loop: Header=BB6_20564 Depth=3
	s_or_b64 exec, exec, s[28:29]
.LBB6_21109:                            ;   in Loop: Header=BB6_20564 Depth=3
	s_or_b64 exec, exec, s[38:39]
                                        ; implicit-def: $vgpr0
.LBB6_21110:                            ;   in Loop: Header=BB6_20564 Depth=3
	s_andn2_saveexec_b64 s[28:29], s[36:37]
	s_cbranch_execz .LBB6_21112
; %bb.21111:                            ;   in Loop: Header=BB6_20564 Depth=3
	v_or_b32_e32 v0, 0x7e, v0
	buffer_store_dword v0, off, s[0:3], s33 offset:136 ; 4-byte Folded Spill
.LBB6_21112:                            ;   in Loop: Header=BB6_20564 Depth=3
	s_or_b64 exec, exec, s[28:29]
                                        ; implicit-def: $vgpr1
.LBB6_21113:                            ;   in Loop: Header=BB6_20564 Depth=3
	s_andn2_saveexec_b64 s[28:29], s[34:35]
	s_cbranch_execz .LBB6_21115
; %bb.21114:                            ;   in Loop: Header=BB6_20564 Depth=3
	v_or_b32_sdwa v0, v1, s86 dst_sel:DWORD dst_unused:UNUSED_PAD src0_sel:BYTE_3 src1_sel:DWORD
	buffer_store_dword v0, off, s[0:3], s33 offset:136 ; 4-byte Folded Spill
.LBB6_21115:                            ;   in Loop: Header=BB6_20564 Depth=3
	s_or_b64 exec, exec, s[28:29]
	flat_load_ubyte v0, v[8:9] offset:1344 glc slc
	v_mov_b32_e32 v1, 0
	s_waitcnt vmcnt(0) lgkmcnt(0)
	v_cmp_ne_u16_e32 vcc, 0, v0
	s_and_saveexec_b64 s[28:29], vcc
	s_cbranch_execz .LBB6_21121
; %bb.21116:                            ;   in Loop: Header=BB6_20564 Depth=3
	v_cmp_ne_u16_e32 vcc, s96, v0
	v_bfrev_b32_e32 v1, 1
	s_and_saveexec_b64 s[34:35], vcc
	s_cbranch_execz .LBB6_21120
; %bb.21117:                            ;   in Loop: Header=BB6_20564 Depth=3
	v_and_b32_e32 v14, 0xffff, v0
	v_and_b32_e32 v2, 0x7f, v14
	v_cmp_ne_u32_e32 vcc, s86, v2
	v_mov_b32_e32 v1, 0x7f800001
	s_and_saveexec_b64 s[36:37], vcc
	s_cbranch_execz .LBB6_21119
; %bb.21118:                            ;   in Loop: Header=BB6_20564 Depth=3
	v_and_b32_e32 v3, 7, v14
	v_ffbh_u32_e32 v1, v3
	v_min_u32_e32 v6, 32, v1
	v_subrev_u32_e32 v1, 28, v6
	v_lshrrev_b32_e32 v5, 3, v2
	v_cmp_gt_u32_e32 vcc, 8, v2
	v_lshlrev_b64 v[1:2], v1, v[14:15]
	v_sub_u32_e32 v2, 29, v6
	v_and_b32_e32 v1, 7, v1
	v_cndmask_b32_e32 v2, v5, v2, vcc
	v_cndmask_b32_e32 v1, v3, v1, vcc
	v_lshlrev_b32_e32 v0, 24, v0
	v_bfrev_b32_e32 v3, 60
	v_lshlrev_b32_e32 v1, 20, v1
	v_and_b32_e32 v0, 0x80000000, v0
	v_lshl_add_u32 v2, v2, 23, v3
	v_or3_b32 v1, v0, v2, v1
.LBB6_21119:                            ;   in Loop: Header=BB6_20564 Depth=3
	s_or_b64 exec, exec, s[36:37]
.LBB6_21120:                            ;   in Loop: Header=BB6_20564 Depth=3
	s_or_b64 exec, exec, s[34:35]
.LBB6_21121:                            ;   in Loop: Header=BB6_20564 Depth=3
	s_or_b64 exec, exec, s[28:29]
	v_mul_f32_e32 v1, s9, v1
	v_and_b32_e32 v2, 0x7f800000, v1
	v_mov_b32_e32 v3, v51
	v_cmp_ne_u64_e32 vcc, s[76:77], v[2:3]
                                        ; implicit-def: $vgpr0
                                        ; kill: killed $vgpr0
	s_and_saveexec_b64 s[28:29], vcc
	s_xor_b64 s[34:35], exec, s[28:29]
	s_cbranch_execz .LBB6_21139
; %bb.21122:                            ;   in Loop: Header=BB6_20564 Depth=3
	v_and_b32_e32 v2, 0x7fffffff, v1
	v_mov_b32_e32 v3, v51
	v_cmp_gt_u64_e32 vcc, s[78:79], v[2:3]
	v_and_b32_sdwa v0, v1, s96 dst_sel:DWORD dst_unused:UNUSED_PAD src0_sel:BYTE_3 src1_sel:DWORD
                                        ; implicit-def: $vgpr2
                                        ; kill: killed $vgpr2
	s_and_saveexec_b64 s[28:29], vcc
	s_xor_b64 s[36:37], exec, s[28:29]
	s_cbranch_execz .LBB6_21136
; %bb.21123:                            ;   in Loop: Header=BB6_20564 Depth=3
	v_cmp_ne_u32_e32 vcc, 0, v1
	v_mov_b32_e32 v2, 0
	buffer_store_dword v2, off, s[0:3], s33 offset:132 ; 4-byte Folded Spill
	s_and_saveexec_b64 s[38:39], vcc
	s_cbranch_execz .LBB6_21135
; %bb.21124:                            ;   in Loop: Header=BB6_20564 Depth=3
	v_and_b32_e32 v3, 0x7fffff, v1
	v_bfe_u32 v1, v1, 23, 8
	v_cmp_gt_u32_e64 s[28:29], s97, v1
	v_sub_u32_e32 v2, 0x79, v1
	v_cmp_eq_u32_e32 vcc, 0, v1
	v_cndmask_b32_e64 v2, 0, v2, s[28:29]
	v_mov_b32_e32 v6, 0x78
	v_or_b32_e32 v5, 0x800000, v3
	v_cndmask_b32_e32 v2, v2, v6, vcc
	v_cndmask_b32_e32 v5, v5, v3, vcc
	v_add_u32_e32 v3, 20, v2
	v_lshlrev_b64 v[14:15], v3, -1
	v_add_u32_e32 v3, 19, v2
	v_lshlrev_b64 v[16:17], v3, 1
	v_mov_b32_e32 v6, v51
	v_bfi_b32 v15, v15, 0, 0
	v_bfi_b32 v14, v14, 0, v5
	v_cmp_eq_u64_e64 s[28:29], v[14:15], v[16:17]
	v_lshrrev_b64 v[14:15], v2, v[5:6]
	v_mov_b32_e32 v16, v15
	v_mov_b32_e32 v15, v14
	s_and_saveexec_b64 s[48:49], s[28:29]
; %bb.21125:                            ;   in Loop: Header=BB6_20564 Depth=3
	v_bfe_u32 v3, v14, 20, 1
	v_add_co_u32_e64 v3, s[28:29], v14, v3
	v_add_co_u32_e64 v15, s[28:29], -1, v3
; %bb.21126:                            ;   in Loop: Header=BB6_20564 Depth=3
	s_or_b64 exec, exec, s[48:49]
	v_add_u32_e32 v1, 0xffffff81, v1
	v_mov_b32_e32 v3, 0xffffff82
	v_cndmask_b32_e32 v1, v1, v3, vcc
	v_lshrrev_b32_e32 v3, 23, v14
	v_add3_u32 v3, v2, v1, v3
	v_add_u32_e32 v2, 6, v3
	v_and_b32_e32 v1, 0xfffff, v15
	v_add_u32_e32 v14, v1, v14
	v_mov_b32_e32 v15, v51
	v_cmp_ne_u32_e32 vcc, 0, v2
                                        ; implicit-def: $vgpr1
	s_and_saveexec_b64 s[28:29], vcc
	s_xor_b64 s[28:29], exec, s[28:29]
; %bb.21127:                            ;   in Loop: Header=BB6_20564 Depth=3
	v_cmp_lt_u64_e32 vcc, s[88:89], v[14:15]
	v_add_u32_e32 v1, 7, v3
	v_cndmask_b32_e32 v1, v2, v1, vcc
	v_cndmask_b32_e64 v2, 0, 1, vcc
	v_lshrrev_b64 v[14:15], v2, v[14:15]
; %bb.21128:                            ;   in Loop: Header=BB6_20564 Depth=3
	s_andn2_saveexec_b64 s[28:29], s[28:29]
; %bb.21129:                            ;   in Loop: Header=BB6_20564 Depth=3
	v_bfe_u32 v1, v14, 23, 1
; %bb.21130:                            ;   in Loop: Header=BB6_20564 Depth=3
	s_or_b64 exec, exec, s[28:29]
	v_lshrrev_b64 v[2:3], 20, v[14:15]
	v_cmp_gt_i32_e32 vcc, 16, v1
	v_cndmask_b32_e32 v15, 0, v3, vcc
	v_cndmask_b32_e32 v14, 7, v2, vcc
	v_cmp_ne_u64_e32 vcc, 0, v[14:15]
	v_cmp_ne_u32_e64 s[28:29], 0, v1
	s_or_b64 s[28:29], s[28:29], vcc
                                        ; implicit-def: $vgpr2
                                        ; kill: killed $vgpr2
	s_and_saveexec_b64 vcc, s[28:29]
	s_xor_b64 s[28:29], exec, vcc
	s_cbranch_execz .LBB6_21132
; %bb.21131:                            ;   in Loop: Header=BB6_20564 Depth=3
	v_min_i32_e32 v1, 15, v1
	v_lshl_or_b32 v0, v1, 3, v0
	v_and_or_b32 v0, v14, 7, v0
	buffer_store_dword v0, off, s[0:3], s33 offset:132 ; 4-byte Folded Spill
                                        ; implicit-def: $vgpr0
.LBB6_21132:                            ;   in Loop: Header=BB6_20564 Depth=3
	s_andn2_saveexec_b64 s[28:29], s[28:29]
	s_cbranch_execz .LBB6_21134
; %bb.21133:                            ;   in Loop: Header=BB6_20564 Depth=3
	buffer_store_dword v0, off, s[0:3], s33 offset:132 ; 4-byte Folded Spill
.LBB6_21134:                            ;   in Loop: Header=BB6_20564 Depth=3
	s_or_b64 exec, exec, s[28:29]
.LBB6_21135:                            ;   in Loop: Header=BB6_20564 Depth=3
	s_or_b64 exec, exec, s[38:39]
                                        ; implicit-def: $vgpr0
.LBB6_21136:                            ;   in Loop: Header=BB6_20564 Depth=3
	s_andn2_saveexec_b64 s[28:29], s[36:37]
	s_cbranch_execz .LBB6_21138
; %bb.21137:                            ;   in Loop: Header=BB6_20564 Depth=3
	v_or_b32_e32 v0, 0x7e, v0
	buffer_store_dword v0, off, s[0:3], s33 offset:132 ; 4-byte Folded Spill
.LBB6_21138:                            ;   in Loop: Header=BB6_20564 Depth=3
	s_or_b64 exec, exec, s[28:29]
                                        ; implicit-def: $vgpr1
.LBB6_21139:                            ;   in Loop: Header=BB6_20564 Depth=3
	s_andn2_saveexec_b64 s[28:29], s[34:35]
	s_cbranch_execz .LBB6_21141
; %bb.21140:                            ;   in Loop: Header=BB6_20564 Depth=3
	v_or_b32_sdwa v0, v1, s86 dst_sel:DWORD dst_unused:UNUSED_PAD src0_sel:BYTE_3 src1_sel:DWORD
	buffer_store_dword v0, off, s[0:3], s33 offset:132 ; 4-byte Folded Spill
.LBB6_21141:                            ;   in Loop: Header=BB6_20564 Depth=3
	s_or_b64 exec, exec, s[28:29]
	flat_load_ubyte v0, v[8:9] offset:1408 glc slc
	v_mov_b32_e32 v1, 0
	s_waitcnt vmcnt(0) lgkmcnt(0)
	v_cmp_ne_u16_e32 vcc, 0, v0
	s_and_saveexec_b64 s[28:29], vcc
	s_cbranch_execz .LBB6_21147
; %bb.21142:                            ;   in Loop: Header=BB6_20564 Depth=3
	v_cmp_ne_u16_e32 vcc, s96, v0
	v_bfrev_b32_e32 v1, 1
	s_and_saveexec_b64 s[34:35], vcc
	s_cbranch_execz .LBB6_21146
; %bb.21143:                            ;   in Loop: Header=BB6_20564 Depth=3
	v_and_b32_e32 v14, 0xffff, v0
	v_and_b32_e32 v2, 0x7f, v14
	v_cmp_ne_u32_e32 vcc, s86, v2
	v_mov_b32_e32 v1, 0x7f800001
	s_and_saveexec_b64 s[36:37], vcc
	s_cbranch_execz .LBB6_21145
; %bb.21144:                            ;   in Loop: Header=BB6_20564 Depth=3
	v_and_b32_e32 v3, 7, v14
	v_ffbh_u32_e32 v1, v3
	v_min_u32_e32 v6, 32, v1
	v_subrev_u32_e32 v1, 28, v6
	v_lshrrev_b32_e32 v5, 3, v2
	v_cmp_gt_u32_e32 vcc, 8, v2
	v_lshlrev_b64 v[1:2], v1, v[14:15]
	v_sub_u32_e32 v2, 29, v6
	v_and_b32_e32 v1, 7, v1
	v_cndmask_b32_e32 v2, v5, v2, vcc
	v_cndmask_b32_e32 v1, v3, v1, vcc
	v_lshlrev_b32_e32 v0, 24, v0
	v_bfrev_b32_e32 v3, 60
	v_lshlrev_b32_e32 v1, 20, v1
	v_and_b32_e32 v0, 0x80000000, v0
	v_lshl_add_u32 v2, v2, 23, v3
	v_or3_b32 v1, v0, v2, v1
.LBB6_21145:                            ;   in Loop: Header=BB6_20564 Depth=3
	s_or_b64 exec, exec, s[36:37]
.LBB6_21146:                            ;   in Loop: Header=BB6_20564 Depth=3
	s_or_b64 exec, exec, s[34:35]
.LBB6_21147:                            ;   in Loop: Header=BB6_20564 Depth=3
	s_or_b64 exec, exec, s[28:29]
	v_mul_f32_e32 v1, s9, v1
	v_and_b32_e32 v2, 0x7f800000, v1
	v_mov_b32_e32 v3, v51
	v_cmp_ne_u64_e32 vcc, s[76:77], v[2:3]
                                        ; implicit-def: $vgpr0
                                        ; kill: killed $vgpr0
	s_and_saveexec_b64 s[28:29], vcc
	s_xor_b64 s[34:35], exec, s[28:29]
	s_cbranch_execz .LBB6_21165
; %bb.21148:                            ;   in Loop: Header=BB6_20564 Depth=3
	v_and_b32_e32 v2, 0x7fffffff, v1
	v_mov_b32_e32 v3, v51
	v_cmp_gt_u64_e32 vcc, s[78:79], v[2:3]
	v_and_b32_sdwa v0, v1, s96 dst_sel:DWORD dst_unused:UNUSED_PAD src0_sel:BYTE_3 src1_sel:DWORD
                                        ; implicit-def: $vgpr2
                                        ; kill: killed $vgpr2
	s_and_saveexec_b64 s[28:29], vcc
	s_xor_b64 s[36:37], exec, s[28:29]
	s_cbranch_execz .LBB6_21162
; %bb.21149:                            ;   in Loop: Header=BB6_20564 Depth=3
	v_cmp_ne_u32_e32 vcc, 0, v1
	v_mov_b32_e32 v2, 0
	buffer_store_dword v2, off, s[0:3], s33 offset:128 ; 4-byte Folded Spill
	s_and_saveexec_b64 s[38:39], vcc
	s_cbranch_execz .LBB6_21161
; %bb.21150:                            ;   in Loop: Header=BB6_20564 Depth=3
	v_and_b32_e32 v3, 0x7fffff, v1
	v_bfe_u32 v1, v1, 23, 8
	v_cmp_gt_u32_e64 s[28:29], s97, v1
	v_sub_u32_e32 v2, 0x79, v1
	v_cmp_eq_u32_e32 vcc, 0, v1
	v_cndmask_b32_e64 v2, 0, v2, s[28:29]
	v_mov_b32_e32 v6, 0x78
	v_or_b32_e32 v5, 0x800000, v3
	v_cndmask_b32_e32 v2, v2, v6, vcc
	v_cndmask_b32_e32 v5, v5, v3, vcc
	v_add_u32_e32 v3, 20, v2
	v_lshlrev_b64 v[14:15], v3, -1
	v_add_u32_e32 v3, 19, v2
	v_lshlrev_b64 v[16:17], v3, 1
	v_mov_b32_e32 v6, v51
	v_bfi_b32 v15, v15, 0, 0
	v_bfi_b32 v14, v14, 0, v5
	v_cmp_eq_u64_e64 s[28:29], v[14:15], v[16:17]
	v_lshrrev_b64 v[14:15], v2, v[5:6]
	v_mov_b32_e32 v16, v15
	v_mov_b32_e32 v15, v14
	s_and_saveexec_b64 s[48:49], s[28:29]
; %bb.21151:                            ;   in Loop: Header=BB6_20564 Depth=3
	v_bfe_u32 v3, v14, 20, 1
	v_add_co_u32_e64 v3, s[28:29], v14, v3
	v_add_co_u32_e64 v15, s[28:29], -1, v3
; %bb.21152:                            ;   in Loop: Header=BB6_20564 Depth=3
	s_or_b64 exec, exec, s[48:49]
	v_add_u32_e32 v1, 0xffffff81, v1
	v_mov_b32_e32 v3, 0xffffff82
	v_cndmask_b32_e32 v1, v1, v3, vcc
	v_lshrrev_b32_e32 v3, 23, v14
	v_add3_u32 v3, v2, v1, v3
	v_add_u32_e32 v2, 6, v3
	v_and_b32_e32 v1, 0xfffff, v15
	v_add_u32_e32 v14, v1, v14
	v_mov_b32_e32 v15, v51
	v_cmp_ne_u32_e32 vcc, 0, v2
                                        ; implicit-def: $vgpr1
	s_and_saveexec_b64 s[28:29], vcc
	s_xor_b64 s[28:29], exec, s[28:29]
; %bb.21153:                            ;   in Loop: Header=BB6_20564 Depth=3
	v_cmp_lt_u64_e32 vcc, s[88:89], v[14:15]
	v_add_u32_e32 v1, 7, v3
	v_cndmask_b32_e32 v1, v2, v1, vcc
	v_cndmask_b32_e64 v2, 0, 1, vcc
	v_lshrrev_b64 v[14:15], v2, v[14:15]
; %bb.21154:                            ;   in Loop: Header=BB6_20564 Depth=3
	s_andn2_saveexec_b64 s[28:29], s[28:29]
; %bb.21155:                            ;   in Loop: Header=BB6_20564 Depth=3
	v_bfe_u32 v1, v14, 23, 1
; %bb.21156:                            ;   in Loop: Header=BB6_20564 Depth=3
	s_or_b64 exec, exec, s[28:29]
	v_lshrrev_b64 v[2:3], 20, v[14:15]
	v_cmp_gt_i32_e32 vcc, 16, v1
	v_cndmask_b32_e32 v15, 0, v3, vcc
	v_cndmask_b32_e32 v14, 7, v2, vcc
	v_cmp_ne_u64_e32 vcc, 0, v[14:15]
	v_cmp_ne_u32_e64 s[28:29], 0, v1
	s_or_b64 s[28:29], s[28:29], vcc
                                        ; implicit-def: $vgpr2
                                        ; kill: killed $vgpr2
	s_and_saveexec_b64 vcc, s[28:29]
	s_xor_b64 s[28:29], exec, vcc
	s_cbranch_execz .LBB6_21158
; %bb.21157:                            ;   in Loop: Header=BB6_20564 Depth=3
	v_min_i32_e32 v1, 15, v1
	v_lshl_or_b32 v0, v1, 3, v0
	v_and_or_b32 v0, v14, 7, v0
	buffer_store_dword v0, off, s[0:3], s33 offset:128 ; 4-byte Folded Spill
                                        ; implicit-def: $vgpr0
.LBB6_21158:                            ;   in Loop: Header=BB6_20564 Depth=3
	s_andn2_saveexec_b64 s[28:29], s[28:29]
	s_cbranch_execz .LBB6_21160
; %bb.21159:                            ;   in Loop: Header=BB6_20564 Depth=3
	buffer_store_dword v0, off, s[0:3], s33 offset:128 ; 4-byte Folded Spill
.LBB6_21160:                            ;   in Loop: Header=BB6_20564 Depth=3
	s_or_b64 exec, exec, s[28:29]
.LBB6_21161:                            ;   in Loop: Header=BB6_20564 Depth=3
	s_or_b64 exec, exec, s[38:39]
                                        ; implicit-def: $vgpr0
.LBB6_21162:                            ;   in Loop: Header=BB6_20564 Depth=3
	s_andn2_saveexec_b64 s[28:29], s[36:37]
	s_cbranch_execz .LBB6_21164
; %bb.21163:                            ;   in Loop: Header=BB6_20564 Depth=3
	v_or_b32_e32 v0, 0x7e, v0
	buffer_store_dword v0, off, s[0:3], s33 offset:128 ; 4-byte Folded Spill
.LBB6_21164:                            ;   in Loop: Header=BB6_20564 Depth=3
	s_or_b64 exec, exec, s[28:29]
                                        ; implicit-def: $vgpr1
.LBB6_21165:                            ;   in Loop: Header=BB6_20564 Depth=3
	s_andn2_saveexec_b64 s[28:29], s[34:35]
	s_cbranch_execz .LBB6_21167
; %bb.21166:                            ;   in Loop: Header=BB6_20564 Depth=3
	v_or_b32_sdwa v0, v1, s86 dst_sel:DWORD dst_unused:UNUSED_PAD src0_sel:BYTE_3 src1_sel:DWORD
	buffer_store_dword v0, off, s[0:3], s33 offset:128 ; 4-byte Folded Spill
.LBB6_21167:                            ;   in Loop: Header=BB6_20564 Depth=3
	s_or_b64 exec, exec, s[28:29]
	flat_load_ubyte v0, v[8:9] offset:1472 glc slc
	v_mov_b32_e32 v1, 0
	s_waitcnt vmcnt(0) lgkmcnt(0)
	v_cmp_ne_u16_e32 vcc, 0, v0
	s_and_saveexec_b64 s[28:29], vcc
	s_cbranch_execz .LBB6_21173
; %bb.21168:                            ;   in Loop: Header=BB6_20564 Depth=3
	v_cmp_ne_u16_e32 vcc, s96, v0
	v_bfrev_b32_e32 v1, 1
	s_and_saveexec_b64 s[34:35], vcc
	s_cbranch_execz .LBB6_21172
; %bb.21169:                            ;   in Loop: Header=BB6_20564 Depth=3
	v_and_b32_e32 v14, 0xffff, v0
	v_and_b32_e32 v2, 0x7f, v14
	v_cmp_ne_u32_e32 vcc, s86, v2
	v_mov_b32_e32 v1, 0x7f800001
	s_and_saveexec_b64 s[36:37], vcc
	s_cbranch_execz .LBB6_21171
; %bb.21170:                            ;   in Loop: Header=BB6_20564 Depth=3
	v_and_b32_e32 v3, 7, v14
	v_ffbh_u32_e32 v1, v3
	v_min_u32_e32 v6, 32, v1
	v_subrev_u32_e32 v1, 28, v6
	v_lshrrev_b32_e32 v5, 3, v2
	v_cmp_gt_u32_e32 vcc, 8, v2
	v_lshlrev_b64 v[1:2], v1, v[14:15]
	v_sub_u32_e32 v2, 29, v6
	v_and_b32_e32 v1, 7, v1
	v_cndmask_b32_e32 v2, v5, v2, vcc
	v_cndmask_b32_e32 v1, v3, v1, vcc
	v_lshlrev_b32_e32 v0, 24, v0
	v_bfrev_b32_e32 v3, 60
	v_lshlrev_b32_e32 v1, 20, v1
	v_and_b32_e32 v0, 0x80000000, v0
	v_lshl_add_u32 v2, v2, 23, v3
	v_or3_b32 v1, v0, v2, v1
.LBB6_21171:                            ;   in Loop: Header=BB6_20564 Depth=3
	s_or_b64 exec, exec, s[36:37]
.LBB6_21172:                            ;   in Loop: Header=BB6_20564 Depth=3
	s_or_b64 exec, exec, s[34:35]
.LBB6_21173:                            ;   in Loop: Header=BB6_20564 Depth=3
	s_or_b64 exec, exec, s[28:29]
	v_mul_f32_e32 v1, s9, v1
	v_and_b32_e32 v2, 0x7f800000, v1
	v_mov_b32_e32 v3, v51
	v_cmp_ne_u64_e32 vcc, s[76:77], v[2:3]
                                        ; implicit-def: $vgpr0
                                        ; kill: killed $vgpr0
	s_and_saveexec_b64 s[28:29], vcc
	s_xor_b64 s[34:35], exec, s[28:29]
	s_cbranch_execz .LBB6_21191
; %bb.21174:                            ;   in Loop: Header=BB6_20564 Depth=3
	v_and_b32_e32 v2, 0x7fffffff, v1
	v_mov_b32_e32 v3, v51
	v_cmp_gt_u64_e32 vcc, s[78:79], v[2:3]
	v_and_b32_sdwa v0, v1, s96 dst_sel:DWORD dst_unused:UNUSED_PAD src0_sel:BYTE_3 src1_sel:DWORD
                                        ; implicit-def: $vgpr2
                                        ; kill: killed $vgpr2
	s_and_saveexec_b64 s[28:29], vcc
	s_xor_b64 s[36:37], exec, s[28:29]
	s_cbranch_execz .LBB6_21188
; %bb.21175:                            ;   in Loop: Header=BB6_20564 Depth=3
	v_cmp_ne_u32_e32 vcc, 0, v1
	v_mov_b32_e32 v2, 0
	buffer_store_dword v2, off, s[0:3], s33 offset:124 ; 4-byte Folded Spill
	s_and_saveexec_b64 s[38:39], vcc
	s_cbranch_execz .LBB6_21187
; %bb.21176:                            ;   in Loop: Header=BB6_20564 Depth=3
	v_and_b32_e32 v3, 0x7fffff, v1
	v_bfe_u32 v1, v1, 23, 8
	v_cmp_gt_u32_e64 s[28:29], s97, v1
	v_sub_u32_e32 v2, 0x79, v1
	v_cmp_eq_u32_e32 vcc, 0, v1
	v_cndmask_b32_e64 v2, 0, v2, s[28:29]
	v_mov_b32_e32 v6, 0x78
	v_or_b32_e32 v5, 0x800000, v3
	v_cndmask_b32_e32 v2, v2, v6, vcc
	v_cndmask_b32_e32 v5, v5, v3, vcc
	v_add_u32_e32 v3, 20, v2
	v_lshlrev_b64 v[14:15], v3, -1
	v_add_u32_e32 v3, 19, v2
	v_lshlrev_b64 v[16:17], v3, 1
	v_mov_b32_e32 v6, v51
	v_bfi_b32 v15, v15, 0, 0
	v_bfi_b32 v14, v14, 0, v5
	v_cmp_eq_u64_e64 s[28:29], v[14:15], v[16:17]
	v_lshrrev_b64 v[14:15], v2, v[5:6]
	v_mov_b32_e32 v16, v15
	v_mov_b32_e32 v15, v14
	s_and_saveexec_b64 s[48:49], s[28:29]
; %bb.21177:                            ;   in Loop: Header=BB6_20564 Depth=3
	v_bfe_u32 v3, v14, 20, 1
	v_add_co_u32_e64 v3, s[28:29], v14, v3
	v_add_co_u32_e64 v15, s[28:29], -1, v3
; %bb.21178:                            ;   in Loop: Header=BB6_20564 Depth=3
	s_or_b64 exec, exec, s[48:49]
	v_add_u32_e32 v1, 0xffffff81, v1
	v_mov_b32_e32 v3, 0xffffff82
	v_cndmask_b32_e32 v1, v1, v3, vcc
	v_lshrrev_b32_e32 v3, 23, v14
	v_add3_u32 v3, v2, v1, v3
	v_add_u32_e32 v2, 6, v3
	v_and_b32_e32 v1, 0xfffff, v15
	v_add_u32_e32 v14, v1, v14
	v_mov_b32_e32 v15, v51
	v_cmp_ne_u32_e32 vcc, 0, v2
                                        ; implicit-def: $vgpr1
	s_and_saveexec_b64 s[28:29], vcc
	s_xor_b64 s[28:29], exec, s[28:29]
; %bb.21179:                            ;   in Loop: Header=BB6_20564 Depth=3
	v_cmp_lt_u64_e32 vcc, s[88:89], v[14:15]
	v_add_u32_e32 v1, 7, v3
	v_cndmask_b32_e32 v1, v2, v1, vcc
	v_cndmask_b32_e64 v2, 0, 1, vcc
	v_lshrrev_b64 v[14:15], v2, v[14:15]
; %bb.21180:                            ;   in Loop: Header=BB6_20564 Depth=3
	s_andn2_saveexec_b64 s[28:29], s[28:29]
; %bb.21181:                            ;   in Loop: Header=BB6_20564 Depth=3
	v_bfe_u32 v1, v14, 23, 1
; %bb.21182:                            ;   in Loop: Header=BB6_20564 Depth=3
	s_or_b64 exec, exec, s[28:29]
	v_lshrrev_b64 v[2:3], 20, v[14:15]
	v_cmp_gt_i32_e32 vcc, 16, v1
	v_cndmask_b32_e32 v15, 0, v3, vcc
	v_cndmask_b32_e32 v14, 7, v2, vcc
	v_cmp_ne_u64_e32 vcc, 0, v[14:15]
	v_cmp_ne_u32_e64 s[28:29], 0, v1
	s_or_b64 s[28:29], s[28:29], vcc
                                        ; implicit-def: $vgpr2
                                        ; kill: killed $vgpr2
	s_and_saveexec_b64 vcc, s[28:29]
	s_xor_b64 s[28:29], exec, vcc
	s_cbranch_execz .LBB6_21184
; %bb.21183:                            ;   in Loop: Header=BB6_20564 Depth=3
	v_min_i32_e32 v1, 15, v1
	v_lshl_or_b32 v0, v1, 3, v0
	v_and_or_b32 v0, v14, 7, v0
	buffer_store_dword v0, off, s[0:3], s33 offset:124 ; 4-byte Folded Spill
                                        ; implicit-def: $vgpr0
.LBB6_21184:                            ;   in Loop: Header=BB6_20564 Depth=3
	s_andn2_saveexec_b64 s[28:29], s[28:29]
	s_cbranch_execz .LBB6_21186
; %bb.21185:                            ;   in Loop: Header=BB6_20564 Depth=3
	buffer_store_dword v0, off, s[0:3], s33 offset:124 ; 4-byte Folded Spill
.LBB6_21186:                            ;   in Loop: Header=BB6_20564 Depth=3
	s_or_b64 exec, exec, s[28:29]
.LBB6_21187:                            ;   in Loop: Header=BB6_20564 Depth=3
	s_or_b64 exec, exec, s[38:39]
                                        ; implicit-def: $vgpr0
.LBB6_21188:                            ;   in Loop: Header=BB6_20564 Depth=3
	s_andn2_saveexec_b64 s[28:29], s[36:37]
	s_cbranch_execz .LBB6_21190
; %bb.21189:                            ;   in Loop: Header=BB6_20564 Depth=3
	v_or_b32_e32 v0, 0x7e, v0
	buffer_store_dword v0, off, s[0:3], s33 offset:124 ; 4-byte Folded Spill
.LBB6_21190:                            ;   in Loop: Header=BB6_20564 Depth=3
	s_or_b64 exec, exec, s[28:29]
                                        ; implicit-def: $vgpr1
.LBB6_21191:                            ;   in Loop: Header=BB6_20564 Depth=3
	s_andn2_saveexec_b64 s[28:29], s[34:35]
	s_cbranch_execz .LBB6_21193
; %bb.21192:                            ;   in Loop: Header=BB6_20564 Depth=3
	v_or_b32_sdwa v0, v1, s86 dst_sel:DWORD dst_unused:UNUSED_PAD src0_sel:BYTE_3 src1_sel:DWORD
	buffer_store_dword v0, off, s[0:3], s33 offset:124 ; 4-byte Folded Spill
.LBB6_21193:                            ;   in Loop: Header=BB6_20564 Depth=3
	s_or_b64 exec, exec, s[28:29]
	flat_load_ubyte v0, v[8:9] offset:1536 glc slc
	v_mov_b32_e32 v1, 0
	s_waitcnt vmcnt(0) lgkmcnt(0)
	v_cmp_ne_u16_e32 vcc, 0, v0
	s_and_saveexec_b64 s[28:29], vcc
	s_cbranch_execz .LBB6_21199
; %bb.21194:                            ;   in Loop: Header=BB6_20564 Depth=3
	v_cmp_ne_u16_e32 vcc, s96, v0
	v_bfrev_b32_e32 v1, 1
	s_and_saveexec_b64 s[34:35], vcc
	s_cbranch_execz .LBB6_21198
; %bb.21195:                            ;   in Loop: Header=BB6_20564 Depth=3
	v_and_b32_e32 v14, 0xffff, v0
	v_and_b32_e32 v2, 0x7f, v14
	v_cmp_ne_u32_e32 vcc, s86, v2
	v_mov_b32_e32 v1, 0x7f800001
	s_and_saveexec_b64 s[36:37], vcc
	s_cbranch_execz .LBB6_21197
; %bb.21196:                            ;   in Loop: Header=BB6_20564 Depth=3
	v_and_b32_e32 v3, 7, v14
	v_ffbh_u32_e32 v1, v3
	v_min_u32_e32 v6, 32, v1
	v_subrev_u32_e32 v1, 28, v6
	v_lshrrev_b32_e32 v5, 3, v2
	v_cmp_gt_u32_e32 vcc, 8, v2
	v_lshlrev_b64 v[1:2], v1, v[14:15]
	v_sub_u32_e32 v2, 29, v6
	v_and_b32_e32 v1, 7, v1
	v_cndmask_b32_e32 v2, v5, v2, vcc
	v_cndmask_b32_e32 v1, v3, v1, vcc
	v_lshlrev_b32_e32 v0, 24, v0
	v_bfrev_b32_e32 v3, 60
	v_lshlrev_b32_e32 v1, 20, v1
	v_and_b32_e32 v0, 0x80000000, v0
	v_lshl_add_u32 v2, v2, 23, v3
	v_or3_b32 v1, v0, v2, v1
.LBB6_21197:                            ;   in Loop: Header=BB6_20564 Depth=3
	s_or_b64 exec, exec, s[36:37]
.LBB6_21198:                            ;   in Loop: Header=BB6_20564 Depth=3
	s_or_b64 exec, exec, s[34:35]
.LBB6_21199:                            ;   in Loop: Header=BB6_20564 Depth=3
	s_or_b64 exec, exec, s[28:29]
	v_mul_f32_e32 v1, s9, v1
	v_and_b32_e32 v2, 0x7f800000, v1
	v_mov_b32_e32 v3, v51
	v_cmp_ne_u64_e32 vcc, s[76:77], v[2:3]
                                        ; implicit-def: $vgpr0
                                        ; kill: killed $vgpr0
	s_and_saveexec_b64 s[28:29], vcc
	s_xor_b64 s[34:35], exec, s[28:29]
	s_cbranch_execz .LBB6_21217
; %bb.21200:                            ;   in Loop: Header=BB6_20564 Depth=3
	v_and_b32_e32 v2, 0x7fffffff, v1
	v_mov_b32_e32 v3, v51
	v_cmp_gt_u64_e32 vcc, s[78:79], v[2:3]
	v_and_b32_sdwa v0, v1, s96 dst_sel:DWORD dst_unused:UNUSED_PAD src0_sel:BYTE_3 src1_sel:DWORD
                                        ; implicit-def: $vgpr2
                                        ; kill: killed $vgpr2
	s_and_saveexec_b64 s[28:29], vcc
	s_xor_b64 s[36:37], exec, s[28:29]
	s_cbranch_execz .LBB6_21214
; %bb.21201:                            ;   in Loop: Header=BB6_20564 Depth=3
	v_cmp_ne_u32_e32 vcc, 0, v1
	v_mov_b32_e32 v2, 0
	buffer_store_dword v2, off, s[0:3], s33 offset:120 ; 4-byte Folded Spill
	s_and_saveexec_b64 s[38:39], vcc
	s_cbranch_execz .LBB6_21213
; %bb.21202:                            ;   in Loop: Header=BB6_20564 Depth=3
	v_and_b32_e32 v3, 0x7fffff, v1
	v_bfe_u32 v1, v1, 23, 8
	v_cmp_gt_u32_e64 s[28:29], s97, v1
	v_sub_u32_e32 v2, 0x79, v1
	v_cmp_eq_u32_e32 vcc, 0, v1
	v_cndmask_b32_e64 v2, 0, v2, s[28:29]
	v_mov_b32_e32 v6, 0x78
	v_or_b32_e32 v5, 0x800000, v3
	v_cndmask_b32_e32 v2, v2, v6, vcc
	v_cndmask_b32_e32 v5, v5, v3, vcc
	v_add_u32_e32 v3, 20, v2
	v_lshlrev_b64 v[14:15], v3, -1
	v_add_u32_e32 v3, 19, v2
	v_lshlrev_b64 v[16:17], v3, 1
	v_mov_b32_e32 v6, v51
	v_bfi_b32 v15, v15, 0, 0
	v_bfi_b32 v14, v14, 0, v5
	v_cmp_eq_u64_e64 s[28:29], v[14:15], v[16:17]
	v_lshrrev_b64 v[14:15], v2, v[5:6]
	v_mov_b32_e32 v16, v15
	v_mov_b32_e32 v15, v14
	s_and_saveexec_b64 s[48:49], s[28:29]
; %bb.21203:                            ;   in Loop: Header=BB6_20564 Depth=3
	v_bfe_u32 v3, v14, 20, 1
	v_add_co_u32_e64 v3, s[28:29], v14, v3
	v_add_co_u32_e64 v15, s[28:29], -1, v3
; %bb.21204:                            ;   in Loop: Header=BB6_20564 Depth=3
	s_or_b64 exec, exec, s[48:49]
	v_add_u32_e32 v1, 0xffffff81, v1
	v_mov_b32_e32 v3, 0xffffff82
	v_cndmask_b32_e32 v1, v1, v3, vcc
	v_lshrrev_b32_e32 v3, 23, v14
	v_add3_u32 v3, v2, v1, v3
	v_add_u32_e32 v2, 6, v3
	v_and_b32_e32 v1, 0xfffff, v15
	v_add_u32_e32 v14, v1, v14
	v_mov_b32_e32 v15, v51
	v_cmp_ne_u32_e32 vcc, 0, v2
                                        ; implicit-def: $vgpr1
	s_and_saveexec_b64 s[28:29], vcc
	s_xor_b64 s[28:29], exec, s[28:29]
; %bb.21205:                            ;   in Loop: Header=BB6_20564 Depth=3
	v_cmp_lt_u64_e32 vcc, s[88:89], v[14:15]
	v_add_u32_e32 v1, 7, v3
	v_cndmask_b32_e32 v1, v2, v1, vcc
	v_cndmask_b32_e64 v2, 0, 1, vcc
	v_lshrrev_b64 v[14:15], v2, v[14:15]
; %bb.21206:                            ;   in Loop: Header=BB6_20564 Depth=3
	s_andn2_saveexec_b64 s[28:29], s[28:29]
; %bb.21207:                            ;   in Loop: Header=BB6_20564 Depth=3
	v_bfe_u32 v1, v14, 23, 1
; %bb.21208:                            ;   in Loop: Header=BB6_20564 Depth=3
	s_or_b64 exec, exec, s[28:29]
	v_lshrrev_b64 v[2:3], 20, v[14:15]
	v_cmp_gt_i32_e32 vcc, 16, v1
	v_cndmask_b32_e32 v15, 0, v3, vcc
	v_cndmask_b32_e32 v14, 7, v2, vcc
	v_cmp_ne_u64_e32 vcc, 0, v[14:15]
	v_cmp_ne_u32_e64 s[28:29], 0, v1
	s_or_b64 s[28:29], s[28:29], vcc
                                        ; implicit-def: $vgpr2
                                        ; kill: killed $vgpr2
	s_and_saveexec_b64 vcc, s[28:29]
	s_xor_b64 s[28:29], exec, vcc
	s_cbranch_execz .LBB6_21210
; %bb.21209:                            ;   in Loop: Header=BB6_20564 Depth=3
	v_min_i32_e32 v1, 15, v1
	v_lshl_or_b32 v0, v1, 3, v0
	v_and_or_b32 v0, v14, 7, v0
	buffer_store_dword v0, off, s[0:3], s33 offset:120 ; 4-byte Folded Spill
                                        ; implicit-def: $vgpr0
.LBB6_21210:                            ;   in Loop: Header=BB6_20564 Depth=3
	s_andn2_saveexec_b64 s[28:29], s[28:29]
	s_cbranch_execz .LBB6_21212
; %bb.21211:                            ;   in Loop: Header=BB6_20564 Depth=3
	buffer_store_dword v0, off, s[0:3], s33 offset:120 ; 4-byte Folded Spill
.LBB6_21212:                            ;   in Loop: Header=BB6_20564 Depth=3
	s_or_b64 exec, exec, s[28:29]
.LBB6_21213:                            ;   in Loop: Header=BB6_20564 Depth=3
	s_or_b64 exec, exec, s[38:39]
                                        ; implicit-def: $vgpr0
.LBB6_21214:                            ;   in Loop: Header=BB6_20564 Depth=3
	s_andn2_saveexec_b64 s[28:29], s[36:37]
	s_cbranch_execz .LBB6_21216
; %bb.21215:                            ;   in Loop: Header=BB6_20564 Depth=3
	v_or_b32_e32 v0, 0x7e, v0
	buffer_store_dword v0, off, s[0:3], s33 offset:120 ; 4-byte Folded Spill
.LBB6_21216:                            ;   in Loop: Header=BB6_20564 Depth=3
	s_or_b64 exec, exec, s[28:29]
                                        ; implicit-def: $vgpr1
.LBB6_21217:                            ;   in Loop: Header=BB6_20564 Depth=3
	s_andn2_saveexec_b64 s[28:29], s[34:35]
	s_cbranch_execz .LBB6_21219
; %bb.21218:                            ;   in Loop: Header=BB6_20564 Depth=3
	v_or_b32_sdwa v0, v1, s86 dst_sel:DWORD dst_unused:UNUSED_PAD src0_sel:BYTE_3 src1_sel:DWORD
	buffer_store_dword v0, off, s[0:3], s33 offset:120 ; 4-byte Folded Spill
.LBB6_21219:                            ;   in Loop: Header=BB6_20564 Depth=3
	s_or_b64 exec, exec, s[28:29]
	flat_load_ubyte v0, v[8:9] offset:1600 glc slc
	v_mov_b32_e32 v1, 0
	s_waitcnt vmcnt(0) lgkmcnt(0)
	v_cmp_ne_u16_e32 vcc, 0, v0
	s_and_saveexec_b64 s[28:29], vcc
	s_cbranch_execz .LBB6_21225
; %bb.21220:                            ;   in Loop: Header=BB6_20564 Depth=3
	v_cmp_ne_u16_e32 vcc, s96, v0
	v_bfrev_b32_e32 v1, 1
	s_and_saveexec_b64 s[34:35], vcc
	s_cbranch_execz .LBB6_21224
; %bb.21221:                            ;   in Loop: Header=BB6_20564 Depth=3
	v_and_b32_e32 v14, 0xffff, v0
	v_and_b32_e32 v2, 0x7f, v14
	v_cmp_ne_u32_e32 vcc, s86, v2
	v_mov_b32_e32 v1, 0x7f800001
	s_and_saveexec_b64 s[36:37], vcc
	s_cbranch_execz .LBB6_21223
; %bb.21222:                            ;   in Loop: Header=BB6_20564 Depth=3
	v_and_b32_e32 v3, 7, v14
	v_ffbh_u32_e32 v1, v3
	v_min_u32_e32 v6, 32, v1
	v_subrev_u32_e32 v1, 28, v6
	v_lshrrev_b32_e32 v5, 3, v2
	v_cmp_gt_u32_e32 vcc, 8, v2
	v_lshlrev_b64 v[1:2], v1, v[14:15]
	v_sub_u32_e32 v2, 29, v6
	v_and_b32_e32 v1, 7, v1
	v_cndmask_b32_e32 v2, v5, v2, vcc
	v_cndmask_b32_e32 v1, v3, v1, vcc
	v_lshlrev_b32_e32 v0, 24, v0
	v_bfrev_b32_e32 v3, 60
	v_lshlrev_b32_e32 v1, 20, v1
	v_and_b32_e32 v0, 0x80000000, v0
	v_lshl_add_u32 v2, v2, 23, v3
	v_or3_b32 v1, v0, v2, v1
.LBB6_21223:                            ;   in Loop: Header=BB6_20564 Depth=3
	s_or_b64 exec, exec, s[36:37]
.LBB6_21224:                            ;   in Loop: Header=BB6_20564 Depth=3
	s_or_b64 exec, exec, s[34:35]
.LBB6_21225:                            ;   in Loop: Header=BB6_20564 Depth=3
	s_or_b64 exec, exec, s[28:29]
	v_mul_f32_e32 v1, s9, v1
	v_and_b32_e32 v2, 0x7f800000, v1
	v_mov_b32_e32 v3, v51
	v_cmp_ne_u64_e32 vcc, s[76:77], v[2:3]
                                        ; implicit-def: $vgpr0
                                        ; kill: killed $vgpr0
	s_and_saveexec_b64 s[28:29], vcc
	s_xor_b64 s[34:35], exec, s[28:29]
	s_cbranch_execz .LBB6_21243
; %bb.21226:                            ;   in Loop: Header=BB6_20564 Depth=3
	v_and_b32_e32 v2, 0x7fffffff, v1
	v_mov_b32_e32 v3, v51
	v_cmp_gt_u64_e32 vcc, s[78:79], v[2:3]
	v_and_b32_sdwa v0, v1, s96 dst_sel:DWORD dst_unused:UNUSED_PAD src0_sel:BYTE_3 src1_sel:DWORD
                                        ; implicit-def: $vgpr2
                                        ; kill: killed $vgpr2
	s_and_saveexec_b64 s[28:29], vcc
	s_xor_b64 s[36:37], exec, s[28:29]
	s_cbranch_execz .LBB6_21240
; %bb.21227:                            ;   in Loop: Header=BB6_20564 Depth=3
	v_cmp_ne_u32_e32 vcc, 0, v1
	v_mov_b32_e32 v2, 0
	buffer_store_dword v2, off, s[0:3], s33 offset:116 ; 4-byte Folded Spill
	s_and_saveexec_b64 s[38:39], vcc
	s_cbranch_execz .LBB6_21239
; %bb.21228:                            ;   in Loop: Header=BB6_20564 Depth=3
	v_and_b32_e32 v3, 0x7fffff, v1
	v_bfe_u32 v1, v1, 23, 8
	v_cmp_gt_u32_e64 s[28:29], s97, v1
	v_sub_u32_e32 v2, 0x79, v1
	v_cmp_eq_u32_e32 vcc, 0, v1
	v_cndmask_b32_e64 v2, 0, v2, s[28:29]
	v_mov_b32_e32 v6, 0x78
	v_or_b32_e32 v5, 0x800000, v3
	v_cndmask_b32_e32 v2, v2, v6, vcc
	v_cndmask_b32_e32 v5, v5, v3, vcc
	v_add_u32_e32 v3, 20, v2
	v_lshlrev_b64 v[14:15], v3, -1
	v_add_u32_e32 v3, 19, v2
	v_lshlrev_b64 v[16:17], v3, 1
	v_mov_b32_e32 v6, v51
	v_bfi_b32 v15, v15, 0, 0
	v_bfi_b32 v14, v14, 0, v5
	v_cmp_eq_u64_e64 s[28:29], v[14:15], v[16:17]
	v_lshrrev_b64 v[14:15], v2, v[5:6]
	v_mov_b32_e32 v16, v15
	v_mov_b32_e32 v15, v14
	s_and_saveexec_b64 s[48:49], s[28:29]
; %bb.21229:                            ;   in Loop: Header=BB6_20564 Depth=3
	v_bfe_u32 v3, v14, 20, 1
	v_add_co_u32_e64 v3, s[28:29], v14, v3
	v_add_co_u32_e64 v15, s[28:29], -1, v3
; %bb.21230:                            ;   in Loop: Header=BB6_20564 Depth=3
	s_or_b64 exec, exec, s[48:49]
	v_add_u32_e32 v1, 0xffffff81, v1
	v_mov_b32_e32 v3, 0xffffff82
	v_cndmask_b32_e32 v1, v1, v3, vcc
	v_lshrrev_b32_e32 v3, 23, v14
	v_add3_u32 v3, v2, v1, v3
	v_add_u32_e32 v2, 6, v3
	v_and_b32_e32 v1, 0xfffff, v15
	v_add_u32_e32 v14, v1, v14
	v_mov_b32_e32 v15, v51
	v_cmp_ne_u32_e32 vcc, 0, v2
                                        ; implicit-def: $vgpr1
	s_and_saveexec_b64 s[28:29], vcc
	s_xor_b64 s[28:29], exec, s[28:29]
; %bb.21231:                            ;   in Loop: Header=BB6_20564 Depth=3
	v_cmp_lt_u64_e32 vcc, s[88:89], v[14:15]
	v_add_u32_e32 v1, 7, v3
	v_cndmask_b32_e32 v1, v2, v1, vcc
	v_cndmask_b32_e64 v2, 0, 1, vcc
	v_lshrrev_b64 v[14:15], v2, v[14:15]
; %bb.21232:                            ;   in Loop: Header=BB6_20564 Depth=3
	s_andn2_saveexec_b64 s[28:29], s[28:29]
; %bb.21233:                            ;   in Loop: Header=BB6_20564 Depth=3
	v_bfe_u32 v1, v14, 23, 1
; %bb.21234:                            ;   in Loop: Header=BB6_20564 Depth=3
	s_or_b64 exec, exec, s[28:29]
	v_lshrrev_b64 v[2:3], 20, v[14:15]
	v_cmp_gt_i32_e32 vcc, 16, v1
	v_cndmask_b32_e32 v15, 0, v3, vcc
	v_cndmask_b32_e32 v14, 7, v2, vcc
	v_cmp_ne_u64_e32 vcc, 0, v[14:15]
	v_cmp_ne_u32_e64 s[28:29], 0, v1
	s_or_b64 s[28:29], s[28:29], vcc
                                        ; implicit-def: $vgpr2
                                        ; kill: killed $vgpr2
	s_and_saveexec_b64 vcc, s[28:29]
	s_xor_b64 s[28:29], exec, vcc
	s_cbranch_execz .LBB6_21236
; %bb.21235:                            ;   in Loop: Header=BB6_20564 Depth=3
	v_min_i32_e32 v1, 15, v1
	v_lshl_or_b32 v0, v1, 3, v0
	v_and_or_b32 v0, v14, 7, v0
	buffer_store_dword v0, off, s[0:3], s33 offset:116 ; 4-byte Folded Spill
                                        ; implicit-def: $vgpr0
.LBB6_21236:                            ;   in Loop: Header=BB6_20564 Depth=3
	s_andn2_saveexec_b64 s[28:29], s[28:29]
	s_cbranch_execz .LBB6_21238
; %bb.21237:                            ;   in Loop: Header=BB6_20564 Depth=3
	buffer_store_dword v0, off, s[0:3], s33 offset:116 ; 4-byte Folded Spill
.LBB6_21238:                            ;   in Loop: Header=BB6_20564 Depth=3
	s_or_b64 exec, exec, s[28:29]
.LBB6_21239:                            ;   in Loop: Header=BB6_20564 Depth=3
	s_or_b64 exec, exec, s[38:39]
                                        ; implicit-def: $vgpr0
.LBB6_21240:                            ;   in Loop: Header=BB6_20564 Depth=3
	s_andn2_saveexec_b64 s[28:29], s[36:37]
	s_cbranch_execz .LBB6_21242
; %bb.21241:                            ;   in Loop: Header=BB6_20564 Depth=3
	v_or_b32_e32 v0, 0x7e, v0
	buffer_store_dword v0, off, s[0:3], s33 offset:116 ; 4-byte Folded Spill
.LBB6_21242:                            ;   in Loop: Header=BB6_20564 Depth=3
	s_or_b64 exec, exec, s[28:29]
                                        ; implicit-def: $vgpr1
.LBB6_21243:                            ;   in Loop: Header=BB6_20564 Depth=3
	s_andn2_saveexec_b64 s[28:29], s[34:35]
	s_cbranch_execz .LBB6_21245
; %bb.21244:                            ;   in Loop: Header=BB6_20564 Depth=3
	v_or_b32_sdwa v0, v1, s86 dst_sel:DWORD dst_unused:UNUSED_PAD src0_sel:BYTE_3 src1_sel:DWORD
	buffer_store_dword v0, off, s[0:3], s33 offset:116 ; 4-byte Folded Spill
.LBB6_21245:                            ;   in Loop: Header=BB6_20564 Depth=3
	s_or_b64 exec, exec, s[28:29]
	flat_load_ubyte v0, v[8:9] offset:1664 glc slc
	v_mov_b32_e32 v1, 0
	s_waitcnt vmcnt(0) lgkmcnt(0)
	v_cmp_ne_u16_e32 vcc, 0, v0
	s_and_saveexec_b64 s[28:29], vcc
	s_cbranch_execz .LBB6_21251
; %bb.21246:                            ;   in Loop: Header=BB6_20564 Depth=3
	v_cmp_ne_u16_e32 vcc, s96, v0
	v_bfrev_b32_e32 v1, 1
	s_and_saveexec_b64 s[34:35], vcc
	s_cbranch_execz .LBB6_21250
; %bb.21247:                            ;   in Loop: Header=BB6_20564 Depth=3
	v_and_b32_e32 v14, 0xffff, v0
	v_and_b32_e32 v2, 0x7f, v14
	v_cmp_ne_u32_e32 vcc, s86, v2
	v_mov_b32_e32 v1, 0x7f800001
	s_and_saveexec_b64 s[36:37], vcc
	s_cbranch_execz .LBB6_21249
; %bb.21248:                            ;   in Loop: Header=BB6_20564 Depth=3
	v_and_b32_e32 v3, 7, v14
	v_ffbh_u32_e32 v1, v3
	v_min_u32_e32 v6, 32, v1
	v_subrev_u32_e32 v1, 28, v6
	v_lshrrev_b32_e32 v5, 3, v2
	v_cmp_gt_u32_e32 vcc, 8, v2
	v_lshlrev_b64 v[1:2], v1, v[14:15]
	v_sub_u32_e32 v2, 29, v6
	v_and_b32_e32 v1, 7, v1
	v_cndmask_b32_e32 v2, v5, v2, vcc
	v_cndmask_b32_e32 v1, v3, v1, vcc
	v_lshlrev_b32_e32 v0, 24, v0
	v_bfrev_b32_e32 v3, 60
	v_lshlrev_b32_e32 v1, 20, v1
	v_and_b32_e32 v0, 0x80000000, v0
	v_lshl_add_u32 v2, v2, 23, v3
	v_or3_b32 v1, v0, v2, v1
.LBB6_21249:                            ;   in Loop: Header=BB6_20564 Depth=3
	s_or_b64 exec, exec, s[36:37]
.LBB6_21250:                            ;   in Loop: Header=BB6_20564 Depth=3
	s_or_b64 exec, exec, s[34:35]
.LBB6_21251:                            ;   in Loop: Header=BB6_20564 Depth=3
	s_or_b64 exec, exec, s[28:29]
	v_mul_f32_e32 v1, s9, v1
	v_and_b32_e32 v2, 0x7f800000, v1
	v_mov_b32_e32 v3, v51
	v_cmp_ne_u64_e32 vcc, s[76:77], v[2:3]
                                        ; implicit-def: $vgpr0
                                        ; kill: killed $vgpr0
	s_and_saveexec_b64 s[28:29], vcc
	s_xor_b64 s[34:35], exec, s[28:29]
	s_cbranch_execz .LBB6_21269
; %bb.21252:                            ;   in Loop: Header=BB6_20564 Depth=3
	v_and_b32_e32 v2, 0x7fffffff, v1
	v_mov_b32_e32 v3, v51
	v_cmp_gt_u64_e32 vcc, s[78:79], v[2:3]
	v_and_b32_sdwa v0, v1, s96 dst_sel:DWORD dst_unused:UNUSED_PAD src0_sel:BYTE_3 src1_sel:DWORD
                                        ; implicit-def: $vgpr2
                                        ; kill: killed $vgpr2
	s_and_saveexec_b64 s[28:29], vcc
	s_xor_b64 s[36:37], exec, s[28:29]
	s_cbranch_execz .LBB6_21266
; %bb.21253:                            ;   in Loop: Header=BB6_20564 Depth=3
	v_cmp_ne_u32_e32 vcc, 0, v1
	v_mov_b32_e32 v2, 0
	buffer_store_dword v2, off, s[0:3], s33 offset:112 ; 4-byte Folded Spill
	s_and_saveexec_b64 s[38:39], vcc
	s_cbranch_execz .LBB6_21265
; %bb.21254:                            ;   in Loop: Header=BB6_20564 Depth=3
	v_and_b32_e32 v3, 0x7fffff, v1
	v_bfe_u32 v1, v1, 23, 8
	v_cmp_gt_u32_e64 s[28:29], s97, v1
	v_sub_u32_e32 v2, 0x79, v1
	v_cmp_eq_u32_e32 vcc, 0, v1
	v_cndmask_b32_e64 v2, 0, v2, s[28:29]
	v_mov_b32_e32 v6, 0x78
	v_or_b32_e32 v5, 0x800000, v3
	v_cndmask_b32_e32 v2, v2, v6, vcc
	v_cndmask_b32_e32 v5, v5, v3, vcc
	v_add_u32_e32 v3, 20, v2
	v_lshlrev_b64 v[14:15], v3, -1
	v_add_u32_e32 v3, 19, v2
	v_lshlrev_b64 v[16:17], v3, 1
	v_mov_b32_e32 v6, v51
	v_bfi_b32 v15, v15, 0, 0
	v_bfi_b32 v14, v14, 0, v5
	v_cmp_eq_u64_e64 s[28:29], v[14:15], v[16:17]
	v_lshrrev_b64 v[14:15], v2, v[5:6]
	v_mov_b32_e32 v16, v15
	v_mov_b32_e32 v15, v14
	s_and_saveexec_b64 s[48:49], s[28:29]
; %bb.21255:                            ;   in Loop: Header=BB6_20564 Depth=3
	v_bfe_u32 v3, v14, 20, 1
	v_add_co_u32_e64 v3, s[28:29], v14, v3
	v_add_co_u32_e64 v15, s[28:29], -1, v3
; %bb.21256:                            ;   in Loop: Header=BB6_20564 Depth=3
	s_or_b64 exec, exec, s[48:49]
	v_add_u32_e32 v1, 0xffffff81, v1
	v_mov_b32_e32 v3, 0xffffff82
	v_cndmask_b32_e32 v1, v1, v3, vcc
	v_lshrrev_b32_e32 v3, 23, v14
	v_add3_u32 v3, v2, v1, v3
	v_add_u32_e32 v2, 6, v3
	v_and_b32_e32 v1, 0xfffff, v15
	v_add_u32_e32 v14, v1, v14
	v_mov_b32_e32 v15, v51
	v_cmp_ne_u32_e32 vcc, 0, v2
                                        ; implicit-def: $vgpr1
	s_and_saveexec_b64 s[28:29], vcc
	s_xor_b64 s[28:29], exec, s[28:29]
; %bb.21257:                            ;   in Loop: Header=BB6_20564 Depth=3
	v_cmp_lt_u64_e32 vcc, s[88:89], v[14:15]
	v_add_u32_e32 v1, 7, v3
	v_cndmask_b32_e32 v1, v2, v1, vcc
	v_cndmask_b32_e64 v2, 0, 1, vcc
	v_lshrrev_b64 v[14:15], v2, v[14:15]
; %bb.21258:                            ;   in Loop: Header=BB6_20564 Depth=3
	s_andn2_saveexec_b64 s[28:29], s[28:29]
; %bb.21259:                            ;   in Loop: Header=BB6_20564 Depth=3
	v_bfe_u32 v1, v14, 23, 1
; %bb.21260:                            ;   in Loop: Header=BB6_20564 Depth=3
	s_or_b64 exec, exec, s[28:29]
	v_lshrrev_b64 v[2:3], 20, v[14:15]
	v_cmp_gt_i32_e32 vcc, 16, v1
	v_cndmask_b32_e32 v15, 0, v3, vcc
	v_cndmask_b32_e32 v14, 7, v2, vcc
	v_cmp_ne_u64_e32 vcc, 0, v[14:15]
	v_cmp_ne_u32_e64 s[28:29], 0, v1
	s_or_b64 s[28:29], s[28:29], vcc
                                        ; implicit-def: $vgpr2
                                        ; kill: killed $vgpr2
	s_and_saveexec_b64 vcc, s[28:29]
	s_xor_b64 s[28:29], exec, vcc
	s_cbranch_execz .LBB6_21262
; %bb.21261:                            ;   in Loop: Header=BB6_20564 Depth=3
	v_min_i32_e32 v1, 15, v1
	v_lshl_or_b32 v0, v1, 3, v0
	v_and_or_b32 v0, v14, 7, v0
	buffer_store_dword v0, off, s[0:3], s33 offset:112 ; 4-byte Folded Spill
                                        ; implicit-def: $vgpr0
.LBB6_21262:                            ;   in Loop: Header=BB6_20564 Depth=3
	s_andn2_saveexec_b64 s[28:29], s[28:29]
	s_cbranch_execz .LBB6_21264
; %bb.21263:                            ;   in Loop: Header=BB6_20564 Depth=3
	buffer_store_dword v0, off, s[0:3], s33 offset:112 ; 4-byte Folded Spill
.LBB6_21264:                            ;   in Loop: Header=BB6_20564 Depth=3
	s_or_b64 exec, exec, s[28:29]
.LBB6_21265:                            ;   in Loop: Header=BB6_20564 Depth=3
	s_or_b64 exec, exec, s[38:39]
                                        ; implicit-def: $vgpr0
.LBB6_21266:                            ;   in Loop: Header=BB6_20564 Depth=3
	s_andn2_saveexec_b64 s[28:29], s[36:37]
	s_cbranch_execz .LBB6_21268
; %bb.21267:                            ;   in Loop: Header=BB6_20564 Depth=3
	v_or_b32_e32 v0, 0x7e, v0
	buffer_store_dword v0, off, s[0:3], s33 offset:112 ; 4-byte Folded Spill
.LBB6_21268:                            ;   in Loop: Header=BB6_20564 Depth=3
	s_or_b64 exec, exec, s[28:29]
                                        ; implicit-def: $vgpr1
.LBB6_21269:                            ;   in Loop: Header=BB6_20564 Depth=3
	s_andn2_saveexec_b64 s[28:29], s[34:35]
	s_cbranch_execz .LBB6_21271
; %bb.21270:                            ;   in Loop: Header=BB6_20564 Depth=3
	v_or_b32_sdwa v0, v1, s86 dst_sel:DWORD dst_unused:UNUSED_PAD src0_sel:BYTE_3 src1_sel:DWORD
	buffer_store_dword v0, off, s[0:3], s33 offset:112 ; 4-byte Folded Spill
.LBB6_21271:                            ;   in Loop: Header=BB6_20564 Depth=3
	s_or_b64 exec, exec, s[28:29]
	flat_load_ubyte v0, v[8:9] offset:1728 glc slc
	v_mov_b32_e32 v1, 0
	s_waitcnt vmcnt(0) lgkmcnt(0)
	v_cmp_ne_u16_e32 vcc, 0, v0
	s_and_saveexec_b64 s[28:29], vcc
	s_cbranch_execz .LBB6_21277
; %bb.21272:                            ;   in Loop: Header=BB6_20564 Depth=3
	v_cmp_ne_u16_e32 vcc, s96, v0
	v_bfrev_b32_e32 v1, 1
	s_and_saveexec_b64 s[34:35], vcc
	s_cbranch_execz .LBB6_21276
; %bb.21273:                            ;   in Loop: Header=BB6_20564 Depth=3
	v_and_b32_e32 v14, 0xffff, v0
	v_and_b32_e32 v2, 0x7f, v14
	v_cmp_ne_u32_e32 vcc, s86, v2
	v_mov_b32_e32 v1, 0x7f800001
	s_and_saveexec_b64 s[36:37], vcc
	s_cbranch_execz .LBB6_21275
; %bb.21274:                            ;   in Loop: Header=BB6_20564 Depth=3
	v_and_b32_e32 v3, 7, v14
	v_ffbh_u32_e32 v1, v3
	v_min_u32_e32 v6, 32, v1
	v_subrev_u32_e32 v1, 28, v6
	v_lshrrev_b32_e32 v5, 3, v2
	v_cmp_gt_u32_e32 vcc, 8, v2
	v_lshlrev_b64 v[1:2], v1, v[14:15]
	v_sub_u32_e32 v2, 29, v6
	v_and_b32_e32 v1, 7, v1
	v_cndmask_b32_e32 v2, v5, v2, vcc
	v_cndmask_b32_e32 v1, v3, v1, vcc
	v_lshlrev_b32_e32 v0, 24, v0
	v_bfrev_b32_e32 v3, 60
	v_lshlrev_b32_e32 v1, 20, v1
	v_and_b32_e32 v0, 0x80000000, v0
	v_lshl_add_u32 v2, v2, 23, v3
	v_or3_b32 v1, v0, v2, v1
.LBB6_21275:                            ;   in Loop: Header=BB6_20564 Depth=3
	s_or_b64 exec, exec, s[36:37]
.LBB6_21276:                            ;   in Loop: Header=BB6_20564 Depth=3
	s_or_b64 exec, exec, s[34:35]
.LBB6_21277:                            ;   in Loop: Header=BB6_20564 Depth=3
	s_or_b64 exec, exec, s[28:29]
	v_mul_f32_e32 v1, s9, v1
	v_and_b32_e32 v2, 0x7f800000, v1
	v_mov_b32_e32 v3, v51
	v_cmp_ne_u64_e32 vcc, s[76:77], v[2:3]
                                        ; implicit-def: $vgpr0
                                        ; kill: killed $vgpr0
	s_and_saveexec_b64 s[28:29], vcc
	s_xor_b64 s[34:35], exec, s[28:29]
	s_cbranch_execz .LBB6_21295
; %bb.21278:                            ;   in Loop: Header=BB6_20564 Depth=3
	v_and_b32_e32 v2, 0x7fffffff, v1
	v_mov_b32_e32 v3, v51
	v_cmp_gt_u64_e32 vcc, s[78:79], v[2:3]
	v_and_b32_sdwa v0, v1, s96 dst_sel:DWORD dst_unused:UNUSED_PAD src0_sel:BYTE_3 src1_sel:DWORD
                                        ; implicit-def: $vgpr2
                                        ; kill: killed $vgpr2
	s_and_saveexec_b64 s[28:29], vcc
	s_xor_b64 s[36:37], exec, s[28:29]
	s_cbranch_execz .LBB6_21292
; %bb.21279:                            ;   in Loop: Header=BB6_20564 Depth=3
	v_cmp_ne_u32_e32 vcc, 0, v1
	v_mov_b32_e32 v2, 0
	buffer_store_dword v2, off, s[0:3], s33 offset:108 ; 4-byte Folded Spill
	s_and_saveexec_b64 s[38:39], vcc
	s_cbranch_execz .LBB6_21291
; %bb.21280:                            ;   in Loop: Header=BB6_20564 Depth=3
	v_and_b32_e32 v3, 0x7fffff, v1
	v_bfe_u32 v1, v1, 23, 8
	v_cmp_gt_u32_e64 s[28:29], s97, v1
	v_sub_u32_e32 v2, 0x79, v1
	v_cmp_eq_u32_e32 vcc, 0, v1
	v_cndmask_b32_e64 v2, 0, v2, s[28:29]
	v_mov_b32_e32 v6, 0x78
	v_or_b32_e32 v5, 0x800000, v3
	v_cndmask_b32_e32 v2, v2, v6, vcc
	v_cndmask_b32_e32 v5, v5, v3, vcc
	v_add_u32_e32 v3, 20, v2
	v_lshlrev_b64 v[14:15], v3, -1
	v_add_u32_e32 v3, 19, v2
	v_lshlrev_b64 v[16:17], v3, 1
	v_mov_b32_e32 v6, v51
	v_bfi_b32 v15, v15, 0, 0
	v_bfi_b32 v14, v14, 0, v5
	v_cmp_eq_u64_e64 s[28:29], v[14:15], v[16:17]
	v_lshrrev_b64 v[14:15], v2, v[5:6]
	v_mov_b32_e32 v16, v15
	v_mov_b32_e32 v15, v14
	s_and_saveexec_b64 s[48:49], s[28:29]
; %bb.21281:                            ;   in Loop: Header=BB6_20564 Depth=3
	v_bfe_u32 v3, v14, 20, 1
	v_add_co_u32_e64 v3, s[28:29], v14, v3
	v_add_co_u32_e64 v15, s[28:29], -1, v3
; %bb.21282:                            ;   in Loop: Header=BB6_20564 Depth=3
	s_or_b64 exec, exec, s[48:49]
	v_add_u32_e32 v1, 0xffffff81, v1
	v_mov_b32_e32 v3, 0xffffff82
	v_cndmask_b32_e32 v1, v1, v3, vcc
	v_lshrrev_b32_e32 v3, 23, v14
	v_add3_u32 v3, v2, v1, v3
	v_add_u32_e32 v2, 6, v3
	v_and_b32_e32 v1, 0xfffff, v15
	v_add_u32_e32 v14, v1, v14
	v_mov_b32_e32 v15, v51
	v_cmp_ne_u32_e32 vcc, 0, v2
                                        ; implicit-def: $vgpr1
	s_and_saveexec_b64 s[28:29], vcc
	s_xor_b64 s[28:29], exec, s[28:29]
; %bb.21283:                            ;   in Loop: Header=BB6_20564 Depth=3
	v_cmp_lt_u64_e32 vcc, s[88:89], v[14:15]
	v_add_u32_e32 v1, 7, v3
	v_cndmask_b32_e32 v1, v2, v1, vcc
	v_cndmask_b32_e64 v2, 0, 1, vcc
	v_lshrrev_b64 v[14:15], v2, v[14:15]
; %bb.21284:                            ;   in Loop: Header=BB6_20564 Depth=3
	s_andn2_saveexec_b64 s[28:29], s[28:29]
; %bb.21285:                            ;   in Loop: Header=BB6_20564 Depth=3
	v_bfe_u32 v1, v14, 23, 1
; %bb.21286:                            ;   in Loop: Header=BB6_20564 Depth=3
	s_or_b64 exec, exec, s[28:29]
	v_lshrrev_b64 v[2:3], 20, v[14:15]
	v_cmp_gt_i32_e32 vcc, 16, v1
	v_cndmask_b32_e32 v15, 0, v3, vcc
	v_cndmask_b32_e32 v14, 7, v2, vcc
	v_cmp_ne_u64_e32 vcc, 0, v[14:15]
	v_cmp_ne_u32_e64 s[28:29], 0, v1
	s_or_b64 s[28:29], s[28:29], vcc
                                        ; implicit-def: $vgpr2
                                        ; kill: killed $vgpr2
	s_and_saveexec_b64 vcc, s[28:29]
	s_xor_b64 s[28:29], exec, vcc
	s_cbranch_execz .LBB6_21288
; %bb.21287:                            ;   in Loop: Header=BB6_20564 Depth=3
	v_min_i32_e32 v1, 15, v1
	v_lshl_or_b32 v0, v1, 3, v0
	v_and_or_b32 v0, v14, 7, v0
	buffer_store_dword v0, off, s[0:3], s33 offset:108 ; 4-byte Folded Spill
                                        ; implicit-def: $vgpr0
.LBB6_21288:                            ;   in Loop: Header=BB6_20564 Depth=3
	s_andn2_saveexec_b64 s[28:29], s[28:29]
	s_cbranch_execz .LBB6_21290
; %bb.21289:                            ;   in Loop: Header=BB6_20564 Depth=3
	buffer_store_dword v0, off, s[0:3], s33 offset:108 ; 4-byte Folded Spill
.LBB6_21290:                            ;   in Loop: Header=BB6_20564 Depth=3
	s_or_b64 exec, exec, s[28:29]
.LBB6_21291:                            ;   in Loop: Header=BB6_20564 Depth=3
	s_or_b64 exec, exec, s[38:39]
                                        ; implicit-def: $vgpr0
.LBB6_21292:                            ;   in Loop: Header=BB6_20564 Depth=3
	s_andn2_saveexec_b64 s[28:29], s[36:37]
	s_cbranch_execz .LBB6_21294
; %bb.21293:                            ;   in Loop: Header=BB6_20564 Depth=3
	v_or_b32_e32 v0, 0x7e, v0
	buffer_store_dword v0, off, s[0:3], s33 offset:108 ; 4-byte Folded Spill
.LBB6_21294:                            ;   in Loop: Header=BB6_20564 Depth=3
	s_or_b64 exec, exec, s[28:29]
                                        ; implicit-def: $vgpr1
.LBB6_21295:                            ;   in Loop: Header=BB6_20564 Depth=3
	s_andn2_saveexec_b64 s[28:29], s[34:35]
	s_cbranch_execz .LBB6_21297
; %bb.21296:                            ;   in Loop: Header=BB6_20564 Depth=3
	v_or_b32_sdwa v0, v1, s86 dst_sel:DWORD dst_unused:UNUSED_PAD src0_sel:BYTE_3 src1_sel:DWORD
	buffer_store_dword v0, off, s[0:3], s33 offset:108 ; 4-byte Folded Spill
.LBB6_21297:                            ;   in Loop: Header=BB6_20564 Depth=3
	s_or_b64 exec, exec, s[28:29]
	flat_load_ubyte v0, v[8:9] offset:1792 glc slc
	v_mov_b32_e32 v1, 0
	s_waitcnt vmcnt(0) lgkmcnt(0)
	v_cmp_ne_u16_e32 vcc, 0, v0
	s_and_saveexec_b64 s[28:29], vcc
	s_cbranch_execz .LBB6_21303
; %bb.21298:                            ;   in Loop: Header=BB6_20564 Depth=3
	v_cmp_ne_u16_e32 vcc, s96, v0
	v_bfrev_b32_e32 v1, 1
	s_and_saveexec_b64 s[34:35], vcc
	s_cbranch_execz .LBB6_21302
; %bb.21299:                            ;   in Loop: Header=BB6_20564 Depth=3
	v_and_b32_e32 v14, 0xffff, v0
	v_and_b32_e32 v2, 0x7f, v14
	v_cmp_ne_u32_e32 vcc, s86, v2
	v_mov_b32_e32 v1, 0x7f800001
	s_and_saveexec_b64 s[36:37], vcc
	s_cbranch_execz .LBB6_21301
; %bb.21300:                            ;   in Loop: Header=BB6_20564 Depth=3
	v_and_b32_e32 v3, 7, v14
	v_ffbh_u32_e32 v1, v3
	v_min_u32_e32 v6, 32, v1
	v_subrev_u32_e32 v1, 28, v6
	v_lshrrev_b32_e32 v5, 3, v2
	v_cmp_gt_u32_e32 vcc, 8, v2
	v_lshlrev_b64 v[1:2], v1, v[14:15]
	v_sub_u32_e32 v2, 29, v6
	v_and_b32_e32 v1, 7, v1
	v_cndmask_b32_e32 v2, v5, v2, vcc
	v_cndmask_b32_e32 v1, v3, v1, vcc
	v_lshlrev_b32_e32 v0, 24, v0
	v_bfrev_b32_e32 v3, 60
	v_lshlrev_b32_e32 v1, 20, v1
	v_and_b32_e32 v0, 0x80000000, v0
	v_lshl_add_u32 v2, v2, 23, v3
	v_or3_b32 v1, v0, v2, v1
.LBB6_21301:                            ;   in Loop: Header=BB6_20564 Depth=3
	s_or_b64 exec, exec, s[36:37]
.LBB6_21302:                            ;   in Loop: Header=BB6_20564 Depth=3
	s_or_b64 exec, exec, s[34:35]
.LBB6_21303:                            ;   in Loop: Header=BB6_20564 Depth=3
	s_or_b64 exec, exec, s[28:29]
	v_mul_f32_e32 v1, s9, v1
	v_and_b32_e32 v2, 0x7f800000, v1
	v_mov_b32_e32 v3, v51
	v_cmp_ne_u64_e32 vcc, s[76:77], v[2:3]
                                        ; implicit-def: $vgpr0
                                        ; kill: killed $vgpr0
	s_and_saveexec_b64 s[28:29], vcc
	s_xor_b64 s[34:35], exec, s[28:29]
	s_cbranch_execz .LBB6_21321
; %bb.21304:                            ;   in Loop: Header=BB6_20564 Depth=3
	v_and_b32_e32 v2, 0x7fffffff, v1
	v_mov_b32_e32 v3, v51
	v_cmp_gt_u64_e32 vcc, s[78:79], v[2:3]
	v_and_b32_sdwa v0, v1, s96 dst_sel:DWORD dst_unused:UNUSED_PAD src0_sel:BYTE_3 src1_sel:DWORD
                                        ; implicit-def: $vgpr2
                                        ; kill: killed $vgpr2
	s_and_saveexec_b64 s[28:29], vcc
	s_xor_b64 s[36:37], exec, s[28:29]
	s_cbranch_execz .LBB6_21318
; %bb.21305:                            ;   in Loop: Header=BB6_20564 Depth=3
	v_cmp_ne_u32_e32 vcc, 0, v1
	v_mov_b32_e32 v2, 0
	buffer_store_dword v2, off, s[0:3], s33 offset:104 ; 4-byte Folded Spill
	s_and_saveexec_b64 s[38:39], vcc
	s_cbranch_execz .LBB6_21317
; %bb.21306:                            ;   in Loop: Header=BB6_20564 Depth=3
	v_and_b32_e32 v3, 0x7fffff, v1
	v_bfe_u32 v1, v1, 23, 8
	v_cmp_gt_u32_e64 s[28:29], s97, v1
	v_sub_u32_e32 v2, 0x79, v1
	v_cmp_eq_u32_e32 vcc, 0, v1
	v_cndmask_b32_e64 v2, 0, v2, s[28:29]
	v_mov_b32_e32 v6, 0x78
	v_or_b32_e32 v5, 0x800000, v3
	v_cndmask_b32_e32 v2, v2, v6, vcc
	v_cndmask_b32_e32 v5, v5, v3, vcc
	v_add_u32_e32 v3, 20, v2
	v_lshlrev_b64 v[14:15], v3, -1
	v_add_u32_e32 v3, 19, v2
	v_lshlrev_b64 v[16:17], v3, 1
	v_mov_b32_e32 v6, v51
	v_bfi_b32 v15, v15, 0, 0
	v_bfi_b32 v14, v14, 0, v5
	v_cmp_eq_u64_e64 s[28:29], v[14:15], v[16:17]
	v_lshrrev_b64 v[14:15], v2, v[5:6]
	v_mov_b32_e32 v16, v15
	v_mov_b32_e32 v15, v14
	s_and_saveexec_b64 s[48:49], s[28:29]
; %bb.21307:                            ;   in Loop: Header=BB6_20564 Depth=3
	v_bfe_u32 v3, v14, 20, 1
	v_add_co_u32_e64 v3, s[28:29], v14, v3
	v_add_co_u32_e64 v15, s[28:29], -1, v3
; %bb.21308:                            ;   in Loop: Header=BB6_20564 Depth=3
	s_or_b64 exec, exec, s[48:49]
	v_add_u32_e32 v1, 0xffffff81, v1
	v_mov_b32_e32 v3, 0xffffff82
	v_cndmask_b32_e32 v1, v1, v3, vcc
	v_lshrrev_b32_e32 v3, 23, v14
	v_add3_u32 v3, v2, v1, v3
	v_add_u32_e32 v2, 6, v3
	v_and_b32_e32 v1, 0xfffff, v15
	v_add_u32_e32 v14, v1, v14
	v_mov_b32_e32 v15, v51
	v_cmp_ne_u32_e32 vcc, 0, v2
                                        ; implicit-def: $vgpr1
	s_and_saveexec_b64 s[28:29], vcc
	s_xor_b64 s[28:29], exec, s[28:29]
; %bb.21309:                            ;   in Loop: Header=BB6_20564 Depth=3
	v_cmp_lt_u64_e32 vcc, s[88:89], v[14:15]
	v_add_u32_e32 v1, 7, v3
	v_cndmask_b32_e32 v1, v2, v1, vcc
	v_cndmask_b32_e64 v2, 0, 1, vcc
	v_lshrrev_b64 v[14:15], v2, v[14:15]
; %bb.21310:                            ;   in Loop: Header=BB6_20564 Depth=3
	s_andn2_saveexec_b64 s[28:29], s[28:29]
; %bb.21311:                            ;   in Loop: Header=BB6_20564 Depth=3
	v_bfe_u32 v1, v14, 23, 1
; %bb.21312:                            ;   in Loop: Header=BB6_20564 Depth=3
	s_or_b64 exec, exec, s[28:29]
	v_lshrrev_b64 v[2:3], 20, v[14:15]
	v_cmp_gt_i32_e32 vcc, 16, v1
	v_cndmask_b32_e32 v15, 0, v3, vcc
	v_cndmask_b32_e32 v14, 7, v2, vcc
	v_cmp_ne_u64_e32 vcc, 0, v[14:15]
	v_cmp_ne_u32_e64 s[28:29], 0, v1
	s_or_b64 s[28:29], s[28:29], vcc
                                        ; implicit-def: $vgpr2
                                        ; kill: killed $vgpr2
	s_and_saveexec_b64 vcc, s[28:29]
	s_xor_b64 s[28:29], exec, vcc
	s_cbranch_execz .LBB6_21314
; %bb.21313:                            ;   in Loop: Header=BB6_20564 Depth=3
	v_min_i32_e32 v1, 15, v1
	v_lshl_or_b32 v0, v1, 3, v0
	v_and_or_b32 v0, v14, 7, v0
	buffer_store_dword v0, off, s[0:3], s33 offset:104 ; 4-byte Folded Spill
                                        ; implicit-def: $vgpr0
.LBB6_21314:                            ;   in Loop: Header=BB6_20564 Depth=3
	s_andn2_saveexec_b64 s[28:29], s[28:29]
	s_cbranch_execz .LBB6_21316
; %bb.21315:                            ;   in Loop: Header=BB6_20564 Depth=3
	buffer_store_dword v0, off, s[0:3], s33 offset:104 ; 4-byte Folded Spill
.LBB6_21316:                            ;   in Loop: Header=BB6_20564 Depth=3
	s_or_b64 exec, exec, s[28:29]
.LBB6_21317:                            ;   in Loop: Header=BB6_20564 Depth=3
	s_or_b64 exec, exec, s[38:39]
                                        ; implicit-def: $vgpr0
.LBB6_21318:                            ;   in Loop: Header=BB6_20564 Depth=3
	s_andn2_saveexec_b64 s[28:29], s[36:37]
	s_cbranch_execz .LBB6_21320
; %bb.21319:                            ;   in Loop: Header=BB6_20564 Depth=3
	v_or_b32_e32 v0, 0x7e, v0
	buffer_store_dword v0, off, s[0:3], s33 offset:104 ; 4-byte Folded Spill
.LBB6_21320:                            ;   in Loop: Header=BB6_20564 Depth=3
	s_or_b64 exec, exec, s[28:29]
                                        ; implicit-def: $vgpr1
.LBB6_21321:                            ;   in Loop: Header=BB6_20564 Depth=3
	s_andn2_saveexec_b64 s[28:29], s[34:35]
	s_cbranch_execz .LBB6_21323
; %bb.21322:                            ;   in Loop: Header=BB6_20564 Depth=3
	v_or_b32_sdwa v0, v1, s86 dst_sel:DWORD dst_unused:UNUSED_PAD src0_sel:BYTE_3 src1_sel:DWORD
	buffer_store_dword v0, off, s[0:3], s33 offset:104 ; 4-byte Folded Spill
.LBB6_21323:                            ;   in Loop: Header=BB6_20564 Depth=3
	s_or_b64 exec, exec, s[28:29]
	flat_load_ubyte v0, v[8:9] offset:1856 glc slc
	v_mov_b32_e32 v1, 0
	s_waitcnt vmcnt(0) lgkmcnt(0)
	v_cmp_ne_u16_e32 vcc, 0, v0
	s_and_saveexec_b64 s[28:29], vcc
	s_cbranch_execz .LBB6_21329
; %bb.21324:                            ;   in Loop: Header=BB6_20564 Depth=3
	v_cmp_ne_u16_e32 vcc, s96, v0
	v_bfrev_b32_e32 v1, 1
	s_and_saveexec_b64 s[34:35], vcc
	s_cbranch_execz .LBB6_21328
; %bb.21325:                            ;   in Loop: Header=BB6_20564 Depth=3
	v_and_b32_e32 v14, 0xffff, v0
	v_and_b32_e32 v2, 0x7f, v14
	v_cmp_ne_u32_e32 vcc, s86, v2
	v_mov_b32_e32 v1, 0x7f800001
	s_and_saveexec_b64 s[36:37], vcc
	s_cbranch_execz .LBB6_21327
; %bb.21326:                            ;   in Loop: Header=BB6_20564 Depth=3
	v_and_b32_e32 v3, 7, v14
	v_ffbh_u32_e32 v1, v3
	v_min_u32_e32 v6, 32, v1
	v_subrev_u32_e32 v1, 28, v6
	v_lshrrev_b32_e32 v5, 3, v2
	v_cmp_gt_u32_e32 vcc, 8, v2
	v_lshlrev_b64 v[1:2], v1, v[14:15]
	v_sub_u32_e32 v2, 29, v6
	v_and_b32_e32 v1, 7, v1
	v_cndmask_b32_e32 v2, v5, v2, vcc
	v_cndmask_b32_e32 v1, v3, v1, vcc
	v_lshlrev_b32_e32 v0, 24, v0
	v_bfrev_b32_e32 v3, 60
	v_lshlrev_b32_e32 v1, 20, v1
	v_and_b32_e32 v0, 0x80000000, v0
	v_lshl_add_u32 v2, v2, 23, v3
	v_or3_b32 v1, v0, v2, v1
.LBB6_21327:                            ;   in Loop: Header=BB6_20564 Depth=3
	s_or_b64 exec, exec, s[36:37]
.LBB6_21328:                            ;   in Loop: Header=BB6_20564 Depth=3
	s_or_b64 exec, exec, s[34:35]
.LBB6_21329:                            ;   in Loop: Header=BB6_20564 Depth=3
	s_or_b64 exec, exec, s[28:29]
	v_mul_f32_e32 v1, s9, v1
	v_and_b32_e32 v2, 0x7f800000, v1
	v_mov_b32_e32 v3, v51
	v_cmp_ne_u64_e32 vcc, s[76:77], v[2:3]
                                        ; implicit-def: $vgpr0
                                        ; kill: killed $vgpr0
	s_and_saveexec_b64 s[28:29], vcc
	s_xor_b64 s[34:35], exec, s[28:29]
	s_cbranch_execz .LBB6_21347
; %bb.21330:                            ;   in Loop: Header=BB6_20564 Depth=3
	v_and_b32_e32 v2, 0x7fffffff, v1
	v_mov_b32_e32 v3, v51
	v_cmp_gt_u64_e32 vcc, s[78:79], v[2:3]
	v_and_b32_sdwa v0, v1, s96 dst_sel:DWORD dst_unused:UNUSED_PAD src0_sel:BYTE_3 src1_sel:DWORD
                                        ; implicit-def: $vgpr2
                                        ; kill: killed $vgpr2
	s_and_saveexec_b64 s[28:29], vcc
	s_xor_b64 s[36:37], exec, s[28:29]
	s_cbranch_execz .LBB6_21344
; %bb.21331:                            ;   in Loop: Header=BB6_20564 Depth=3
	v_cmp_ne_u32_e32 vcc, 0, v1
	v_mov_b32_e32 v2, 0
	buffer_store_dword v2, off, s[0:3], s33 offset:100 ; 4-byte Folded Spill
	s_and_saveexec_b64 s[38:39], vcc
	s_cbranch_execz .LBB6_21343
; %bb.21332:                            ;   in Loop: Header=BB6_20564 Depth=3
	v_and_b32_e32 v3, 0x7fffff, v1
	v_bfe_u32 v1, v1, 23, 8
	v_cmp_gt_u32_e64 s[28:29], s97, v1
	v_sub_u32_e32 v2, 0x79, v1
	v_cmp_eq_u32_e32 vcc, 0, v1
	v_cndmask_b32_e64 v2, 0, v2, s[28:29]
	v_mov_b32_e32 v6, 0x78
	v_or_b32_e32 v5, 0x800000, v3
	v_cndmask_b32_e32 v2, v2, v6, vcc
	v_cndmask_b32_e32 v5, v5, v3, vcc
	v_add_u32_e32 v3, 20, v2
	v_lshlrev_b64 v[14:15], v3, -1
	v_add_u32_e32 v3, 19, v2
	v_lshlrev_b64 v[16:17], v3, 1
	v_mov_b32_e32 v6, v51
	v_bfi_b32 v15, v15, 0, 0
	v_bfi_b32 v14, v14, 0, v5
	v_cmp_eq_u64_e64 s[28:29], v[14:15], v[16:17]
	v_lshrrev_b64 v[14:15], v2, v[5:6]
	v_mov_b32_e32 v16, v15
	v_mov_b32_e32 v15, v14
	s_and_saveexec_b64 s[48:49], s[28:29]
; %bb.21333:                            ;   in Loop: Header=BB6_20564 Depth=3
	v_bfe_u32 v3, v14, 20, 1
	v_add_co_u32_e64 v3, s[28:29], v14, v3
	v_add_co_u32_e64 v15, s[28:29], -1, v3
; %bb.21334:                            ;   in Loop: Header=BB6_20564 Depth=3
	s_or_b64 exec, exec, s[48:49]
	v_add_u32_e32 v1, 0xffffff81, v1
	v_mov_b32_e32 v3, 0xffffff82
	v_cndmask_b32_e32 v1, v1, v3, vcc
	v_lshrrev_b32_e32 v3, 23, v14
	v_add3_u32 v3, v2, v1, v3
	v_add_u32_e32 v2, 6, v3
	v_and_b32_e32 v1, 0xfffff, v15
	v_add_u32_e32 v14, v1, v14
	v_mov_b32_e32 v15, v51
	v_cmp_ne_u32_e32 vcc, 0, v2
                                        ; implicit-def: $vgpr1
	s_and_saveexec_b64 s[28:29], vcc
	s_xor_b64 s[28:29], exec, s[28:29]
; %bb.21335:                            ;   in Loop: Header=BB6_20564 Depth=3
	v_cmp_lt_u64_e32 vcc, s[88:89], v[14:15]
	v_add_u32_e32 v1, 7, v3
	v_cndmask_b32_e32 v1, v2, v1, vcc
	v_cndmask_b32_e64 v2, 0, 1, vcc
	v_lshrrev_b64 v[14:15], v2, v[14:15]
; %bb.21336:                            ;   in Loop: Header=BB6_20564 Depth=3
	s_andn2_saveexec_b64 s[28:29], s[28:29]
; %bb.21337:                            ;   in Loop: Header=BB6_20564 Depth=3
	v_bfe_u32 v1, v14, 23, 1
; %bb.21338:                            ;   in Loop: Header=BB6_20564 Depth=3
	s_or_b64 exec, exec, s[28:29]
	v_lshrrev_b64 v[2:3], 20, v[14:15]
	v_cmp_gt_i32_e32 vcc, 16, v1
	v_cndmask_b32_e32 v15, 0, v3, vcc
	v_cndmask_b32_e32 v14, 7, v2, vcc
	v_cmp_ne_u64_e32 vcc, 0, v[14:15]
	v_cmp_ne_u32_e64 s[28:29], 0, v1
	s_or_b64 s[28:29], s[28:29], vcc
                                        ; implicit-def: $vgpr2
                                        ; kill: killed $vgpr2
	s_and_saveexec_b64 vcc, s[28:29]
	s_xor_b64 s[28:29], exec, vcc
	s_cbranch_execz .LBB6_21340
; %bb.21339:                            ;   in Loop: Header=BB6_20564 Depth=3
	v_min_i32_e32 v1, 15, v1
	v_lshl_or_b32 v0, v1, 3, v0
	v_and_or_b32 v0, v14, 7, v0
	buffer_store_dword v0, off, s[0:3], s33 offset:100 ; 4-byte Folded Spill
                                        ; implicit-def: $vgpr0
.LBB6_21340:                            ;   in Loop: Header=BB6_20564 Depth=3
	s_andn2_saveexec_b64 s[28:29], s[28:29]
	s_cbranch_execz .LBB6_21342
; %bb.21341:                            ;   in Loop: Header=BB6_20564 Depth=3
	buffer_store_dword v0, off, s[0:3], s33 offset:100 ; 4-byte Folded Spill
.LBB6_21342:                            ;   in Loop: Header=BB6_20564 Depth=3
	s_or_b64 exec, exec, s[28:29]
.LBB6_21343:                            ;   in Loop: Header=BB6_20564 Depth=3
	s_or_b64 exec, exec, s[38:39]
                                        ; implicit-def: $vgpr0
.LBB6_21344:                            ;   in Loop: Header=BB6_20564 Depth=3
	s_andn2_saveexec_b64 s[28:29], s[36:37]
	s_cbranch_execz .LBB6_21346
; %bb.21345:                            ;   in Loop: Header=BB6_20564 Depth=3
	v_or_b32_e32 v0, 0x7e, v0
	buffer_store_dword v0, off, s[0:3], s33 offset:100 ; 4-byte Folded Spill
.LBB6_21346:                            ;   in Loop: Header=BB6_20564 Depth=3
	s_or_b64 exec, exec, s[28:29]
                                        ; implicit-def: $vgpr1
.LBB6_21347:                            ;   in Loop: Header=BB6_20564 Depth=3
	s_andn2_saveexec_b64 s[28:29], s[34:35]
	s_cbranch_execz .LBB6_21349
; %bb.21348:                            ;   in Loop: Header=BB6_20564 Depth=3
	v_or_b32_sdwa v0, v1, s86 dst_sel:DWORD dst_unused:UNUSED_PAD src0_sel:BYTE_3 src1_sel:DWORD
	buffer_store_dword v0, off, s[0:3], s33 offset:100 ; 4-byte Folded Spill
.LBB6_21349:                            ;   in Loop: Header=BB6_20564 Depth=3
	s_or_b64 exec, exec, s[28:29]
	flat_load_ubyte v0, v[8:9] offset:1920 glc slc
	v_mov_b32_e32 v1, 0
	s_waitcnt vmcnt(0) lgkmcnt(0)
	v_cmp_ne_u16_e32 vcc, 0, v0
	s_and_saveexec_b64 s[28:29], vcc
	s_cbranch_execz .LBB6_21355
; %bb.21350:                            ;   in Loop: Header=BB6_20564 Depth=3
	v_cmp_ne_u16_e32 vcc, s96, v0
	v_bfrev_b32_e32 v1, 1
	s_and_saveexec_b64 s[34:35], vcc
	s_cbranch_execz .LBB6_21354
; %bb.21351:                            ;   in Loop: Header=BB6_20564 Depth=3
	v_and_b32_e32 v14, 0xffff, v0
	v_and_b32_e32 v2, 0x7f, v14
	v_cmp_ne_u32_e32 vcc, s86, v2
	v_mov_b32_e32 v1, 0x7f800001
	s_and_saveexec_b64 s[36:37], vcc
	s_cbranch_execz .LBB6_21353
; %bb.21352:                            ;   in Loop: Header=BB6_20564 Depth=3
	v_and_b32_e32 v3, 7, v14
	v_ffbh_u32_e32 v1, v3
	v_min_u32_e32 v6, 32, v1
	v_subrev_u32_e32 v1, 28, v6
	v_lshrrev_b32_e32 v5, 3, v2
	v_cmp_gt_u32_e32 vcc, 8, v2
	v_lshlrev_b64 v[1:2], v1, v[14:15]
	v_sub_u32_e32 v2, 29, v6
	v_and_b32_e32 v1, 7, v1
	v_cndmask_b32_e32 v2, v5, v2, vcc
	v_cndmask_b32_e32 v1, v3, v1, vcc
	v_lshlrev_b32_e32 v0, 24, v0
	v_bfrev_b32_e32 v3, 60
	v_lshlrev_b32_e32 v1, 20, v1
	v_and_b32_e32 v0, 0x80000000, v0
	v_lshl_add_u32 v2, v2, 23, v3
	v_or3_b32 v1, v0, v2, v1
.LBB6_21353:                            ;   in Loop: Header=BB6_20564 Depth=3
	s_or_b64 exec, exec, s[36:37]
.LBB6_21354:                            ;   in Loop: Header=BB6_20564 Depth=3
	s_or_b64 exec, exec, s[34:35]
.LBB6_21355:                            ;   in Loop: Header=BB6_20564 Depth=3
	s_or_b64 exec, exec, s[28:29]
	v_mul_f32_e32 v1, s9, v1
	v_and_b32_e32 v2, 0x7f800000, v1
	v_mov_b32_e32 v3, v51
	v_cmp_ne_u64_e32 vcc, s[76:77], v[2:3]
                                        ; implicit-def: $vgpr0
                                        ; kill: killed $vgpr0
	s_and_saveexec_b64 s[28:29], vcc
	s_xor_b64 s[34:35], exec, s[28:29]
	s_cbranch_execz .LBB6_21373
; %bb.21356:                            ;   in Loop: Header=BB6_20564 Depth=3
	v_and_b32_e32 v2, 0x7fffffff, v1
	v_mov_b32_e32 v3, v51
	v_cmp_gt_u64_e32 vcc, s[78:79], v[2:3]
	v_and_b32_sdwa v0, v1, s96 dst_sel:DWORD dst_unused:UNUSED_PAD src0_sel:BYTE_3 src1_sel:DWORD
                                        ; implicit-def: $vgpr2
                                        ; kill: killed $vgpr2
	s_and_saveexec_b64 s[28:29], vcc
	s_xor_b64 s[36:37], exec, s[28:29]
	s_cbranch_execz .LBB6_21370
; %bb.21357:                            ;   in Loop: Header=BB6_20564 Depth=3
	v_cmp_ne_u32_e32 vcc, 0, v1
	v_mov_b32_e32 v2, 0
	buffer_store_dword v2, off, s[0:3], s33 offset:96 ; 4-byte Folded Spill
	s_and_saveexec_b64 s[38:39], vcc
	s_cbranch_execz .LBB6_21369
; %bb.21358:                            ;   in Loop: Header=BB6_20564 Depth=3
	v_and_b32_e32 v3, 0x7fffff, v1
	v_bfe_u32 v1, v1, 23, 8
	v_cmp_gt_u32_e64 s[28:29], s97, v1
	v_sub_u32_e32 v2, 0x79, v1
	v_cmp_eq_u32_e32 vcc, 0, v1
	v_cndmask_b32_e64 v2, 0, v2, s[28:29]
	v_mov_b32_e32 v6, 0x78
	v_or_b32_e32 v5, 0x800000, v3
	v_cndmask_b32_e32 v2, v2, v6, vcc
	v_cndmask_b32_e32 v5, v5, v3, vcc
	v_add_u32_e32 v3, 20, v2
	v_lshlrev_b64 v[14:15], v3, -1
	v_add_u32_e32 v3, 19, v2
	v_lshlrev_b64 v[16:17], v3, 1
	v_mov_b32_e32 v6, v51
	v_bfi_b32 v15, v15, 0, 0
	v_bfi_b32 v14, v14, 0, v5
	v_cmp_eq_u64_e64 s[28:29], v[14:15], v[16:17]
	v_lshrrev_b64 v[14:15], v2, v[5:6]
	v_mov_b32_e32 v16, v15
	v_mov_b32_e32 v15, v14
	s_and_saveexec_b64 s[48:49], s[28:29]
; %bb.21359:                            ;   in Loop: Header=BB6_20564 Depth=3
	v_bfe_u32 v3, v14, 20, 1
	v_add_co_u32_e64 v3, s[28:29], v14, v3
	v_add_co_u32_e64 v15, s[28:29], -1, v3
; %bb.21360:                            ;   in Loop: Header=BB6_20564 Depth=3
	s_or_b64 exec, exec, s[48:49]
	v_add_u32_e32 v1, 0xffffff81, v1
	v_mov_b32_e32 v3, 0xffffff82
	v_cndmask_b32_e32 v1, v1, v3, vcc
	v_lshrrev_b32_e32 v3, 23, v14
	v_add3_u32 v3, v2, v1, v3
	v_add_u32_e32 v2, 6, v3
	v_and_b32_e32 v1, 0xfffff, v15
	v_add_u32_e32 v14, v1, v14
	v_mov_b32_e32 v15, v51
	v_cmp_ne_u32_e32 vcc, 0, v2
                                        ; implicit-def: $vgpr1
	s_and_saveexec_b64 s[28:29], vcc
	s_xor_b64 s[28:29], exec, s[28:29]
; %bb.21361:                            ;   in Loop: Header=BB6_20564 Depth=3
	v_cmp_lt_u64_e32 vcc, s[88:89], v[14:15]
	v_add_u32_e32 v1, 7, v3
	v_cndmask_b32_e32 v1, v2, v1, vcc
	v_cndmask_b32_e64 v2, 0, 1, vcc
	v_lshrrev_b64 v[14:15], v2, v[14:15]
; %bb.21362:                            ;   in Loop: Header=BB6_20564 Depth=3
	s_andn2_saveexec_b64 s[28:29], s[28:29]
; %bb.21363:                            ;   in Loop: Header=BB6_20564 Depth=3
	v_bfe_u32 v1, v14, 23, 1
; %bb.21364:                            ;   in Loop: Header=BB6_20564 Depth=3
	s_or_b64 exec, exec, s[28:29]
	v_lshrrev_b64 v[2:3], 20, v[14:15]
	v_cmp_gt_i32_e32 vcc, 16, v1
	v_cndmask_b32_e32 v15, 0, v3, vcc
	v_cndmask_b32_e32 v14, 7, v2, vcc
	v_cmp_ne_u64_e32 vcc, 0, v[14:15]
	v_cmp_ne_u32_e64 s[28:29], 0, v1
	s_or_b64 s[28:29], s[28:29], vcc
                                        ; implicit-def: $vgpr2
                                        ; kill: killed $vgpr2
	s_and_saveexec_b64 vcc, s[28:29]
	s_xor_b64 s[28:29], exec, vcc
	s_cbranch_execz .LBB6_21366
; %bb.21365:                            ;   in Loop: Header=BB6_20564 Depth=3
	v_min_i32_e32 v1, 15, v1
	v_lshl_or_b32 v0, v1, 3, v0
	v_and_or_b32 v0, v14, 7, v0
	buffer_store_dword v0, off, s[0:3], s33 offset:96 ; 4-byte Folded Spill
                                        ; implicit-def: $vgpr0
.LBB6_21366:                            ;   in Loop: Header=BB6_20564 Depth=3
	s_andn2_saveexec_b64 s[28:29], s[28:29]
	s_cbranch_execz .LBB6_21368
; %bb.21367:                            ;   in Loop: Header=BB6_20564 Depth=3
	buffer_store_dword v0, off, s[0:3], s33 offset:96 ; 4-byte Folded Spill
.LBB6_21368:                            ;   in Loop: Header=BB6_20564 Depth=3
	s_or_b64 exec, exec, s[28:29]
.LBB6_21369:                            ;   in Loop: Header=BB6_20564 Depth=3
	s_or_b64 exec, exec, s[38:39]
                                        ; implicit-def: $vgpr0
.LBB6_21370:                            ;   in Loop: Header=BB6_20564 Depth=3
	s_andn2_saveexec_b64 s[28:29], s[36:37]
	s_cbranch_execz .LBB6_21372
; %bb.21371:                            ;   in Loop: Header=BB6_20564 Depth=3
	v_or_b32_e32 v0, 0x7e, v0
	buffer_store_dword v0, off, s[0:3], s33 offset:96 ; 4-byte Folded Spill
.LBB6_21372:                            ;   in Loop: Header=BB6_20564 Depth=3
	s_or_b64 exec, exec, s[28:29]
                                        ; implicit-def: $vgpr1
.LBB6_21373:                            ;   in Loop: Header=BB6_20564 Depth=3
	s_andn2_saveexec_b64 s[28:29], s[34:35]
	s_cbranch_execz .LBB6_21375
; %bb.21374:                            ;   in Loop: Header=BB6_20564 Depth=3
	v_or_b32_sdwa v0, v1, s86 dst_sel:DWORD dst_unused:UNUSED_PAD src0_sel:BYTE_3 src1_sel:DWORD
	buffer_store_dword v0, off, s[0:3], s33 offset:96 ; 4-byte Folded Spill
.LBB6_21375:                            ;   in Loop: Header=BB6_20564 Depth=3
	s_or_b64 exec, exec, s[28:29]
	flat_load_ubyte v0, v[8:9] offset:1984 glc slc
	v_mov_b32_e32 v1, 0
	s_waitcnt vmcnt(0) lgkmcnt(0)
	v_cmp_ne_u16_e32 vcc, 0, v0
	s_and_saveexec_b64 s[28:29], vcc
	s_cbranch_execz .LBB6_21381
; %bb.21376:                            ;   in Loop: Header=BB6_20564 Depth=3
	v_cmp_ne_u16_e32 vcc, s96, v0
	v_bfrev_b32_e32 v1, 1
	s_and_saveexec_b64 s[34:35], vcc
	s_cbranch_execz .LBB6_21380
; %bb.21377:                            ;   in Loop: Header=BB6_20564 Depth=3
	v_and_b32_e32 v14, 0xffff, v0
	v_and_b32_e32 v2, 0x7f, v14
	v_cmp_ne_u32_e32 vcc, s86, v2
	v_mov_b32_e32 v1, 0x7f800001
	s_and_saveexec_b64 s[36:37], vcc
	s_cbranch_execz .LBB6_21379
; %bb.21378:                            ;   in Loop: Header=BB6_20564 Depth=3
	v_and_b32_e32 v3, 7, v14
	v_ffbh_u32_e32 v1, v3
	v_min_u32_e32 v6, 32, v1
	v_subrev_u32_e32 v1, 28, v6
	v_lshrrev_b32_e32 v5, 3, v2
	v_cmp_gt_u32_e32 vcc, 8, v2
	v_lshlrev_b64 v[1:2], v1, v[14:15]
	v_sub_u32_e32 v2, 29, v6
	v_and_b32_e32 v1, 7, v1
	v_cndmask_b32_e32 v2, v5, v2, vcc
	v_cndmask_b32_e32 v1, v3, v1, vcc
	v_lshlrev_b32_e32 v0, 24, v0
	v_bfrev_b32_e32 v3, 60
	v_lshlrev_b32_e32 v1, 20, v1
	v_and_b32_e32 v0, 0x80000000, v0
	v_lshl_add_u32 v2, v2, 23, v3
	v_or3_b32 v1, v0, v2, v1
.LBB6_21379:                            ;   in Loop: Header=BB6_20564 Depth=3
	s_or_b64 exec, exec, s[36:37]
.LBB6_21380:                            ;   in Loop: Header=BB6_20564 Depth=3
	s_or_b64 exec, exec, s[34:35]
.LBB6_21381:                            ;   in Loop: Header=BB6_20564 Depth=3
	s_or_b64 exec, exec, s[28:29]
	v_mul_f32_e32 v1, s9, v1
	v_and_b32_e32 v2, 0x7f800000, v1
	v_mov_b32_e32 v3, v51
	v_cmp_ne_u64_e32 vcc, s[76:77], v[2:3]
                                        ; implicit-def: $vgpr35
	s_and_saveexec_b64 s[28:29], vcc
	s_xor_b64 s[34:35], exec, s[28:29]
	s_cbranch_execz .LBB6_21399
; %bb.21382:                            ;   in Loop: Header=BB6_20564 Depth=3
	v_and_b32_e32 v2, 0x7fffffff, v1
	v_mov_b32_e32 v3, v51
	v_cmp_gt_u64_e32 vcc, s[78:79], v[2:3]
	v_and_b32_sdwa v0, v1, s96 dst_sel:DWORD dst_unused:UNUSED_PAD src0_sel:BYTE_3 src1_sel:DWORD
                                        ; implicit-def: $vgpr35
	s_and_saveexec_b64 s[28:29], vcc
	s_xor_b64 s[36:37], exec, s[28:29]
	s_cbranch_execz .LBB6_21396
; %bb.21383:                            ;   in Loop: Header=BB6_20564 Depth=3
	v_cmp_ne_u32_e32 vcc, 0, v1
	v_mov_b32_e32 v35, 0
	s_and_saveexec_b64 s[38:39], vcc
	s_cbranch_execz .LBB6_21395
; %bb.21384:                            ;   in Loop: Header=BB6_20564 Depth=3
	v_and_b32_e32 v3, 0x7fffff, v1
	v_bfe_u32 v1, v1, 23, 8
	v_cmp_gt_u32_e64 s[28:29], s97, v1
	v_sub_u32_e32 v2, 0x79, v1
	v_cmp_eq_u32_e32 vcc, 0, v1
	v_cndmask_b32_e64 v2, 0, v2, s[28:29]
	v_mov_b32_e32 v6, 0x78
	v_or_b32_e32 v5, 0x800000, v3
	v_cndmask_b32_e32 v2, v2, v6, vcc
	v_cndmask_b32_e32 v5, v5, v3, vcc
	v_add_u32_e32 v3, 20, v2
	v_lshlrev_b64 v[14:15], v3, -1
	v_add_u32_e32 v3, 19, v2
	v_lshlrev_b64 v[16:17], v3, 1
	v_mov_b32_e32 v6, v51
	v_bfi_b32 v15, v15, 0, 0
	v_bfi_b32 v14, v14, 0, v5
	v_cmp_eq_u64_e64 s[28:29], v[14:15], v[16:17]
	v_lshrrev_b64 v[14:15], v2, v[5:6]
	v_mov_b32_e32 v16, v15
	v_mov_b32_e32 v15, v14
	s_and_saveexec_b64 s[48:49], s[28:29]
; %bb.21385:                            ;   in Loop: Header=BB6_20564 Depth=3
	v_bfe_u32 v3, v14, 20, 1
	v_add_co_u32_e64 v3, s[28:29], v14, v3
	v_add_co_u32_e64 v15, s[28:29], -1, v3
; %bb.21386:                            ;   in Loop: Header=BB6_20564 Depth=3
	s_or_b64 exec, exec, s[48:49]
	v_add_u32_e32 v1, 0xffffff81, v1
	v_mov_b32_e32 v3, 0xffffff82
	v_cndmask_b32_e32 v1, v1, v3, vcc
	v_lshrrev_b32_e32 v3, 23, v14
	v_add3_u32 v3, v2, v1, v3
	v_add_u32_e32 v2, 6, v3
	v_and_b32_e32 v1, 0xfffff, v15
	v_add_u32_e32 v14, v1, v14
	v_mov_b32_e32 v15, v51
	v_cmp_ne_u32_e32 vcc, 0, v2
                                        ; implicit-def: $vgpr1
	s_and_saveexec_b64 s[28:29], vcc
	s_xor_b64 s[28:29], exec, s[28:29]
; %bb.21387:                            ;   in Loop: Header=BB6_20564 Depth=3
	v_cmp_lt_u64_e32 vcc, s[88:89], v[14:15]
	v_add_u32_e32 v1, 7, v3
	v_cndmask_b32_e32 v1, v2, v1, vcc
	v_cndmask_b32_e64 v2, 0, 1, vcc
	v_lshrrev_b64 v[14:15], v2, v[14:15]
; %bb.21388:                            ;   in Loop: Header=BB6_20564 Depth=3
	s_andn2_saveexec_b64 s[28:29], s[28:29]
; %bb.21389:                            ;   in Loop: Header=BB6_20564 Depth=3
	v_bfe_u32 v1, v14, 23, 1
; %bb.21390:                            ;   in Loop: Header=BB6_20564 Depth=3
	s_or_b64 exec, exec, s[28:29]
	v_lshrrev_b64 v[2:3], 20, v[14:15]
	v_cmp_gt_i32_e32 vcc, 16, v1
	v_cndmask_b32_e32 v15, 0, v3, vcc
	v_cndmask_b32_e32 v14, 7, v2, vcc
	v_cmp_ne_u64_e32 vcc, 0, v[14:15]
	v_cmp_ne_u32_e64 s[28:29], 0, v1
	s_or_b64 s[28:29], s[28:29], vcc
                                        ; implicit-def: $vgpr35
	s_and_saveexec_b64 vcc, s[28:29]
	s_xor_b64 s[28:29], exec, vcc
; %bb.21391:                            ;   in Loop: Header=BB6_20564 Depth=3
	v_min_i32_e32 v1, 15, v1
	v_lshl_or_b32 v0, v1, 3, v0
	v_and_or_b32 v35, v14, 7, v0
                                        ; implicit-def: $vgpr0
; %bb.21392:                            ;   in Loop: Header=BB6_20564 Depth=3
	s_andn2_saveexec_b64 s[28:29], s[28:29]
; %bb.21393:                            ;   in Loop: Header=BB6_20564 Depth=3
	v_mov_b32_e32 v35, v0
; %bb.21394:                            ;   in Loop: Header=BB6_20564 Depth=3
	s_or_b64 exec, exec, s[28:29]
.LBB6_21395:                            ;   in Loop: Header=BB6_20564 Depth=3
	s_or_b64 exec, exec, s[38:39]
                                        ; implicit-def: $vgpr0
.LBB6_21396:                            ;   in Loop: Header=BB6_20564 Depth=3
	s_andn2_saveexec_b64 s[28:29], s[36:37]
; %bb.21397:                            ;   in Loop: Header=BB6_20564 Depth=3
	v_or_b32_e32 v35, 0x7e, v0
; %bb.21398:                            ;   in Loop: Header=BB6_20564 Depth=3
	s_or_b64 exec, exec, s[28:29]
                                        ; implicit-def: $vgpr1
.LBB6_21399:                            ;   in Loop: Header=BB6_20564 Depth=3
	s_andn2_saveexec_b64 s[28:29], s[34:35]
; %bb.21400:                            ;   in Loop: Header=BB6_20564 Depth=3
	v_or_b32_sdwa v35, v1, s86 dst_sel:DWORD dst_unused:UNUSED_PAD src0_sel:BYTE_3 src1_sel:DWORD
; %bb.21401:                            ;   in Loop: Header=BB6_20564 Depth=3
	s_or_b64 exec, exec, s[28:29]
	flat_load_ubyte v15, v[10:11] glc slc
	flat_load_ubyte v27, v[10:11] offset:64 glc slc
	flat_load_ubyte v25, v[10:11] offset:128 glc slc
	;; [unrolled: 1-line block ×27, first 2 shown]
	v_mov_b32_e32 v16, 0
	v_mov_b32_e32 v49, 0
	flat_load_ubyte v42, v[10:11] offset:1984 glc slc
	s_waitcnt vmcnt(0) lgkmcnt(0)
	buffer_store_dword v14, off, s[0:3], s33 offset:164 ; 4-byte Folded Spill
	flat_load_ubyte v14, v[10:11] offset:1792 glc slc
	s_waitcnt vmcnt(0) lgkmcnt(0)
	buffer_store_dword v14, off, s[0:3], s33 offset:160 ; 4-byte Folded Spill
	;; [unrolled: 3-line block ×4, first 2 shown]
	v_and_b32_e32 v14, 0xff, v4
	v_cmp_ne_u16_e32 vcc, 0, v14
	s_and_saveexec_b64 s[28:29], vcc
	s_cbranch_execz .LBB6_21407
; %bb.21402:                            ;   in Loop: Header=BB6_20564 Depth=3
	v_cmp_ne_u16_e32 vcc, s96, v14
	v_bfrev_b32_e32 v49, 1
	s_and_saveexec_b64 s[34:35], vcc
	s_cbranch_execz .LBB6_21406
; %bb.21403:                            ;   in Loop: Header=BB6_20564 Depth=3
	v_and_b32_e32 v28, 0x7f, v4
	v_cmp_ne_u32_e32 vcc, s86, v28
	v_mov_b32_e32 v49, 0x7f800001
	s_and_saveexec_b64 s[36:37], vcc
	s_cbranch_execz .LBB6_21405
; %bb.21404:                            ;   in Loop: Header=BB6_20564 Depth=3
	v_and_b32_e32 v30, 7, v14
	v_lshrrev_b32_e32 v34, 3, v28
	v_cmp_gt_u32_e32 vcc, 8, v28
	v_ffbh_u32_e32 v28, v30
	v_mov_b32_e32 v31, v35
	v_min_u32_e32 v35, 32, v28
	v_subrev_u32_e32 v28, 28, v35
	v_lshlrev_b64 v[28:29], v28, v[14:15]
	v_sub_u32_e32 v14, 29, v35
	v_and_b32_e32 v28, 7, v28
	v_cndmask_b32_e32 v14, v34, v14, vcc
	v_cndmask_b32_e32 v28, v30, v28, vcc
	v_lshlrev_b32_e32 v4, 24, v4
	v_bfrev_b32_e32 v29, 60
	v_lshlrev_b32_e32 v28, 20, v28
	v_and_b32_e32 v4, 0x80000000, v4
	v_lshl_add_u32 v14, v14, 23, v29
	v_mov_b32_e32 v35, v31
	v_or3_b32 v49, v4, v14, v28
.LBB6_21405:                            ;   in Loop: Header=BB6_20564 Depth=3
	s_or_b64 exec, exec, s[36:37]
.LBB6_21406:                            ;   in Loop: Header=BB6_20564 Depth=3
	s_or_b64 exec, exec, s[34:35]
.LBB6_21407:                            ;   in Loop: Header=BB6_20564 Depth=3
	s_or_b64 exec, exec, s[28:29]
	v_and_b32_e32 v14, 0xff, v15
	v_cmp_ne_u16_e32 vcc, 0, v14
	s_and_saveexec_b64 s[28:29], vcc
	s_cbranch_execz .LBB6_21413
; %bb.21408:                            ;   in Loop: Header=BB6_20564 Depth=3
	v_cmp_ne_u16_e32 vcc, s96, v14
	v_bfrev_b32_e32 v16, 1
	s_and_saveexec_b64 s[34:35], vcc
	s_cbranch_execz .LBB6_21412
; %bb.21409:                            ;   in Loop: Header=BB6_20564 Depth=3
	v_and_b32_e32 v4, 0x7f, v15
	v_cmp_ne_u32_e32 vcc, s86, v4
	v_mov_b32_e32 v16, 0x7f800001
	s_and_saveexec_b64 s[36:37], vcc
	s_cbranch_execz .LBB6_21411
; %bb.21410:                            ;   in Loop: Header=BB6_20564 Depth=3
	v_and_b32_e32 v16, 7, v14
	v_lshrrev_b32_e32 v30, 3, v4
	v_cmp_gt_u32_e32 vcc, 8, v4
	v_ffbh_u32_e32 v4, v16
	v_min_u32_e32 v4, 32, v4
	v_subrev_u32_e32 v28, 28, v4
	v_lshlrev_b64 v[28:29], v28, v[14:15]
	v_sub_u32_e32 v4, 29, v4
	v_and_b32_e32 v14, 7, v28
	v_cndmask_b32_e32 v4, v30, v4, vcc
	v_cndmask_b32_e32 v14, v16, v14, vcc
	v_lshlrev_b32_e32 v15, 24, v15
	v_bfrev_b32_e32 v16, 60
	v_lshlrev_b32_e32 v14, 20, v14
	v_and_b32_e32 v15, 0x80000000, v15
	v_lshl_add_u32 v4, v4, 23, v16
	v_or3_b32 v16, v15, v4, v14
.LBB6_21411:                            ;   in Loop: Header=BB6_20564 Depth=3
	s_or_b64 exec, exec, s[36:37]
.LBB6_21412:                            ;   in Loop: Header=BB6_20564 Depth=3
	s_or_b64 exec, exec, s[34:35]
.LBB6_21413:                            ;   in Loop: Header=BB6_20564 Depth=3
	s_or_b64 exec, exec, s[28:29]
	v_add_f32_e32 v14, v49, v16
	v_and_b32_e32 v15, 0x7f800000, v14
	v_mov_b32_e32 v16, v51
	v_cmp_ne_u64_e32 vcc, s[76:77], v[15:16]
                                        ; implicit-def: $vgpr49
	s_and_saveexec_b64 s[28:29], vcc
	s_xor_b64 s[34:35], exec, s[28:29]
	s_cbranch_execz .LBB6_21431
; %bb.21414:                            ;   in Loop: Header=BB6_20564 Depth=3
	v_and_b32_e32 v15, 0x7fffffff, v14
	v_mov_b32_e32 v16, v51
	v_cmp_gt_u64_e32 vcc, s[78:79], v[15:16]
	v_and_b32_sdwa v4, v14, s96 dst_sel:DWORD dst_unused:UNUSED_PAD src0_sel:BYTE_3 src1_sel:DWORD
                                        ; implicit-def: $vgpr49
	s_and_saveexec_b64 s[28:29], vcc
	s_xor_b64 s[36:37], exec, s[28:29]
	s_cbranch_execz .LBB6_21428
; %bb.21415:                            ;   in Loop: Header=BB6_20564 Depth=3
	v_cmp_ne_u32_e32 vcc, 0, v14
	v_mov_b32_e32 v49, 0
	s_and_saveexec_b64 s[38:39], vcc
	s_cbranch_execz .LBB6_21427
; %bb.21416:                            ;   in Loop: Header=BB6_20564 Depth=3
	v_bfe_u32 v49, v14, 23, 8
	v_and_b32_e32 v15, 0x7fffff, v14
	v_cmp_gt_u32_e64 s[28:29], s97, v49
	v_sub_u32_e32 v14, 0x79, v49
	v_cmp_eq_u32_e32 vcc, 0, v49
	v_cndmask_b32_e64 v14, 0, v14, s[28:29]
	v_mov_b32_e32 v28, 0x78
	v_or_b32_e32 v16, 0x800000, v15
	v_cndmask_b32_e32 v28, v14, v28, vcc
	v_cndmask_b32_e32 v14, v16, v15, vcc
	v_add_u32_e32 v16, 20, v28
	v_lshlrev_b64 v[29:30], v16, -1
	v_mov_b32_e32 v15, v51
	v_add_u32_e32 v16, 19, v28
	v_mov_b32_e32 v31, v35
	v_bfi_b32 v29, v29, 0, v14
	v_lshlrev_b64 v[34:35], v16, 1
	v_lshrrev_b64 v[14:15], v28, v[14:15]
	v_bfi_b32 v30, v30, 0, 0
	v_cmp_eq_u64_e64 s[28:29], v[29:30], v[34:35]
	v_mov_b32_e32 v16, v15
	v_mov_b32_e32 v15, v14
	s_and_saveexec_b64 s[48:49], s[28:29]
; %bb.21417:                            ;   in Loop: Header=BB6_20564 Depth=3
	v_bfe_u32 v15, v14, 20, 1
	v_add_co_u32_e64 v15, s[28:29], v14, v15
	v_add_co_u32_e64 v15, s[28:29], -1, v15
; %bb.21418:                            ;   in Loop: Header=BB6_20564 Depth=3
	s_or_b64 exec, exec, s[48:49]
	v_add_u32_e32 v16, 0xffffff81, v49
	v_mov_b32_e32 v29, 0xffffff82
	v_cndmask_b32_e32 v16, v16, v29, vcc
	v_lshrrev_b32_e32 v29, 23, v14
	v_add3_u32 v49, v28, v16, v29
	v_add_u32_e32 v28, 6, v49
	v_and_b32_e32 v15, 0xfffff, v15
	v_add_u32_e32 v14, v15, v14
	v_mov_b32_e32 v15, v51
	v_cmp_ne_u32_e32 vcc, 0, v28
                                        ; implicit-def: $vgpr16
	s_and_saveexec_b64 s[28:29], vcc
	s_xor_b64 s[28:29], exec, s[28:29]
; %bb.21419:                            ;   in Loop: Header=BB6_20564 Depth=3
	v_cmp_lt_u64_e32 vcc, s[88:89], v[14:15]
	v_add_u32_e32 v16, 7, v49
	v_cndmask_b32_e32 v16, v28, v16, vcc
	v_cndmask_b32_e64 v28, 0, 1, vcc
	v_lshrrev_b64 v[14:15], v28, v[14:15]
; %bb.21420:                            ;   in Loop: Header=BB6_20564 Depth=3
	s_or_saveexec_b64 s[28:29], s[28:29]
	v_mov_b32_e32 v35, v31
	s_xor_b64 exec, exec, s[28:29]
; %bb.21421:                            ;   in Loop: Header=BB6_20564 Depth=3
	v_bfe_u32 v16, v14, 23, 1
; %bb.21422:                            ;   in Loop: Header=BB6_20564 Depth=3
	s_or_b64 exec, exec, s[28:29]
	v_lshrrev_b64 v[14:15], 20, v[14:15]
	v_cmp_gt_i32_e32 vcc, 16, v16
	v_cndmask_b32_e32 v15, 0, v15, vcc
	v_cndmask_b32_e32 v14, 7, v14, vcc
	v_cmp_ne_u64_e32 vcc, 0, v[14:15]
	v_cmp_ne_u32_e64 s[28:29], 0, v16
	s_or_b64 s[28:29], s[28:29], vcc
                                        ; implicit-def: $vgpr49
	s_and_saveexec_b64 vcc, s[28:29]
	s_xor_b64 s[28:29], exec, vcc
; %bb.21423:                            ;   in Loop: Header=BB6_20564 Depth=3
	v_min_i32_e32 v15, 15, v16
	v_lshl_or_b32 v4, v15, 3, v4
	v_and_or_b32 v49, v14, 7, v4
                                        ; implicit-def: $vgpr4
; %bb.21424:                            ;   in Loop: Header=BB6_20564 Depth=3
	s_andn2_saveexec_b64 s[28:29], s[28:29]
; %bb.21425:                            ;   in Loop: Header=BB6_20564 Depth=3
	v_mov_b32_e32 v49, v4
; %bb.21426:                            ;   in Loop: Header=BB6_20564 Depth=3
	s_or_b64 exec, exec, s[28:29]
.LBB6_21427:                            ;   in Loop: Header=BB6_20564 Depth=3
	s_or_b64 exec, exec, s[38:39]
                                        ; implicit-def: $vgpr4
.LBB6_21428:                            ;   in Loop: Header=BB6_20564 Depth=3
	s_andn2_saveexec_b64 s[28:29], s[36:37]
; %bb.21429:                            ;   in Loop: Header=BB6_20564 Depth=3
	v_or_b32_e32 v49, 0x7e, v4
; %bb.21430:                            ;   in Loop: Header=BB6_20564 Depth=3
	s_or_b64 exec, exec, s[28:29]
                                        ; implicit-def: $vgpr14
.LBB6_21431:                            ;   in Loop: Header=BB6_20564 Depth=3
	s_andn2_saveexec_b64 s[28:29], s[34:35]
; %bb.21432:                            ;   in Loop: Header=BB6_20564 Depth=3
	v_or_b32_sdwa v49, v14, s86 dst_sel:DWORD dst_unused:UNUSED_PAD src0_sel:BYTE_3 src1_sel:DWORD
; %bb.21433:                            ;   in Loop: Header=BB6_20564 Depth=3
	s_or_b64 exec, exec, s[28:29]
	v_and_b32_e32 v14, 0xff, v26
	v_cmp_ne_u16_e32 vcc, 0, v14
	v_mov_b32_e32 v4, 0
	v_mov_b32_e32 v15, 0
	s_and_saveexec_b64 s[28:29], vcc
	s_cbranch_execz .LBB6_21439
; %bb.21434:                            ;   in Loop: Header=BB6_20564 Depth=3
	v_cmp_ne_u16_e32 vcc, s96, v14
	v_bfrev_b32_e32 v15, 1
	s_and_saveexec_b64 s[34:35], vcc
	s_cbranch_execz .LBB6_21438
; %bb.21435:                            ;   in Loop: Header=BB6_20564 Depth=3
	v_and_b32_e32 v16, 0x7f, v26
	v_cmp_ne_u32_e32 vcc, s86, v16
	v_mov_b32_e32 v15, 0x7f800001
	s_and_saveexec_b64 s[36:37], vcc
	s_cbranch_execz .LBB6_21437
; %bb.21436:                            ;   in Loop: Header=BB6_20564 Depth=3
	v_and_b32_e32 v28, 7, v14
	v_ffbh_u32_e32 v15, v28
	v_lshrrev_b32_e32 v29, 3, v16
	v_cmp_gt_u32_e32 vcc, 8, v16
	v_min_u32_e32 v16, 32, v15
	v_subrev_u32_e32 v15, 28, v16
	v_lshlrev_b64 v[14:15], v15, v[14:15]
	v_sub_u32_e32 v15, 29, v16
	v_and_b32_e32 v14, 7, v14
	v_cndmask_b32_e32 v15, v29, v15, vcc
	v_cndmask_b32_e32 v14, v28, v14, vcc
	v_lshlrev_b32_e32 v16, 24, v26
	v_bfrev_b32_e32 v26, 60
	v_lshlrev_b32_e32 v14, 20, v14
	v_and_b32_e32 v16, 0x80000000, v16
	v_lshl_add_u32 v15, v15, 23, v26
	v_or3_b32 v15, v16, v15, v14
.LBB6_21437:                            ;   in Loop: Header=BB6_20564 Depth=3
	s_or_b64 exec, exec, s[36:37]
.LBB6_21438:                            ;   in Loop: Header=BB6_20564 Depth=3
	s_or_b64 exec, exec, s[34:35]
.LBB6_21439:                            ;   in Loop: Header=BB6_20564 Depth=3
	s_or_b64 exec, exec, s[28:29]
	v_and_b32_e32 v14, 0xff, v27
	v_cmp_ne_u16_e32 vcc, 0, v14
	s_and_saveexec_b64 s[28:29], vcc
	s_cbranch_execz .LBB6_21445
; %bb.21440:                            ;   in Loop: Header=BB6_20564 Depth=3
	v_cmp_ne_u16_e32 vcc, s96, v14
	v_bfrev_b32_e32 v4, 1
	s_and_saveexec_b64 s[34:35], vcc
	s_cbranch_execz .LBB6_21444
; %bb.21441:                            ;   in Loop: Header=BB6_20564 Depth=3
	v_and_b32_e32 v16, 0x7f, v27
	v_cmp_ne_u32_e32 vcc, s86, v16
	v_mov_b32_e32 v4, 0x7f800001
	s_and_saveexec_b64 s[36:37], vcc
	s_cbranch_execz .LBB6_21443
; %bb.21442:                            ;   in Loop: Header=BB6_20564 Depth=3
	v_and_b32_e32 v4, 7, v14
	v_lshrrev_b32_e32 v26, 3, v16
	v_cmp_gt_u32_e32 vcc, 8, v16
	v_ffbh_u32_e32 v16, v4
	v_min_u32_e32 v16, 32, v16
	v_subrev_u32_e32 v28, 28, v16
	v_lshlrev_b64 v[28:29], v28, v[14:15]
	v_sub_u32_e32 v14, 29, v16
	v_and_b32_e32 v16, 7, v28
	v_cndmask_b32_e32 v14, v26, v14, vcc
	v_cndmask_b32_e32 v4, v4, v16, vcc
	v_lshlrev_b32_e32 v16, 24, v27
	v_bfrev_b32_e32 v26, 60
	v_lshlrev_b32_e32 v4, 20, v4
	v_and_b32_e32 v16, 0x80000000, v16
	v_lshl_add_u32 v14, v14, 23, v26
	v_or3_b32 v4, v16, v14, v4
.LBB6_21443:                            ;   in Loop: Header=BB6_20564 Depth=3
	s_or_b64 exec, exec, s[36:37]
.LBB6_21444:                            ;   in Loop: Header=BB6_20564 Depth=3
	s_or_b64 exec, exec, s[34:35]
.LBB6_21445:                            ;   in Loop: Header=BB6_20564 Depth=3
	s_or_b64 exec, exec, s[28:29]
	v_add_f32_e32 v14, v15, v4
	v_and_b32_e32 v15, 0x7f800000, v14
	v_mov_b32_e32 v16, v51
	v_cmp_ne_u64_e32 vcc, s[76:77], v[15:16]
                                        ; implicit-def: $vgpr26
	s_and_saveexec_b64 s[28:29], vcc
	s_xor_b64 s[34:35], exec, s[28:29]
	s_cbranch_execz .LBB6_21463
; %bb.21446:                            ;   in Loop: Header=BB6_20564 Depth=3
	v_and_b32_e32 v15, 0x7fffffff, v14
	v_mov_b32_e32 v16, v51
	v_cmp_gt_u64_e32 vcc, s[78:79], v[15:16]
	v_and_b32_sdwa v4, v14, s96 dst_sel:DWORD dst_unused:UNUSED_PAD src0_sel:BYTE_3 src1_sel:DWORD
                                        ; implicit-def: $vgpr26
	s_and_saveexec_b64 s[28:29], vcc
	s_xor_b64 s[36:37], exec, s[28:29]
	s_cbranch_execz .LBB6_21460
; %bb.21447:                            ;   in Loop: Header=BB6_20564 Depth=3
	v_cmp_ne_u32_e32 vcc, 0, v14
	v_mov_b32_e32 v26, 0
	s_and_saveexec_b64 s[38:39], vcc
	s_cbranch_execz .LBB6_21459
; %bb.21448:                            ;   in Loop: Header=BB6_20564 Depth=3
	v_bfe_u32 v26, v14, 23, 8
	v_and_b32_e32 v15, 0x7fffff, v14
	v_cmp_gt_u32_e64 s[28:29], s97, v26
	v_sub_u32_e32 v14, 0x79, v26
	v_cmp_eq_u32_e32 vcc, 0, v26
	v_cndmask_b32_e64 v14, 0, v14, s[28:29]
	v_mov_b32_e32 v27, 0x78
	v_or_b32_e32 v16, 0x800000, v15
	v_cndmask_b32_e32 v27, v14, v27, vcc
	v_cndmask_b32_e32 v14, v16, v15, vcc
	v_add_u32_e32 v16, 20, v27
	v_lshlrev_b64 v[28:29], v16, -1
	v_mov_b32_e32 v15, v51
	v_add_u32_e32 v16, 19, v27
	v_mov_b32_e32 v30, v35
	v_bfi_b32 v28, v28, 0, v14
	v_lshlrev_b64 v[34:35], v16, 1
	v_lshrrev_b64 v[14:15], v27, v[14:15]
	v_bfi_b32 v29, v29, 0, 0
	v_cmp_eq_u64_e64 s[28:29], v[28:29], v[34:35]
	v_mov_b32_e32 v16, v15
	v_mov_b32_e32 v15, v14
	s_and_saveexec_b64 s[48:49], s[28:29]
; %bb.21449:                            ;   in Loop: Header=BB6_20564 Depth=3
	v_bfe_u32 v15, v14, 20, 1
	v_add_co_u32_e64 v15, s[28:29], v14, v15
	v_add_co_u32_e64 v15, s[28:29], -1, v15
; %bb.21450:                            ;   in Loop: Header=BB6_20564 Depth=3
	s_or_b64 exec, exec, s[48:49]
	v_add_u32_e32 v16, 0xffffff81, v26
	v_mov_b32_e32 v26, 0xffffff82
	v_cndmask_b32_e32 v16, v16, v26, vcc
	v_lshrrev_b32_e32 v26, 23, v14
	v_add3_u32 v27, v27, v16, v26
	v_add_u32_e32 v26, 6, v27
	v_and_b32_e32 v15, 0xfffff, v15
	v_add_u32_e32 v14, v15, v14
	v_mov_b32_e32 v15, v51
	v_cmp_ne_u32_e32 vcc, 0, v26
                                        ; implicit-def: $vgpr16
	s_and_saveexec_b64 s[28:29], vcc
	s_xor_b64 s[28:29], exec, s[28:29]
; %bb.21451:                            ;   in Loop: Header=BB6_20564 Depth=3
	v_cmp_lt_u64_e32 vcc, s[88:89], v[14:15]
	v_add_u32_e32 v16, 7, v27
	v_cndmask_b32_e32 v16, v26, v16, vcc
	v_cndmask_b32_e64 v26, 0, 1, vcc
	v_lshrrev_b64 v[14:15], v26, v[14:15]
; %bb.21452:                            ;   in Loop: Header=BB6_20564 Depth=3
	s_or_saveexec_b64 s[28:29], s[28:29]
	v_mov_b32_e32 v35, v30
	s_xor_b64 exec, exec, s[28:29]
; %bb.21453:                            ;   in Loop: Header=BB6_20564 Depth=3
	v_bfe_u32 v16, v14, 23, 1
; %bb.21454:                            ;   in Loop: Header=BB6_20564 Depth=3
	s_or_b64 exec, exec, s[28:29]
	v_lshrrev_b64 v[14:15], 20, v[14:15]
	v_cmp_gt_i32_e32 vcc, 16, v16
	v_cndmask_b32_e32 v15, 0, v15, vcc
	v_cndmask_b32_e32 v14, 7, v14, vcc
	v_cmp_ne_u64_e32 vcc, 0, v[14:15]
	v_cmp_ne_u32_e64 s[28:29], 0, v16
	s_or_b64 s[28:29], s[28:29], vcc
                                        ; implicit-def: $vgpr26
	s_and_saveexec_b64 vcc, s[28:29]
	s_xor_b64 s[28:29], exec, vcc
; %bb.21455:                            ;   in Loop: Header=BB6_20564 Depth=3
	v_min_i32_e32 v15, 15, v16
	v_lshl_or_b32 v4, v15, 3, v4
	v_and_or_b32 v26, v14, 7, v4
                                        ; implicit-def: $vgpr4
; %bb.21456:                            ;   in Loop: Header=BB6_20564 Depth=3
	s_andn2_saveexec_b64 s[28:29], s[28:29]
; %bb.21457:                            ;   in Loop: Header=BB6_20564 Depth=3
	v_mov_b32_e32 v26, v4
; %bb.21458:                            ;   in Loop: Header=BB6_20564 Depth=3
	s_or_b64 exec, exec, s[28:29]
.LBB6_21459:                            ;   in Loop: Header=BB6_20564 Depth=3
	s_or_b64 exec, exec, s[38:39]
                                        ; implicit-def: $vgpr4
.LBB6_21460:                            ;   in Loop: Header=BB6_20564 Depth=3
	s_andn2_saveexec_b64 s[28:29], s[36:37]
; %bb.21461:                            ;   in Loop: Header=BB6_20564 Depth=3
	v_or_b32_e32 v26, 0x7e, v4
; %bb.21462:                            ;   in Loop: Header=BB6_20564 Depth=3
	s_or_b64 exec, exec, s[28:29]
                                        ; implicit-def: $vgpr14
.LBB6_21463:                            ;   in Loop: Header=BB6_20564 Depth=3
	s_andn2_saveexec_b64 s[28:29], s[34:35]
; %bb.21464:                            ;   in Loop: Header=BB6_20564 Depth=3
	v_or_b32_sdwa v26, v14, s86 dst_sel:DWORD dst_unused:UNUSED_PAD src0_sel:BYTE_3 src1_sel:DWORD
; %bb.21465:                            ;   in Loop: Header=BB6_20564 Depth=3
	s_or_b64 exec, exec, s[28:29]
	v_and_b32_e32 v14, 0xff, v33
	v_cmp_ne_u16_e32 vcc, 0, v14
	v_mov_b32_e32 v4, 0
	v_mov_b32_e32 v15, 0
	s_and_saveexec_b64 s[28:29], vcc
	s_cbranch_execz .LBB6_21471
; %bb.21466:                            ;   in Loop: Header=BB6_20564 Depth=3
	v_cmp_ne_u16_e32 vcc, s96, v14
	v_bfrev_b32_e32 v15, 1
	s_and_saveexec_b64 s[34:35], vcc
	s_cbranch_execz .LBB6_21470
; %bb.21467:                            ;   in Loop: Header=BB6_20564 Depth=3
	v_and_b32_e32 v16, 0x7f, v33
	v_cmp_ne_u32_e32 vcc, s86, v16
	v_mov_b32_e32 v15, 0x7f800001
	s_and_saveexec_b64 s[36:37], vcc
	s_cbranch_execz .LBB6_21469
; %bb.21468:                            ;   in Loop: Header=BB6_20564 Depth=3
	v_and_b32_e32 v27, 7, v14
	v_ffbh_u32_e32 v15, v27
	v_lshrrev_b32_e32 v28, 3, v16
	v_cmp_gt_u32_e32 vcc, 8, v16
	v_min_u32_e32 v16, 32, v15
	v_subrev_u32_e32 v15, 28, v16
	v_lshlrev_b64 v[14:15], v15, v[14:15]
	v_sub_u32_e32 v15, 29, v16
	v_and_b32_e32 v14, 7, v14
	v_cndmask_b32_e32 v15, v28, v15, vcc
	v_cndmask_b32_e32 v14, v27, v14, vcc
	v_lshlrev_b32_e32 v16, 24, v33
	v_bfrev_b32_e32 v27, 60
	v_lshlrev_b32_e32 v14, 20, v14
	v_and_b32_e32 v16, 0x80000000, v16
	v_lshl_add_u32 v15, v15, 23, v27
	v_or3_b32 v15, v16, v15, v14
.LBB6_21469:                            ;   in Loop: Header=BB6_20564 Depth=3
	s_or_b64 exec, exec, s[36:37]
.LBB6_21470:                            ;   in Loop: Header=BB6_20564 Depth=3
	s_or_b64 exec, exec, s[34:35]
.LBB6_21471:                            ;   in Loop: Header=BB6_20564 Depth=3
	s_or_b64 exec, exec, s[28:29]
	v_and_b32_e32 v14, 0xff, v25
	v_cmp_ne_u16_e32 vcc, 0, v14
	s_and_saveexec_b64 s[28:29], vcc
	s_cbranch_execz .LBB6_21477
; %bb.21472:                            ;   in Loop: Header=BB6_20564 Depth=3
	v_cmp_ne_u16_e32 vcc, s96, v14
	v_bfrev_b32_e32 v4, 1
	s_and_saveexec_b64 s[34:35], vcc
	s_cbranch_execz .LBB6_21476
; %bb.21473:                            ;   in Loop: Header=BB6_20564 Depth=3
	v_and_b32_e32 v16, 0x7f, v25
	v_cmp_ne_u32_e32 vcc, s86, v16
	v_mov_b32_e32 v4, 0x7f800001
	s_and_saveexec_b64 s[36:37], vcc
	s_cbranch_execz .LBB6_21475
; %bb.21474:                            ;   in Loop: Header=BB6_20564 Depth=3
	v_and_b32_e32 v4, 7, v14
	v_lshrrev_b32_e32 v29, 3, v16
	v_cmp_gt_u32_e32 vcc, 8, v16
	v_ffbh_u32_e32 v16, v4
	v_min_u32_e32 v16, 32, v16
	v_subrev_u32_e32 v27, 28, v16
	v_lshlrev_b64 v[27:28], v27, v[14:15]
	v_sub_u32_e32 v14, 29, v16
	v_and_b32_e32 v16, 7, v27
	v_cndmask_b32_e32 v14, v29, v14, vcc
	v_cndmask_b32_e32 v4, v4, v16, vcc
	v_lshlrev_b32_e32 v16, 24, v25
	v_bfrev_b32_e32 v25, 60
	v_lshlrev_b32_e32 v4, 20, v4
	v_and_b32_e32 v16, 0x80000000, v16
	v_lshl_add_u32 v14, v14, 23, v25
	v_or3_b32 v4, v16, v14, v4
.LBB6_21475:                            ;   in Loop: Header=BB6_20564 Depth=3
	s_or_b64 exec, exec, s[36:37]
.LBB6_21476:                            ;   in Loop: Header=BB6_20564 Depth=3
	s_or_b64 exec, exec, s[34:35]
.LBB6_21477:                            ;   in Loop: Header=BB6_20564 Depth=3
	s_or_b64 exec, exec, s[28:29]
	v_add_f32_e32 v14, v15, v4
	v_and_b32_e32 v15, 0x7f800000, v14
	v_mov_b32_e32 v16, v51
	v_cmp_ne_u64_e32 vcc, s[76:77], v[15:16]
                                        ; implicit-def: $vgpr33
	s_and_saveexec_b64 s[28:29], vcc
	s_xor_b64 s[34:35], exec, s[28:29]
	s_cbranch_execz .LBB6_21495
; %bb.21478:                            ;   in Loop: Header=BB6_20564 Depth=3
	v_and_b32_e32 v15, 0x7fffffff, v14
	v_mov_b32_e32 v16, v51
	v_cmp_gt_u64_e32 vcc, s[78:79], v[15:16]
	v_and_b32_sdwa v4, v14, s96 dst_sel:DWORD dst_unused:UNUSED_PAD src0_sel:BYTE_3 src1_sel:DWORD
                                        ; implicit-def: $vgpr33
	s_and_saveexec_b64 s[28:29], vcc
	s_xor_b64 s[36:37], exec, s[28:29]
	s_cbranch_execz .LBB6_21492
; %bb.21479:                            ;   in Loop: Header=BB6_20564 Depth=3
	v_cmp_ne_u32_e32 vcc, 0, v14
	v_mov_b32_e32 v33, 0
	s_and_saveexec_b64 s[38:39], vcc
	s_cbranch_execz .LBB6_21491
; %bb.21480:                            ;   in Loop: Header=BB6_20564 Depth=3
	v_bfe_u32 v25, v14, 23, 8
	v_and_b32_e32 v15, 0x7fffff, v14
	v_cmp_gt_u32_e64 s[28:29], s97, v25
	v_sub_u32_e32 v14, 0x79, v25
	v_cmp_eq_u32_e32 vcc, 0, v25
	v_cndmask_b32_e64 v14, 0, v14, s[28:29]
	v_mov_b32_e32 v27, 0x78
	v_or_b32_e32 v16, 0x800000, v15
	v_cndmask_b32_e32 v27, v14, v27, vcc
	v_cndmask_b32_e32 v14, v16, v15, vcc
	v_add_u32_e32 v16, 20, v27
	v_lshlrev_b64 v[28:29], v16, -1
	v_mov_b32_e32 v15, v51
	v_add_u32_e32 v16, 19, v27
	v_bfi_b32 v28, v28, 0, v14
	v_lshlrev_b64 v[33:34], v16, 1
	v_lshrrev_b64 v[14:15], v27, v[14:15]
	v_bfi_b32 v29, v29, 0, 0
	v_cmp_eq_u64_e64 s[28:29], v[28:29], v[33:34]
	v_mov_b32_e32 v16, v15
	v_mov_b32_e32 v15, v14
	s_and_saveexec_b64 s[48:49], s[28:29]
; %bb.21481:                            ;   in Loop: Header=BB6_20564 Depth=3
	v_bfe_u32 v15, v14, 20, 1
	v_add_co_u32_e64 v15, s[28:29], v14, v15
	v_add_co_u32_e64 v15, s[28:29], -1, v15
; %bb.21482:                            ;   in Loop: Header=BB6_20564 Depth=3
	s_or_b64 exec, exec, s[48:49]
	v_add_u32_e32 v16, 0xffffff81, v25
	v_mov_b32_e32 v25, 0xffffff82
	v_cndmask_b32_e32 v16, v16, v25, vcc
	v_lshrrev_b32_e32 v25, 23, v14
	v_add3_u32 v27, v27, v16, v25
	v_add_u32_e32 v25, 6, v27
	v_and_b32_e32 v15, 0xfffff, v15
	v_add_u32_e32 v14, v15, v14
	v_mov_b32_e32 v15, v51
	v_cmp_ne_u32_e32 vcc, 0, v25
                                        ; implicit-def: $vgpr16
	s_and_saveexec_b64 s[28:29], vcc
	s_xor_b64 s[28:29], exec, s[28:29]
; %bb.21483:                            ;   in Loop: Header=BB6_20564 Depth=3
	v_cmp_lt_u64_e32 vcc, s[88:89], v[14:15]
	v_add_u32_e32 v16, 7, v27
	v_cndmask_b32_e32 v16, v25, v16, vcc
	v_cndmask_b32_e64 v25, 0, 1, vcc
	v_lshrrev_b64 v[14:15], v25, v[14:15]
; %bb.21484:                            ;   in Loop: Header=BB6_20564 Depth=3
	s_andn2_saveexec_b64 s[28:29], s[28:29]
; %bb.21485:                            ;   in Loop: Header=BB6_20564 Depth=3
	v_bfe_u32 v16, v14, 23, 1
; %bb.21486:                            ;   in Loop: Header=BB6_20564 Depth=3
	s_or_b64 exec, exec, s[28:29]
	v_lshrrev_b64 v[14:15], 20, v[14:15]
	v_cmp_gt_i32_e32 vcc, 16, v16
	v_cndmask_b32_e32 v15, 0, v15, vcc
	v_cndmask_b32_e32 v14, 7, v14, vcc
	v_cmp_ne_u64_e32 vcc, 0, v[14:15]
	v_cmp_ne_u32_e64 s[28:29], 0, v16
	s_or_b64 s[28:29], s[28:29], vcc
                                        ; implicit-def: $vgpr33
	s_and_saveexec_b64 vcc, s[28:29]
	s_xor_b64 s[28:29], exec, vcc
; %bb.21487:                            ;   in Loop: Header=BB6_20564 Depth=3
	v_min_i32_e32 v15, 15, v16
	v_lshl_or_b32 v4, v15, 3, v4
	v_and_or_b32 v33, v14, 7, v4
                                        ; implicit-def: $vgpr4
; %bb.21488:                            ;   in Loop: Header=BB6_20564 Depth=3
	s_andn2_saveexec_b64 s[28:29], s[28:29]
; %bb.21489:                            ;   in Loop: Header=BB6_20564 Depth=3
	v_mov_b32_e32 v33, v4
; %bb.21490:                            ;   in Loop: Header=BB6_20564 Depth=3
	s_or_b64 exec, exec, s[28:29]
.LBB6_21491:                            ;   in Loop: Header=BB6_20564 Depth=3
	s_or_b64 exec, exec, s[38:39]
                                        ; implicit-def: $vgpr4
.LBB6_21492:                            ;   in Loop: Header=BB6_20564 Depth=3
	s_andn2_saveexec_b64 s[28:29], s[36:37]
; %bb.21493:                            ;   in Loop: Header=BB6_20564 Depth=3
	v_or_b32_e32 v33, 0x7e, v4
; %bb.21494:                            ;   in Loop: Header=BB6_20564 Depth=3
	s_or_b64 exec, exec, s[28:29]
                                        ; implicit-def: $vgpr14
.LBB6_21495:                            ;   in Loop: Header=BB6_20564 Depth=3
	s_andn2_saveexec_b64 s[28:29], s[34:35]
; %bb.21496:                            ;   in Loop: Header=BB6_20564 Depth=3
	v_or_b32_sdwa v33, v14, s86 dst_sel:DWORD dst_unused:UNUSED_PAD src0_sel:BYTE_3 src1_sel:DWORD
; %bb.21497:                            ;   in Loop: Header=BB6_20564 Depth=3
	s_or_b64 exec, exec, s[28:29]
	v_and_b32_e32 v14, 0xff, v48
	v_cmp_ne_u16_e32 vcc, 0, v14
	v_mov_b32_e32 v4, 0
	v_mov_b32_e32 v15, 0
	s_and_saveexec_b64 s[28:29], vcc
	s_cbranch_execz .LBB6_21503
; %bb.21498:                            ;   in Loop: Header=BB6_20564 Depth=3
	v_cmp_ne_u16_e32 vcc, s96, v14
	v_bfrev_b32_e32 v15, 1
	s_and_saveexec_b64 s[34:35], vcc
	s_cbranch_execz .LBB6_21502
; %bb.21499:                            ;   in Loop: Header=BB6_20564 Depth=3
	v_and_b32_e32 v16, 0x7f, v48
	v_cmp_ne_u32_e32 vcc, s86, v16
	v_mov_b32_e32 v15, 0x7f800001
	s_and_saveexec_b64 s[36:37], vcc
	s_cbranch_execz .LBB6_21501
; %bb.21500:                            ;   in Loop: Header=BB6_20564 Depth=3
	v_and_b32_e32 v25, 7, v14
	v_ffbh_u32_e32 v15, v25
	v_lshrrev_b32_e32 v27, 3, v16
	v_cmp_gt_u32_e32 vcc, 8, v16
	v_min_u32_e32 v16, 32, v15
	v_subrev_u32_e32 v15, 28, v16
	v_lshlrev_b64 v[14:15], v15, v[14:15]
	v_sub_u32_e32 v15, 29, v16
	v_and_b32_e32 v14, 7, v14
	v_cndmask_b32_e32 v15, v27, v15, vcc
	v_cndmask_b32_e32 v14, v25, v14, vcc
	v_lshlrev_b32_e32 v16, 24, v48
	v_bfrev_b32_e32 v25, 60
	v_lshlrev_b32_e32 v14, 20, v14
	v_and_b32_e32 v16, 0x80000000, v16
	v_lshl_add_u32 v15, v15, 23, v25
	v_or3_b32 v15, v16, v15, v14
.LBB6_21501:                            ;   in Loop: Header=BB6_20564 Depth=3
	s_or_b64 exec, exec, s[36:37]
.LBB6_21502:                            ;   in Loop: Header=BB6_20564 Depth=3
	s_or_b64 exec, exec, s[34:35]
.LBB6_21503:                            ;   in Loop: Header=BB6_20564 Depth=3
	s_or_b64 exec, exec, s[28:29]
	v_and_b32_e32 v14, 0xff, v23
	v_cmp_ne_u16_e32 vcc, 0, v14
	s_and_saveexec_b64 s[28:29], vcc
	s_cbranch_execz .LBB6_21509
; %bb.21504:                            ;   in Loop: Header=BB6_20564 Depth=3
	v_cmp_ne_u16_e32 vcc, s96, v14
	v_bfrev_b32_e32 v4, 1
	s_and_saveexec_b64 s[34:35], vcc
	s_cbranch_execz .LBB6_21508
; %bb.21505:                            ;   in Loop: Header=BB6_20564 Depth=3
	v_and_b32_e32 v16, 0x7f, v23
	v_cmp_ne_u32_e32 vcc, s86, v16
	v_mov_b32_e32 v4, 0x7f800001
	s_and_saveexec_b64 s[36:37], vcc
	s_cbranch_execz .LBB6_21507
; %bb.21506:                            ;   in Loop: Header=BB6_20564 Depth=3
	v_and_b32_e32 v4, 7, v14
	v_lshrrev_b32_e32 v25, 3, v16
	v_cmp_gt_u32_e32 vcc, 8, v16
	v_ffbh_u32_e32 v16, v4
	v_min_u32_e32 v16, 32, v16
	v_subrev_u32_e32 v27, 28, v16
	v_lshlrev_b64 v[27:28], v27, v[14:15]
	v_sub_u32_e32 v14, 29, v16
	v_and_b32_e32 v16, 7, v27
	v_cndmask_b32_e32 v14, v25, v14, vcc
	v_cndmask_b32_e32 v4, v4, v16, vcc
	v_lshlrev_b32_e32 v16, 24, v23
	v_bfrev_b32_e32 v23, 60
	v_lshlrev_b32_e32 v4, 20, v4
	v_and_b32_e32 v16, 0x80000000, v16
	v_lshl_add_u32 v14, v14, 23, v23
	v_or3_b32 v4, v16, v14, v4
.LBB6_21507:                            ;   in Loop: Header=BB6_20564 Depth=3
	s_or_b64 exec, exec, s[36:37]
.LBB6_21508:                            ;   in Loop: Header=BB6_20564 Depth=3
	s_or_b64 exec, exec, s[34:35]
.LBB6_21509:                            ;   in Loop: Header=BB6_20564 Depth=3
	s_or_b64 exec, exec, s[28:29]
	v_add_f32_e32 v14, v15, v4
	v_and_b32_e32 v15, 0x7f800000, v14
	v_mov_b32_e32 v16, v51
	v_cmp_ne_u64_e32 vcc, s[76:77], v[15:16]
                                        ; implicit-def: $vgpr48
	s_and_saveexec_b64 s[28:29], vcc
	s_xor_b64 s[34:35], exec, s[28:29]
	s_cbranch_execz .LBB6_21527
; %bb.21510:                            ;   in Loop: Header=BB6_20564 Depth=3
	v_and_b32_e32 v15, 0x7fffffff, v14
	v_mov_b32_e32 v16, v51
	v_cmp_gt_u64_e32 vcc, s[78:79], v[15:16]
	v_and_b32_sdwa v4, v14, s96 dst_sel:DWORD dst_unused:UNUSED_PAD src0_sel:BYTE_3 src1_sel:DWORD
                                        ; implicit-def: $vgpr48
	s_and_saveexec_b64 s[28:29], vcc
	s_xor_b64 s[36:37], exec, s[28:29]
	s_cbranch_execz .LBB6_21524
; %bb.21511:                            ;   in Loop: Header=BB6_20564 Depth=3
	v_cmp_ne_u32_e32 vcc, 0, v14
	v_mov_b32_e32 v48, 0
	s_and_saveexec_b64 s[38:39], vcc
	s_cbranch_execz .LBB6_21523
; %bb.21512:                            ;   in Loop: Header=BB6_20564 Depth=3
	v_bfe_u32 v23, v14, 23, 8
	v_and_b32_e32 v15, 0x7fffff, v14
	v_cmp_gt_u32_e64 s[28:29], s97, v23
	v_sub_u32_e32 v14, 0x79, v23
	v_cmp_eq_u32_e32 vcc, 0, v23
	v_cndmask_b32_e64 v14, 0, v14, s[28:29]
	v_mov_b32_e32 v25, 0x78
	v_or_b32_e32 v16, 0x800000, v15
	v_cndmask_b32_e32 v25, v14, v25, vcc
	v_cndmask_b32_e32 v14, v16, v15, vcc
	v_add_u32_e32 v16, 20, v25
	v_lshlrev_b64 v[27:28], v16, -1
	v_mov_b32_e32 v15, v51
	v_add_u32_e32 v16, 19, v25
	v_bfi_b32 v27, v27, 0, v14
	v_lshlrev_b64 v[29:30], v16, 1
	v_lshrrev_b64 v[14:15], v25, v[14:15]
	v_bfi_b32 v28, v28, 0, 0
	v_cmp_eq_u64_e64 s[28:29], v[27:28], v[29:30]
	v_mov_b32_e32 v16, v15
	v_mov_b32_e32 v15, v14
	s_and_saveexec_b64 s[48:49], s[28:29]
; %bb.21513:                            ;   in Loop: Header=BB6_20564 Depth=3
	v_bfe_u32 v15, v14, 20, 1
	v_add_co_u32_e64 v15, s[28:29], v14, v15
	v_add_co_u32_e64 v15, s[28:29], -1, v15
; %bb.21514:                            ;   in Loop: Header=BB6_20564 Depth=3
	s_or_b64 exec, exec, s[48:49]
	v_add_u32_e32 v16, 0xffffff81, v23
	v_mov_b32_e32 v23, 0xffffff82
	v_cndmask_b32_e32 v16, v16, v23, vcc
	v_lshrrev_b32_e32 v23, 23, v14
	v_add3_u32 v25, v25, v16, v23
	v_add_u32_e32 v23, 6, v25
	v_and_b32_e32 v15, 0xfffff, v15
	v_add_u32_e32 v14, v15, v14
	v_mov_b32_e32 v15, v51
	v_cmp_ne_u32_e32 vcc, 0, v23
                                        ; implicit-def: $vgpr16
	s_and_saveexec_b64 s[28:29], vcc
	s_xor_b64 s[28:29], exec, s[28:29]
; %bb.21515:                            ;   in Loop: Header=BB6_20564 Depth=3
	v_cmp_lt_u64_e32 vcc, s[88:89], v[14:15]
	v_add_u32_e32 v16, 7, v25
	v_cndmask_b32_e32 v16, v23, v16, vcc
	v_cndmask_b32_e64 v23, 0, 1, vcc
	v_lshrrev_b64 v[14:15], v23, v[14:15]
; %bb.21516:                            ;   in Loop: Header=BB6_20564 Depth=3
	s_andn2_saveexec_b64 s[28:29], s[28:29]
; %bb.21517:                            ;   in Loop: Header=BB6_20564 Depth=3
	v_bfe_u32 v16, v14, 23, 1
; %bb.21518:                            ;   in Loop: Header=BB6_20564 Depth=3
	s_or_b64 exec, exec, s[28:29]
	v_lshrrev_b64 v[14:15], 20, v[14:15]
	v_cmp_gt_i32_e32 vcc, 16, v16
	v_cndmask_b32_e32 v15, 0, v15, vcc
	v_cndmask_b32_e32 v14, 7, v14, vcc
	v_cmp_ne_u64_e32 vcc, 0, v[14:15]
	v_cmp_ne_u32_e64 s[28:29], 0, v16
	s_or_b64 s[28:29], s[28:29], vcc
                                        ; implicit-def: $vgpr48
	s_and_saveexec_b64 vcc, s[28:29]
	s_xor_b64 s[28:29], exec, vcc
; %bb.21519:                            ;   in Loop: Header=BB6_20564 Depth=3
	v_min_i32_e32 v15, 15, v16
	v_lshl_or_b32 v4, v15, 3, v4
	v_and_or_b32 v48, v14, 7, v4
                                        ; implicit-def: $vgpr4
; %bb.21520:                            ;   in Loop: Header=BB6_20564 Depth=3
	s_andn2_saveexec_b64 s[28:29], s[28:29]
; %bb.21521:                            ;   in Loop: Header=BB6_20564 Depth=3
	v_mov_b32_e32 v48, v4
; %bb.21522:                            ;   in Loop: Header=BB6_20564 Depth=3
	s_or_b64 exec, exec, s[28:29]
.LBB6_21523:                            ;   in Loop: Header=BB6_20564 Depth=3
	s_or_b64 exec, exec, s[38:39]
                                        ; implicit-def: $vgpr4
.LBB6_21524:                            ;   in Loop: Header=BB6_20564 Depth=3
	s_andn2_saveexec_b64 s[28:29], s[36:37]
; %bb.21525:                            ;   in Loop: Header=BB6_20564 Depth=3
	v_or_b32_e32 v48, 0x7e, v4
; %bb.21526:                            ;   in Loop: Header=BB6_20564 Depth=3
	s_or_b64 exec, exec, s[28:29]
                                        ; implicit-def: $vgpr14
.LBB6_21527:                            ;   in Loop: Header=BB6_20564 Depth=3
	s_andn2_saveexec_b64 s[28:29], s[34:35]
; %bb.21528:                            ;   in Loop: Header=BB6_20564 Depth=3
	v_or_b32_sdwa v48, v14, s86 dst_sel:DWORD dst_unused:UNUSED_PAD src0_sel:BYTE_3 src1_sel:DWORD
; %bb.21529:                            ;   in Loop: Header=BB6_20564 Depth=3
	s_or_b64 exec, exec, s[28:29]
	v_and_b32_e32 v14, 0xff, v41
	v_cmp_ne_u16_e32 vcc, 0, v14
	v_mov_b32_e32 v4, 0
	v_mov_b32_e32 v15, 0
	s_and_saveexec_b64 s[28:29], vcc
	s_cbranch_execz .LBB6_21535
; %bb.21530:                            ;   in Loop: Header=BB6_20564 Depth=3
	v_cmp_ne_u16_e32 vcc, s96, v14
	v_bfrev_b32_e32 v15, 1
	s_and_saveexec_b64 s[34:35], vcc
	s_cbranch_execz .LBB6_21534
; %bb.21531:                            ;   in Loop: Header=BB6_20564 Depth=3
	v_and_b32_e32 v16, 0x7f, v41
	v_cmp_ne_u32_e32 vcc, s86, v16
	v_mov_b32_e32 v15, 0x7f800001
	s_and_saveexec_b64 s[36:37], vcc
	s_cbranch_execz .LBB6_21533
; %bb.21532:                            ;   in Loop: Header=BB6_20564 Depth=3
	v_and_b32_e32 v23, 7, v14
	v_ffbh_u32_e32 v15, v23
	v_lshrrev_b32_e32 v25, 3, v16
	v_cmp_gt_u32_e32 vcc, 8, v16
	v_min_u32_e32 v16, 32, v15
	v_subrev_u32_e32 v15, 28, v16
	v_lshlrev_b64 v[14:15], v15, v[14:15]
	v_sub_u32_e32 v15, 29, v16
	v_and_b32_e32 v14, 7, v14
	v_cndmask_b32_e32 v15, v25, v15, vcc
	v_cndmask_b32_e32 v14, v23, v14, vcc
	v_lshlrev_b32_e32 v16, 24, v41
	v_bfrev_b32_e32 v23, 60
	v_lshlrev_b32_e32 v14, 20, v14
	v_and_b32_e32 v16, 0x80000000, v16
	v_lshl_add_u32 v15, v15, 23, v23
	v_or3_b32 v15, v16, v15, v14
.LBB6_21533:                            ;   in Loop: Header=BB6_20564 Depth=3
	s_or_b64 exec, exec, s[36:37]
.LBB6_21534:                            ;   in Loop: Header=BB6_20564 Depth=3
	s_or_b64 exec, exec, s[34:35]
.LBB6_21535:                            ;   in Loop: Header=BB6_20564 Depth=3
	s_or_b64 exec, exec, s[28:29]
	v_and_b32_e32 v14, 0xff, v22
	v_cmp_ne_u16_e32 vcc, 0, v14
	s_and_saveexec_b64 s[28:29], vcc
	s_cbranch_execz .LBB6_21541
; %bb.21536:                            ;   in Loop: Header=BB6_20564 Depth=3
	v_cmp_ne_u16_e32 vcc, s96, v14
	v_bfrev_b32_e32 v4, 1
	s_and_saveexec_b64 s[34:35], vcc
	s_cbranch_execz .LBB6_21540
; %bb.21537:                            ;   in Loop: Header=BB6_20564 Depth=3
	v_and_b32_e32 v16, 0x7f, v22
	v_cmp_ne_u32_e32 vcc, s86, v16
	v_mov_b32_e32 v4, 0x7f800001
	s_and_saveexec_b64 s[36:37], vcc
	s_cbranch_execz .LBB6_21539
; %bb.21538:                            ;   in Loop: Header=BB6_20564 Depth=3
	v_and_b32_e32 v4, 7, v14
	v_lshrrev_b32_e32 v23, 3, v16
	v_cmp_gt_u32_e32 vcc, 8, v16
	v_ffbh_u32_e32 v16, v4
	v_min_u32_e32 v16, 32, v16
	v_subrev_u32_e32 v25, 28, v16
	v_lshlrev_b64 v[27:28], v25, v[14:15]
	v_sub_u32_e32 v14, 29, v16
	v_and_b32_e32 v16, 7, v27
	v_cndmask_b32_e32 v14, v23, v14, vcc
	v_cndmask_b32_e32 v4, v4, v16, vcc
	v_lshlrev_b32_e32 v16, 24, v22
	v_bfrev_b32_e32 v22, 60
	v_lshlrev_b32_e32 v4, 20, v4
	v_and_b32_e32 v16, 0x80000000, v16
	v_lshl_add_u32 v14, v14, 23, v22
	v_or3_b32 v4, v16, v14, v4
.LBB6_21539:                            ;   in Loop: Header=BB6_20564 Depth=3
	s_or_b64 exec, exec, s[36:37]
.LBB6_21540:                            ;   in Loop: Header=BB6_20564 Depth=3
	s_or_b64 exec, exec, s[34:35]
.LBB6_21541:                            ;   in Loop: Header=BB6_20564 Depth=3
	s_or_b64 exec, exec, s[28:29]
	v_add_f32_e32 v14, v15, v4
	v_and_b32_e32 v15, 0x7f800000, v14
	v_mov_b32_e32 v16, v51
	v_cmp_ne_u64_e32 vcc, s[76:77], v[15:16]
                                        ; implicit-def: $vgpr41
	s_and_saveexec_b64 s[28:29], vcc
	s_xor_b64 s[34:35], exec, s[28:29]
	s_cbranch_execz .LBB6_21559
; %bb.21542:                            ;   in Loop: Header=BB6_20564 Depth=3
	v_and_b32_e32 v15, 0x7fffffff, v14
	v_mov_b32_e32 v16, v51
	v_cmp_gt_u64_e32 vcc, s[78:79], v[15:16]
	v_and_b32_sdwa v4, v14, s96 dst_sel:DWORD dst_unused:UNUSED_PAD src0_sel:BYTE_3 src1_sel:DWORD
                                        ; implicit-def: $vgpr41
	s_and_saveexec_b64 s[28:29], vcc
	s_xor_b64 s[36:37], exec, s[28:29]
	s_cbranch_execz .LBB6_21556
; %bb.21543:                            ;   in Loop: Header=BB6_20564 Depth=3
	v_cmp_ne_u32_e32 vcc, 0, v14
	v_mov_b32_e32 v41, 0
	s_and_saveexec_b64 s[38:39], vcc
	s_cbranch_execz .LBB6_21555
; %bb.21544:                            ;   in Loop: Header=BB6_20564 Depth=3
	v_bfe_u32 v22, v14, 23, 8
	v_and_b32_e32 v15, 0x7fffff, v14
	v_cmp_gt_u32_e64 s[28:29], s97, v22
	v_sub_u32_e32 v14, 0x79, v22
	v_cmp_eq_u32_e32 vcc, 0, v22
	v_cndmask_b32_e64 v14, 0, v14, s[28:29]
	v_mov_b32_e32 v23, 0x78
	v_or_b32_e32 v16, 0x800000, v15
	v_cndmask_b32_e32 v23, v14, v23, vcc
	v_cndmask_b32_e32 v14, v16, v15, vcc
	v_add_u32_e32 v16, 20, v23
	v_lshlrev_b64 v[27:28], v16, -1
	v_mov_b32_e32 v15, v51
	v_add_u32_e32 v16, 19, v23
	v_bfi_b32 v27, v27, 0, v14
	v_lshlrev_b64 v[29:30], v16, 1
	v_lshrrev_b64 v[14:15], v23, v[14:15]
	v_bfi_b32 v28, v28, 0, 0
	v_cmp_eq_u64_e64 s[28:29], v[27:28], v[29:30]
	v_mov_b32_e32 v16, v15
	v_mov_b32_e32 v15, v14
	s_and_saveexec_b64 s[48:49], s[28:29]
; %bb.21545:                            ;   in Loop: Header=BB6_20564 Depth=3
	v_bfe_u32 v15, v14, 20, 1
	v_add_co_u32_e64 v15, s[28:29], v14, v15
	v_add_co_u32_e64 v15, s[28:29], -1, v15
; %bb.21546:                            ;   in Loop: Header=BB6_20564 Depth=3
	s_or_b64 exec, exec, s[48:49]
	v_add_u32_e32 v16, 0xffffff81, v22
	v_mov_b32_e32 v22, 0xffffff82
	v_cndmask_b32_e32 v16, v16, v22, vcc
	v_lshrrev_b32_e32 v22, 23, v14
	v_add3_u32 v23, v23, v16, v22
	v_add_u32_e32 v22, 6, v23
	v_and_b32_e32 v15, 0xfffff, v15
	v_add_u32_e32 v14, v15, v14
	v_mov_b32_e32 v15, v51
	v_cmp_ne_u32_e32 vcc, 0, v22
                                        ; implicit-def: $vgpr16
	s_and_saveexec_b64 s[28:29], vcc
	s_xor_b64 s[28:29], exec, s[28:29]
; %bb.21547:                            ;   in Loop: Header=BB6_20564 Depth=3
	v_cmp_lt_u64_e32 vcc, s[88:89], v[14:15]
	v_add_u32_e32 v16, 7, v23
	v_cndmask_b32_e32 v16, v22, v16, vcc
	v_cndmask_b32_e64 v22, 0, 1, vcc
	v_lshrrev_b64 v[14:15], v22, v[14:15]
; %bb.21548:                            ;   in Loop: Header=BB6_20564 Depth=3
	s_andn2_saveexec_b64 s[28:29], s[28:29]
; %bb.21549:                            ;   in Loop: Header=BB6_20564 Depth=3
	v_bfe_u32 v16, v14, 23, 1
; %bb.21550:                            ;   in Loop: Header=BB6_20564 Depth=3
	s_or_b64 exec, exec, s[28:29]
	v_lshrrev_b64 v[14:15], 20, v[14:15]
	v_cmp_gt_i32_e32 vcc, 16, v16
	v_cndmask_b32_e32 v15, 0, v15, vcc
	v_cndmask_b32_e32 v14, 7, v14, vcc
	v_cmp_ne_u64_e32 vcc, 0, v[14:15]
	v_cmp_ne_u32_e64 s[28:29], 0, v16
	s_or_b64 s[28:29], s[28:29], vcc
                                        ; implicit-def: $vgpr41
	s_and_saveexec_b64 vcc, s[28:29]
	s_xor_b64 s[28:29], exec, vcc
; %bb.21551:                            ;   in Loop: Header=BB6_20564 Depth=3
	v_min_i32_e32 v15, 15, v16
	v_lshl_or_b32 v4, v15, 3, v4
	v_and_or_b32 v41, v14, 7, v4
                                        ; implicit-def: $vgpr4
; %bb.21552:                            ;   in Loop: Header=BB6_20564 Depth=3
	s_andn2_saveexec_b64 s[28:29], s[28:29]
; %bb.21553:                            ;   in Loop: Header=BB6_20564 Depth=3
	v_mov_b32_e32 v41, v4
; %bb.21554:                            ;   in Loop: Header=BB6_20564 Depth=3
	s_or_b64 exec, exec, s[28:29]
.LBB6_21555:                            ;   in Loop: Header=BB6_20564 Depth=3
	s_or_b64 exec, exec, s[38:39]
                                        ; implicit-def: $vgpr4
.LBB6_21556:                            ;   in Loop: Header=BB6_20564 Depth=3
	s_andn2_saveexec_b64 s[28:29], s[36:37]
; %bb.21557:                            ;   in Loop: Header=BB6_20564 Depth=3
	v_or_b32_e32 v41, 0x7e, v4
; %bb.21558:                            ;   in Loop: Header=BB6_20564 Depth=3
	s_or_b64 exec, exec, s[28:29]
                                        ; implicit-def: $vgpr14
.LBB6_21559:                            ;   in Loop: Header=BB6_20564 Depth=3
	s_andn2_saveexec_b64 s[28:29], s[34:35]
; %bb.21560:                            ;   in Loop: Header=BB6_20564 Depth=3
	v_or_b32_sdwa v41, v14, s86 dst_sel:DWORD dst_unused:UNUSED_PAD src0_sel:BYTE_3 src1_sel:DWORD
; %bb.21561:                            ;   in Loop: Header=BB6_20564 Depth=3
	s_or_b64 exec, exec, s[28:29]
	v_and_b32_e32 v14, 0xff, v44
	v_cmp_ne_u16_e32 vcc, 0, v14
	v_mov_b32_e32 v4, 0
	v_mov_b32_e32 v15, 0
	s_and_saveexec_b64 s[28:29], vcc
	s_cbranch_execz .LBB6_21567
; %bb.21562:                            ;   in Loop: Header=BB6_20564 Depth=3
	v_cmp_ne_u16_e32 vcc, s96, v14
	v_bfrev_b32_e32 v15, 1
	s_and_saveexec_b64 s[34:35], vcc
	s_cbranch_execz .LBB6_21566
; %bb.21563:                            ;   in Loop: Header=BB6_20564 Depth=3
	v_and_b32_e32 v16, 0x7f, v44
	v_cmp_ne_u32_e32 vcc, s86, v16
	v_mov_b32_e32 v15, 0x7f800001
	s_and_saveexec_b64 s[36:37], vcc
	s_cbranch_execz .LBB6_21565
; %bb.21564:                            ;   in Loop: Header=BB6_20564 Depth=3
	v_and_b32_e32 v22, 7, v14
	v_ffbh_u32_e32 v15, v22
	v_lshrrev_b32_e32 v23, 3, v16
	v_cmp_gt_u32_e32 vcc, 8, v16
	v_min_u32_e32 v16, 32, v15
	v_subrev_u32_e32 v15, 28, v16
	v_lshlrev_b64 v[14:15], v15, v[14:15]
	v_sub_u32_e32 v15, 29, v16
	v_and_b32_e32 v14, 7, v14
	v_cndmask_b32_e32 v15, v23, v15, vcc
	v_cndmask_b32_e32 v14, v22, v14, vcc
	v_lshlrev_b32_e32 v16, 24, v44
	v_bfrev_b32_e32 v22, 60
	v_lshlrev_b32_e32 v14, 20, v14
	v_and_b32_e32 v16, 0x80000000, v16
	v_lshl_add_u32 v15, v15, 23, v22
	v_or3_b32 v15, v16, v15, v14
.LBB6_21565:                            ;   in Loop: Header=BB6_20564 Depth=3
	s_or_b64 exec, exec, s[36:37]
.LBB6_21566:                            ;   in Loop: Header=BB6_20564 Depth=3
	s_or_b64 exec, exec, s[34:35]
.LBB6_21567:                            ;   in Loop: Header=BB6_20564 Depth=3
	s_or_b64 exec, exec, s[28:29]
	v_and_b32_e32 v14, 0xff, v21
	v_cmp_ne_u16_e32 vcc, 0, v14
	s_and_saveexec_b64 s[28:29], vcc
	s_cbranch_execz .LBB6_21573
; %bb.21568:                            ;   in Loop: Header=BB6_20564 Depth=3
	v_cmp_ne_u16_e32 vcc, s96, v14
	v_bfrev_b32_e32 v4, 1
	s_and_saveexec_b64 s[34:35], vcc
	s_cbranch_execz .LBB6_21572
; %bb.21569:                            ;   in Loop: Header=BB6_20564 Depth=3
	v_and_b32_e32 v16, 0x7f, v21
	v_cmp_ne_u32_e32 vcc, s86, v16
	v_mov_b32_e32 v4, 0x7f800001
	s_and_saveexec_b64 s[36:37], vcc
	s_cbranch_execz .LBB6_21571
; %bb.21570:                            ;   in Loop: Header=BB6_20564 Depth=3
	v_and_b32_e32 v4, 7, v14
	v_lshrrev_b32_e32 v25, 3, v16
	v_cmp_gt_u32_e32 vcc, 8, v16
	v_ffbh_u32_e32 v16, v4
	v_min_u32_e32 v16, 32, v16
	v_subrev_u32_e32 v22, 28, v16
	v_lshlrev_b64 v[22:23], v22, v[14:15]
	v_sub_u32_e32 v14, 29, v16
	v_and_b32_e32 v16, 7, v22
	v_cndmask_b32_e32 v14, v25, v14, vcc
	v_cndmask_b32_e32 v4, v4, v16, vcc
	v_lshlrev_b32_e32 v16, 24, v21
	v_bfrev_b32_e32 v21, 60
	v_lshlrev_b32_e32 v4, 20, v4
	v_and_b32_e32 v16, 0x80000000, v16
	v_lshl_add_u32 v14, v14, 23, v21
	v_or3_b32 v4, v16, v14, v4
.LBB6_21571:                            ;   in Loop: Header=BB6_20564 Depth=3
	s_or_b64 exec, exec, s[36:37]
.LBB6_21572:                            ;   in Loop: Header=BB6_20564 Depth=3
	s_or_b64 exec, exec, s[34:35]
.LBB6_21573:                            ;   in Loop: Header=BB6_20564 Depth=3
	s_or_b64 exec, exec, s[28:29]
	v_add_f32_e32 v14, v15, v4
	v_and_b32_e32 v15, 0x7f800000, v14
	v_mov_b32_e32 v16, v51
	v_cmp_ne_u64_e32 vcc, s[76:77], v[15:16]
                                        ; implicit-def: $vgpr44
	s_and_saveexec_b64 s[28:29], vcc
	s_xor_b64 s[34:35], exec, s[28:29]
	s_cbranch_execz .LBB6_21591
; %bb.21574:                            ;   in Loop: Header=BB6_20564 Depth=3
	v_and_b32_e32 v15, 0x7fffffff, v14
	v_mov_b32_e32 v16, v51
	v_cmp_gt_u64_e32 vcc, s[78:79], v[15:16]
	v_and_b32_sdwa v4, v14, s96 dst_sel:DWORD dst_unused:UNUSED_PAD src0_sel:BYTE_3 src1_sel:DWORD
                                        ; implicit-def: $vgpr44
	s_and_saveexec_b64 s[28:29], vcc
	s_xor_b64 s[36:37], exec, s[28:29]
	s_cbranch_execz .LBB6_21588
; %bb.21575:                            ;   in Loop: Header=BB6_20564 Depth=3
	v_cmp_ne_u32_e32 vcc, 0, v14
	v_mov_b32_e32 v44, 0
	s_and_saveexec_b64 s[38:39], vcc
	s_cbranch_execz .LBB6_21587
; %bb.21576:                            ;   in Loop: Header=BB6_20564 Depth=3
	v_bfe_u32 v21, v14, 23, 8
	v_and_b32_e32 v15, 0x7fffff, v14
	v_cmp_gt_u32_e64 s[28:29], s97, v21
	v_sub_u32_e32 v14, 0x79, v21
	v_cmp_eq_u32_e32 vcc, 0, v21
	v_cndmask_b32_e64 v14, 0, v14, s[28:29]
	v_mov_b32_e32 v22, 0x78
	v_or_b32_e32 v16, 0x800000, v15
	v_cndmask_b32_e32 v22, v14, v22, vcc
	v_cndmask_b32_e32 v14, v16, v15, vcc
	v_add_u32_e32 v16, 20, v22
	v_lshlrev_b64 v[27:28], v16, -1
	v_mov_b32_e32 v15, v51
	v_add_u32_e32 v16, 19, v22
	v_bfi_b32 v27, v27, 0, v14
	v_lshlrev_b64 v[29:30], v16, 1
	v_lshrrev_b64 v[14:15], v22, v[14:15]
	v_bfi_b32 v28, v28, 0, 0
	v_cmp_eq_u64_e64 s[28:29], v[27:28], v[29:30]
	v_mov_b32_e32 v16, v15
	v_mov_b32_e32 v15, v14
	s_and_saveexec_b64 s[48:49], s[28:29]
; %bb.21577:                            ;   in Loop: Header=BB6_20564 Depth=3
	v_bfe_u32 v15, v14, 20, 1
	v_add_co_u32_e64 v15, s[28:29], v14, v15
	v_add_co_u32_e64 v15, s[28:29], -1, v15
; %bb.21578:                            ;   in Loop: Header=BB6_20564 Depth=3
	s_or_b64 exec, exec, s[48:49]
	v_add_u32_e32 v16, 0xffffff81, v21
	v_mov_b32_e32 v21, 0xffffff82
	v_cndmask_b32_e32 v16, v16, v21, vcc
	v_lshrrev_b32_e32 v21, 23, v14
	v_add3_u32 v22, v22, v16, v21
	v_add_u32_e32 v21, 6, v22
	v_and_b32_e32 v15, 0xfffff, v15
	v_add_u32_e32 v14, v15, v14
	v_mov_b32_e32 v15, v51
	v_cmp_ne_u32_e32 vcc, 0, v21
                                        ; implicit-def: $vgpr16
	s_and_saveexec_b64 s[28:29], vcc
	s_xor_b64 s[28:29], exec, s[28:29]
; %bb.21579:                            ;   in Loop: Header=BB6_20564 Depth=3
	v_cmp_lt_u64_e32 vcc, s[88:89], v[14:15]
	v_add_u32_e32 v16, 7, v22
	v_cndmask_b32_e32 v16, v21, v16, vcc
	v_cndmask_b32_e64 v21, 0, 1, vcc
	v_lshrrev_b64 v[14:15], v21, v[14:15]
; %bb.21580:                            ;   in Loop: Header=BB6_20564 Depth=3
	s_andn2_saveexec_b64 s[28:29], s[28:29]
; %bb.21581:                            ;   in Loop: Header=BB6_20564 Depth=3
	v_bfe_u32 v16, v14, 23, 1
; %bb.21582:                            ;   in Loop: Header=BB6_20564 Depth=3
	s_or_b64 exec, exec, s[28:29]
	v_lshrrev_b64 v[14:15], 20, v[14:15]
	v_cmp_gt_i32_e32 vcc, 16, v16
	v_cndmask_b32_e32 v15, 0, v15, vcc
	v_cndmask_b32_e32 v14, 7, v14, vcc
	v_cmp_ne_u64_e32 vcc, 0, v[14:15]
	v_cmp_ne_u32_e64 s[28:29], 0, v16
	s_or_b64 s[28:29], s[28:29], vcc
                                        ; implicit-def: $vgpr44
	s_and_saveexec_b64 vcc, s[28:29]
	s_xor_b64 s[28:29], exec, vcc
; %bb.21583:                            ;   in Loop: Header=BB6_20564 Depth=3
	v_min_i32_e32 v15, 15, v16
	v_lshl_or_b32 v4, v15, 3, v4
	v_and_or_b32 v44, v14, 7, v4
                                        ; implicit-def: $vgpr4
; %bb.21584:                            ;   in Loop: Header=BB6_20564 Depth=3
	s_andn2_saveexec_b64 s[28:29], s[28:29]
; %bb.21585:                            ;   in Loop: Header=BB6_20564 Depth=3
	v_mov_b32_e32 v44, v4
; %bb.21586:                            ;   in Loop: Header=BB6_20564 Depth=3
	s_or_b64 exec, exec, s[28:29]
.LBB6_21587:                            ;   in Loop: Header=BB6_20564 Depth=3
	s_or_b64 exec, exec, s[38:39]
                                        ; implicit-def: $vgpr4
.LBB6_21588:                            ;   in Loop: Header=BB6_20564 Depth=3
	s_andn2_saveexec_b64 s[28:29], s[36:37]
; %bb.21589:                            ;   in Loop: Header=BB6_20564 Depth=3
	v_or_b32_e32 v44, 0x7e, v4
; %bb.21590:                            ;   in Loop: Header=BB6_20564 Depth=3
	s_or_b64 exec, exec, s[28:29]
                                        ; implicit-def: $vgpr14
.LBB6_21591:                            ;   in Loop: Header=BB6_20564 Depth=3
	s_andn2_saveexec_b64 s[28:29], s[34:35]
; %bb.21592:                            ;   in Loop: Header=BB6_20564 Depth=3
	v_or_b32_sdwa v44, v14, s86 dst_sel:DWORD dst_unused:UNUSED_PAD src0_sel:BYTE_3 src1_sel:DWORD
; %bb.21593:                            ;   in Loop: Header=BB6_20564 Depth=3
	s_or_b64 exec, exec, s[28:29]
	v_and_b32_e32 v14, 0xff, v43
	v_cmp_ne_u16_e32 vcc, 0, v14
	v_mov_b32_e32 v4, 0
	v_mov_b32_e32 v15, 0
	s_and_saveexec_b64 s[28:29], vcc
	s_cbranch_execz .LBB6_21599
; %bb.21594:                            ;   in Loop: Header=BB6_20564 Depth=3
	v_cmp_ne_u16_e32 vcc, s96, v14
	v_bfrev_b32_e32 v15, 1
	s_and_saveexec_b64 s[34:35], vcc
	s_cbranch_execz .LBB6_21598
; %bb.21595:                            ;   in Loop: Header=BB6_20564 Depth=3
	v_and_b32_e32 v16, 0x7f, v43
	v_cmp_ne_u32_e32 vcc, s86, v16
	v_mov_b32_e32 v15, 0x7f800001
	s_and_saveexec_b64 s[36:37], vcc
	s_cbranch_execz .LBB6_21597
; %bb.21596:                            ;   in Loop: Header=BB6_20564 Depth=3
	v_and_b32_e32 v21, 7, v14
	v_ffbh_u32_e32 v15, v21
	v_lshrrev_b32_e32 v22, 3, v16
	v_cmp_gt_u32_e32 vcc, 8, v16
	v_min_u32_e32 v16, 32, v15
	v_subrev_u32_e32 v15, 28, v16
	v_lshlrev_b64 v[14:15], v15, v[14:15]
	v_sub_u32_e32 v15, 29, v16
	v_and_b32_e32 v14, 7, v14
	v_cndmask_b32_e32 v15, v22, v15, vcc
	v_cndmask_b32_e32 v14, v21, v14, vcc
	v_lshlrev_b32_e32 v16, 24, v43
	v_bfrev_b32_e32 v21, 60
	v_lshlrev_b32_e32 v14, 20, v14
	v_and_b32_e32 v16, 0x80000000, v16
	v_lshl_add_u32 v15, v15, 23, v21
	v_or3_b32 v15, v16, v15, v14
.LBB6_21597:                            ;   in Loop: Header=BB6_20564 Depth=3
	s_or_b64 exec, exec, s[36:37]
.LBB6_21598:                            ;   in Loop: Header=BB6_20564 Depth=3
	s_or_b64 exec, exec, s[34:35]
.LBB6_21599:                            ;   in Loop: Header=BB6_20564 Depth=3
	s_or_b64 exec, exec, s[28:29]
	v_and_b32_e32 v14, 0xff, v20
	v_cmp_ne_u16_e32 vcc, 0, v14
	s_and_saveexec_b64 s[28:29], vcc
	s_cbranch_execz .LBB6_21605
; %bb.21600:                            ;   in Loop: Header=BB6_20564 Depth=3
	v_cmp_ne_u16_e32 vcc, s96, v14
	v_bfrev_b32_e32 v4, 1
	s_and_saveexec_b64 s[34:35], vcc
	s_cbranch_execz .LBB6_21604
; %bb.21601:                            ;   in Loop: Header=BB6_20564 Depth=3
	v_and_b32_e32 v16, 0x7f, v20
	v_cmp_ne_u32_e32 vcc, s86, v16
	v_mov_b32_e32 v4, 0x7f800001
	s_and_saveexec_b64 s[36:37], vcc
	s_cbranch_execz .LBB6_21603
; %bb.21602:                            ;   in Loop: Header=BB6_20564 Depth=3
	v_and_b32_e32 v4, 7, v14
	v_lshrrev_b32_e32 v23, 3, v16
	v_cmp_gt_u32_e32 vcc, 8, v16
	v_ffbh_u32_e32 v16, v4
	v_min_u32_e32 v16, 32, v16
	v_subrev_u32_e32 v21, 28, v16
	v_lshlrev_b64 v[21:22], v21, v[14:15]
	v_sub_u32_e32 v14, 29, v16
	v_and_b32_e32 v16, 7, v21
	v_cndmask_b32_e32 v14, v23, v14, vcc
	v_cndmask_b32_e32 v4, v4, v16, vcc
	v_lshlrev_b32_e32 v16, 24, v20
	v_bfrev_b32_e32 v20, 60
	v_lshlrev_b32_e32 v4, 20, v4
	v_and_b32_e32 v16, 0x80000000, v16
	v_lshl_add_u32 v14, v14, 23, v20
	v_or3_b32 v4, v16, v14, v4
.LBB6_21603:                            ;   in Loop: Header=BB6_20564 Depth=3
	s_or_b64 exec, exec, s[36:37]
.LBB6_21604:                            ;   in Loop: Header=BB6_20564 Depth=3
	s_or_b64 exec, exec, s[34:35]
.LBB6_21605:                            ;   in Loop: Header=BB6_20564 Depth=3
	s_or_b64 exec, exec, s[28:29]
	v_add_f32_e32 v14, v15, v4
	v_and_b32_e32 v15, 0x7f800000, v14
	v_mov_b32_e32 v16, v51
	v_cmp_ne_u64_e32 vcc, s[76:77], v[15:16]
                                        ; implicit-def: $vgpr43
	s_and_saveexec_b64 s[28:29], vcc
	s_xor_b64 s[34:35], exec, s[28:29]
	s_cbranch_execz .LBB6_21623
; %bb.21606:                            ;   in Loop: Header=BB6_20564 Depth=3
	v_and_b32_e32 v15, 0x7fffffff, v14
	v_mov_b32_e32 v16, v51
	v_cmp_gt_u64_e32 vcc, s[78:79], v[15:16]
	v_and_b32_sdwa v4, v14, s96 dst_sel:DWORD dst_unused:UNUSED_PAD src0_sel:BYTE_3 src1_sel:DWORD
                                        ; implicit-def: $vgpr43
	s_and_saveexec_b64 s[28:29], vcc
	s_xor_b64 s[36:37], exec, s[28:29]
	s_cbranch_execz .LBB6_21620
; %bb.21607:                            ;   in Loop: Header=BB6_20564 Depth=3
	v_cmp_ne_u32_e32 vcc, 0, v14
	v_mov_b32_e32 v43, 0
	s_and_saveexec_b64 s[38:39], vcc
	s_cbranch_execz .LBB6_21619
; %bb.21608:                            ;   in Loop: Header=BB6_20564 Depth=3
	v_bfe_u32 v20, v14, 23, 8
	v_and_b32_e32 v15, 0x7fffff, v14
	v_cmp_gt_u32_e64 s[28:29], s97, v20
	v_sub_u32_e32 v14, 0x79, v20
	v_cmp_eq_u32_e32 vcc, 0, v20
	v_cndmask_b32_e64 v14, 0, v14, s[28:29]
	v_mov_b32_e32 v21, 0x78
	v_or_b32_e32 v16, 0x800000, v15
	v_cndmask_b32_e32 v21, v14, v21, vcc
	v_cndmask_b32_e32 v14, v16, v15, vcc
	v_add_u32_e32 v16, 20, v21
	v_lshlrev_b64 v[22:23], v16, -1
	v_mov_b32_e32 v15, v51
	v_add_u32_e32 v16, 19, v21
	v_bfi_b32 v22, v22, 0, v14
	v_lshlrev_b64 v[27:28], v16, 1
	v_lshrrev_b64 v[14:15], v21, v[14:15]
	v_bfi_b32 v23, v23, 0, 0
	v_cmp_eq_u64_e64 s[28:29], v[22:23], v[27:28]
	v_mov_b32_e32 v16, v15
	v_mov_b32_e32 v15, v14
	s_and_saveexec_b64 s[48:49], s[28:29]
; %bb.21609:                            ;   in Loop: Header=BB6_20564 Depth=3
	v_bfe_u32 v15, v14, 20, 1
	v_add_co_u32_e64 v15, s[28:29], v14, v15
	v_add_co_u32_e64 v15, s[28:29], -1, v15
; %bb.21610:                            ;   in Loop: Header=BB6_20564 Depth=3
	s_or_b64 exec, exec, s[48:49]
	v_add_u32_e32 v16, 0xffffff81, v20
	v_mov_b32_e32 v20, 0xffffff82
	v_cndmask_b32_e32 v16, v16, v20, vcc
	v_lshrrev_b32_e32 v20, 23, v14
	v_add3_u32 v21, v21, v16, v20
	v_add_u32_e32 v20, 6, v21
	v_and_b32_e32 v15, 0xfffff, v15
	v_add_u32_e32 v14, v15, v14
	v_mov_b32_e32 v15, v51
	v_cmp_ne_u32_e32 vcc, 0, v20
                                        ; implicit-def: $vgpr16
	s_and_saveexec_b64 s[28:29], vcc
	s_xor_b64 s[28:29], exec, s[28:29]
; %bb.21611:                            ;   in Loop: Header=BB6_20564 Depth=3
	v_cmp_lt_u64_e32 vcc, s[88:89], v[14:15]
	v_add_u32_e32 v16, 7, v21
	v_cndmask_b32_e32 v16, v20, v16, vcc
	v_cndmask_b32_e64 v20, 0, 1, vcc
	v_lshrrev_b64 v[14:15], v20, v[14:15]
; %bb.21612:                            ;   in Loop: Header=BB6_20564 Depth=3
	s_andn2_saveexec_b64 s[28:29], s[28:29]
; %bb.21613:                            ;   in Loop: Header=BB6_20564 Depth=3
	v_bfe_u32 v16, v14, 23, 1
; %bb.21614:                            ;   in Loop: Header=BB6_20564 Depth=3
	s_or_b64 exec, exec, s[28:29]
	v_lshrrev_b64 v[14:15], 20, v[14:15]
	v_cmp_gt_i32_e32 vcc, 16, v16
	v_cndmask_b32_e32 v15, 0, v15, vcc
	v_cndmask_b32_e32 v14, 7, v14, vcc
	v_cmp_ne_u64_e32 vcc, 0, v[14:15]
	v_cmp_ne_u32_e64 s[28:29], 0, v16
	s_or_b64 s[28:29], s[28:29], vcc
                                        ; implicit-def: $vgpr43
	s_and_saveexec_b64 vcc, s[28:29]
	s_xor_b64 s[28:29], exec, vcc
; %bb.21615:                            ;   in Loop: Header=BB6_20564 Depth=3
	v_min_i32_e32 v15, 15, v16
	v_lshl_or_b32 v4, v15, 3, v4
	v_and_or_b32 v43, v14, 7, v4
                                        ; implicit-def: $vgpr4
; %bb.21616:                            ;   in Loop: Header=BB6_20564 Depth=3
	s_andn2_saveexec_b64 s[28:29], s[28:29]
; %bb.21617:                            ;   in Loop: Header=BB6_20564 Depth=3
	v_mov_b32_e32 v43, v4
; %bb.21618:                            ;   in Loop: Header=BB6_20564 Depth=3
	s_or_b64 exec, exec, s[28:29]
.LBB6_21619:                            ;   in Loop: Header=BB6_20564 Depth=3
	s_or_b64 exec, exec, s[38:39]
                                        ; implicit-def: $vgpr4
.LBB6_21620:                            ;   in Loop: Header=BB6_20564 Depth=3
	s_andn2_saveexec_b64 s[28:29], s[36:37]
; %bb.21621:                            ;   in Loop: Header=BB6_20564 Depth=3
	v_or_b32_e32 v43, 0x7e, v4
; %bb.21622:                            ;   in Loop: Header=BB6_20564 Depth=3
	s_or_b64 exec, exec, s[28:29]
                                        ; implicit-def: $vgpr14
.LBB6_21623:                            ;   in Loop: Header=BB6_20564 Depth=3
	s_andn2_saveexec_b64 s[28:29], s[34:35]
; %bb.21624:                            ;   in Loop: Header=BB6_20564 Depth=3
	v_or_b32_sdwa v43, v14, s86 dst_sel:DWORD dst_unused:UNUSED_PAD src0_sel:BYTE_3 src1_sel:DWORD
; %bb.21625:                            ;   in Loop: Header=BB6_20564 Depth=3
	s_or_b64 exec, exec, s[28:29]
	v_and_b32_e32 v14, 0xff, v40
	v_cmp_ne_u16_e32 vcc, 0, v14
	v_mov_b32_e32 v4, 0
	v_mov_b32_e32 v15, 0
	s_and_saveexec_b64 s[28:29], vcc
	s_cbranch_execz .LBB6_21631
; %bb.21626:                            ;   in Loop: Header=BB6_20564 Depth=3
	v_cmp_ne_u16_e32 vcc, s96, v14
	v_bfrev_b32_e32 v15, 1
	s_and_saveexec_b64 s[34:35], vcc
	s_cbranch_execz .LBB6_21630
; %bb.21627:                            ;   in Loop: Header=BB6_20564 Depth=3
	v_and_b32_e32 v16, 0x7f, v40
	v_cmp_ne_u32_e32 vcc, s86, v16
	v_mov_b32_e32 v15, 0x7f800001
	s_and_saveexec_b64 s[36:37], vcc
	s_cbranch_execz .LBB6_21629
; %bb.21628:                            ;   in Loop: Header=BB6_20564 Depth=3
	v_and_b32_e32 v20, 7, v14
	v_ffbh_u32_e32 v15, v20
	v_lshrrev_b32_e32 v21, 3, v16
	v_cmp_gt_u32_e32 vcc, 8, v16
	v_min_u32_e32 v16, 32, v15
	v_subrev_u32_e32 v15, 28, v16
	v_lshlrev_b64 v[14:15], v15, v[14:15]
	v_sub_u32_e32 v15, 29, v16
	v_and_b32_e32 v14, 7, v14
	v_cndmask_b32_e32 v15, v21, v15, vcc
	v_cndmask_b32_e32 v14, v20, v14, vcc
	v_lshlrev_b32_e32 v16, 24, v40
	v_bfrev_b32_e32 v20, 60
	v_lshlrev_b32_e32 v14, 20, v14
	v_and_b32_e32 v16, 0x80000000, v16
	v_lshl_add_u32 v15, v15, 23, v20
	v_or3_b32 v15, v16, v15, v14
.LBB6_21629:                            ;   in Loop: Header=BB6_20564 Depth=3
	s_or_b64 exec, exec, s[36:37]
.LBB6_21630:                            ;   in Loop: Header=BB6_20564 Depth=3
	s_or_b64 exec, exec, s[34:35]
.LBB6_21631:                            ;   in Loop: Header=BB6_20564 Depth=3
	s_or_b64 exec, exec, s[28:29]
	v_and_b32_e32 v14, 0xff, v5
	v_cmp_ne_u16_e32 vcc, 0, v14
	s_and_saveexec_b64 s[28:29], vcc
	s_cbranch_execz .LBB6_21637
; %bb.21632:                            ;   in Loop: Header=BB6_20564 Depth=3
	v_cmp_ne_u16_e32 vcc, s96, v14
	v_bfrev_b32_e32 v4, 1
	s_and_saveexec_b64 s[34:35], vcc
	s_cbranch_execz .LBB6_21636
; %bb.21633:                            ;   in Loop: Header=BB6_20564 Depth=3
	v_and_b32_e32 v16, 0x7f, v5
	v_cmp_ne_u32_e32 vcc, s86, v16
	v_mov_b32_e32 v4, 0x7f800001
	s_and_saveexec_b64 s[36:37], vcc
	s_cbranch_execz .LBB6_21635
; %bb.21634:                            ;   in Loop: Header=BB6_20564 Depth=3
	v_and_b32_e32 v4, 7, v14
	v_lshrrev_b32_e32 v22, 3, v16
	v_cmp_gt_u32_e32 vcc, 8, v16
	v_ffbh_u32_e32 v16, v4
	v_min_u32_e32 v16, 32, v16
	v_subrev_u32_e32 v20, 28, v16
	v_lshlrev_b64 v[20:21], v20, v[14:15]
	v_sub_u32_e32 v14, 29, v16
	v_and_b32_e32 v16, 7, v20
	v_cndmask_b32_e32 v14, v22, v14, vcc
	v_cndmask_b32_e32 v4, v4, v16, vcc
	v_lshlrev_b32_e32 v5, 24, v5
	v_bfrev_b32_e32 v16, 60
	v_lshlrev_b32_e32 v4, 20, v4
	v_and_b32_e32 v5, 0x80000000, v5
	v_lshl_add_u32 v14, v14, 23, v16
	v_or3_b32 v4, v5, v14, v4
.LBB6_21635:                            ;   in Loop: Header=BB6_20564 Depth=3
	s_or_b64 exec, exec, s[36:37]
.LBB6_21636:                            ;   in Loop: Header=BB6_20564 Depth=3
	s_or_b64 exec, exec, s[34:35]
.LBB6_21637:                            ;   in Loop: Header=BB6_20564 Depth=3
	s_or_b64 exec, exec, s[28:29]
	v_add_f32_e32 v5, v15, v4
	v_and_b32_e32 v14, 0x7f800000, v5
	v_mov_b32_e32 v15, v51
	v_cmp_ne_u64_e32 vcc, s[76:77], v[14:15]
                                        ; implicit-def: $vgpr40
	s_and_saveexec_b64 s[28:29], vcc
	s_xor_b64 s[34:35], exec, s[28:29]
	s_cbranch_execz .LBB6_21655
; %bb.21638:                            ;   in Loop: Header=BB6_20564 Depth=3
	v_and_b32_e32 v14, 0x7fffffff, v5
	v_mov_b32_e32 v15, v51
	v_cmp_gt_u64_e32 vcc, s[78:79], v[14:15]
	v_and_b32_sdwa v4, v5, s96 dst_sel:DWORD dst_unused:UNUSED_PAD src0_sel:BYTE_3 src1_sel:DWORD
                                        ; implicit-def: $vgpr40
	s_and_saveexec_b64 s[28:29], vcc
	s_xor_b64 s[36:37], exec, s[28:29]
	s_cbranch_execz .LBB6_21652
; %bb.21639:                            ;   in Loop: Header=BB6_20564 Depth=3
	v_cmp_ne_u32_e32 vcc, 0, v5
	v_mov_b32_e32 v40, 0
	s_and_saveexec_b64 s[38:39], vcc
	s_cbranch_execz .LBB6_21651
; %bb.21640:                            ;   in Loop: Header=BB6_20564 Depth=3
	v_and_b32_e32 v14, 0x7fffff, v5
	v_bfe_u32 v5, v5, 23, 8
	v_cmp_gt_u32_e64 s[28:29], s97, v5
	v_sub_u32_e32 v15, 0x79, v5
	v_cmp_eq_u32_e32 vcc, 0, v5
	v_cndmask_b32_e64 v15, 0, v15, s[28:29]
	v_mov_b32_e32 v20, 0x78
	v_or_b32_e32 v16, 0x800000, v14
	v_cndmask_b32_e32 v20, v15, v20, vcc
	v_cndmask_b32_e32 v14, v16, v14, vcc
	v_add_u32_e32 v16, 20, v20
	v_lshlrev_b64 v[21:22], v16, -1
	v_mov_b32_e32 v15, v51
	v_add_u32_e32 v16, 19, v20
	v_bfi_b32 v21, v21, 0, v14
	v_lshlrev_b64 v[27:28], v16, 1
	v_lshrrev_b64 v[14:15], v20, v[14:15]
	v_bfi_b32 v22, v22, 0, 0
	v_cmp_eq_u64_e64 s[28:29], v[21:22], v[27:28]
	v_mov_b32_e32 v16, v15
	v_mov_b32_e32 v15, v14
	s_and_saveexec_b64 s[48:49], s[28:29]
; %bb.21641:                            ;   in Loop: Header=BB6_20564 Depth=3
	v_bfe_u32 v15, v14, 20, 1
	v_add_co_u32_e64 v15, s[28:29], v14, v15
	v_add_co_u32_e64 v15, s[28:29], -1, v15
; %bb.21642:                            ;   in Loop: Header=BB6_20564 Depth=3
	s_or_b64 exec, exec, s[48:49]
	v_add_u32_e32 v5, 0xffffff81, v5
	v_mov_b32_e32 v16, 0xffffff82
	v_cndmask_b32_e32 v5, v5, v16, vcc
	v_lshrrev_b32_e32 v16, 23, v14
	v_add3_u32 v20, v20, v5, v16
	v_add_u32_e32 v16, 6, v20
	v_and_b32_e32 v5, 0xfffff, v15
	v_add_u32_e32 v14, v5, v14
	v_mov_b32_e32 v15, v51
	v_cmp_ne_u32_e32 vcc, 0, v16
                                        ; implicit-def: $vgpr5
	s_and_saveexec_b64 s[28:29], vcc
	s_xor_b64 s[28:29], exec, s[28:29]
; %bb.21643:                            ;   in Loop: Header=BB6_20564 Depth=3
	v_cmp_lt_u64_e32 vcc, s[88:89], v[14:15]
	v_add_u32_e32 v5, 7, v20
	v_cndmask_b32_e32 v5, v16, v5, vcc
	v_cndmask_b32_e64 v16, 0, 1, vcc
	v_lshrrev_b64 v[14:15], v16, v[14:15]
; %bb.21644:                            ;   in Loop: Header=BB6_20564 Depth=3
	s_andn2_saveexec_b64 s[28:29], s[28:29]
; %bb.21645:                            ;   in Loop: Header=BB6_20564 Depth=3
	v_bfe_u32 v5, v14, 23, 1
; %bb.21646:                            ;   in Loop: Header=BB6_20564 Depth=3
	s_or_b64 exec, exec, s[28:29]
	v_lshrrev_b64 v[14:15], 20, v[14:15]
	v_cmp_gt_i32_e32 vcc, 16, v5
	v_cndmask_b32_e32 v15, 0, v15, vcc
	v_cndmask_b32_e32 v14, 7, v14, vcc
	v_cmp_ne_u64_e32 vcc, 0, v[14:15]
	v_cmp_ne_u32_e64 s[28:29], 0, v5
	s_or_b64 s[28:29], s[28:29], vcc
                                        ; implicit-def: $vgpr40
	s_and_saveexec_b64 vcc, s[28:29]
	s_xor_b64 s[28:29], exec, vcc
; %bb.21647:                            ;   in Loop: Header=BB6_20564 Depth=3
	v_min_i32_e32 v5, 15, v5
	v_lshl_or_b32 v4, v5, 3, v4
	v_and_or_b32 v40, v14, 7, v4
                                        ; implicit-def: $vgpr4
; %bb.21648:                            ;   in Loop: Header=BB6_20564 Depth=3
	s_andn2_saveexec_b64 s[28:29], s[28:29]
; %bb.21649:                            ;   in Loop: Header=BB6_20564 Depth=3
	v_mov_b32_e32 v40, v4
; %bb.21650:                            ;   in Loop: Header=BB6_20564 Depth=3
	s_or_b64 exec, exec, s[28:29]
.LBB6_21651:                            ;   in Loop: Header=BB6_20564 Depth=3
	s_or_b64 exec, exec, s[38:39]
                                        ; implicit-def: $vgpr4
.LBB6_21652:                            ;   in Loop: Header=BB6_20564 Depth=3
	s_andn2_saveexec_b64 s[28:29], s[36:37]
; %bb.21653:                            ;   in Loop: Header=BB6_20564 Depth=3
	v_or_b32_e32 v40, 0x7e, v4
; %bb.21654:                            ;   in Loop: Header=BB6_20564 Depth=3
	s_or_b64 exec, exec, s[28:29]
                                        ; implicit-def: $vgpr5
.LBB6_21655:                            ;   in Loop: Header=BB6_20564 Depth=3
	s_andn2_saveexec_b64 s[28:29], s[34:35]
; %bb.21656:                            ;   in Loop: Header=BB6_20564 Depth=3
	v_or_b32_sdwa v40, v5, s86 dst_sel:DWORD dst_unused:UNUSED_PAD src0_sel:BYTE_3 src1_sel:DWORD
; %bb.21657:                            ;   in Loop: Header=BB6_20564 Depth=3
	s_or_b64 exec, exec, s[28:29]
	v_and_b32_e32 v14, 0xff, v55
	v_cmp_ne_u16_e32 vcc, 0, v14
	v_mov_b32_e32 v4, 0
	v_mov_b32_e32 v5, 0
	s_and_saveexec_b64 s[28:29], vcc
	s_cbranch_execz .LBB6_21663
; %bb.21658:                            ;   in Loop: Header=BB6_20564 Depth=3
	v_cmp_ne_u16_e32 vcc, s96, v14
	v_bfrev_b32_e32 v5, 1
	s_and_saveexec_b64 s[34:35], vcc
	s_cbranch_execz .LBB6_21662
; %bb.21659:                            ;   in Loop: Header=BB6_20564 Depth=3
	v_and_b32_e32 v15, 0x7f, v55
	v_cmp_ne_u32_e32 vcc, s86, v15
	v_mov_b32_e32 v5, 0x7f800001
	s_and_saveexec_b64 s[36:37], vcc
	s_cbranch_execz .LBB6_21661
; %bb.21660:                            ;   in Loop: Header=BB6_20564 Depth=3
	v_and_b32_e32 v5, 7, v14
	v_lshrrev_b32_e32 v16, 3, v15
	v_cmp_gt_u32_e32 vcc, 8, v15
	v_ffbh_u32_e32 v15, v5
	v_min_u32_e32 v20, 32, v15
	v_subrev_u32_e32 v15, 28, v20
	v_lshlrev_b64 v[14:15], v15, v[14:15]
	v_sub_u32_e32 v15, 29, v20
	v_and_b32_e32 v14, 7, v14
	v_cndmask_b32_e32 v15, v16, v15, vcc
	v_cndmask_b32_e32 v5, v5, v14, vcc
	v_lshlrev_b32_e32 v14, 24, v55
	v_bfrev_b32_e32 v16, 60
	v_lshlrev_b32_e32 v5, 20, v5
	v_and_b32_e32 v14, 0x80000000, v14
	v_lshl_add_u32 v15, v15, 23, v16
	v_or3_b32 v5, v14, v15, v5
.LBB6_21661:                            ;   in Loop: Header=BB6_20564 Depth=3
	s_or_b64 exec, exec, s[36:37]
.LBB6_21662:                            ;   in Loop: Header=BB6_20564 Depth=3
	s_or_b64 exec, exec, s[34:35]
.LBB6_21663:                            ;   in Loop: Header=BB6_20564 Depth=3
	s_or_b64 exec, exec, s[28:29]
	v_and_b32_e32 v14, 0xff, v32
	v_cmp_ne_u16_e32 vcc, 0, v14
	s_and_saveexec_b64 s[28:29], vcc
	s_cbranch_execz .LBB6_21669
; %bb.21664:                            ;   in Loop: Header=BB6_20564 Depth=3
	v_cmp_ne_u16_e32 vcc, s96, v14
	v_bfrev_b32_e32 v4, 1
	s_and_saveexec_b64 s[34:35], vcc
	s_cbranch_execz .LBB6_21668
; %bb.21665:                            ;   in Loop: Header=BB6_20564 Depth=3
	v_and_b32_e32 v15, 0x7f, v32
	v_cmp_ne_u32_e32 vcc, s86, v15
	v_mov_b32_e32 v4, 0x7f800001
	s_and_saveexec_b64 s[36:37], vcc
	s_cbranch_execz .LBB6_21667
; %bb.21666:                            ;   in Loop: Header=BB6_20564 Depth=3
	v_and_b32_e32 v4, 7, v14
	v_lshrrev_b32_e32 v16, 3, v15
	v_cmp_gt_u32_e32 vcc, 8, v15
	v_ffbh_u32_e32 v15, v4
	v_min_u32_e32 v20, 32, v15
	v_subrev_u32_e32 v15, 28, v20
	v_lshlrev_b64 v[14:15], v15, v[14:15]
	v_sub_u32_e32 v15, 29, v20
	v_and_b32_e32 v14, 7, v14
	v_cndmask_b32_e32 v15, v16, v15, vcc
	v_cndmask_b32_e32 v4, v4, v14, vcc
	v_lshlrev_b32_e32 v14, 24, v32
	v_bfrev_b32_e32 v16, 60
	v_lshlrev_b32_e32 v4, 20, v4
	v_and_b32_e32 v14, 0x80000000, v14
	v_lshl_add_u32 v15, v15, 23, v16
	v_or3_b32 v4, v14, v15, v4
.LBB6_21667:                            ;   in Loop: Header=BB6_20564 Depth=3
	s_or_b64 exec, exec, s[36:37]
.LBB6_21668:                            ;   in Loop: Header=BB6_20564 Depth=3
	s_or_b64 exec, exec, s[34:35]
.LBB6_21669:                            ;   in Loop: Header=BB6_20564 Depth=3
	s_or_b64 exec, exec, s[28:29]
	v_add_f32_e32 v5, v5, v4
	v_and_b32_e32 v14, 0x7f800000, v5
	v_mov_b32_e32 v15, v51
	v_cmp_ne_u64_e32 vcc, s[76:77], v[14:15]
                                        ; implicit-def: $vgpr55
	s_and_saveexec_b64 s[28:29], vcc
	s_xor_b64 s[34:35], exec, s[28:29]
	s_cbranch_execz .LBB6_21687
; %bb.21670:                            ;   in Loop: Header=BB6_20564 Depth=3
	v_and_b32_e32 v14, 0x7fffffff, v5
	v_mov_b32_e32 v15, v51
	v_cmp_gt_u64_e32 vcc, s[78:79], v[14:15]
	v_and_b32_sdwa v4, v5, s96 dst_sel:DWORD dst_unused:UNUSED_PAD src0_sel:BYTE_3 src1_sel:DWORD
                                        ; implicit-def: $vgpr55
	s_and_saveexec_b64 s[28:29], vcc
	s_xor_b64 s[36:37], exec, s[28:29]
	s_cbranch_execz .LBB6_21684
; %bb.21671:                            ;   in Loop: Header=BB6_20564 Depth=3
	v_cmp_ne_u32_e32 vcc, 0, v5
	v_mov_b32_e32 v55, 0
	s_and_saveexec_b64 s[38:39], vcc
	s_cbranch_execz .LBB6_21683
; %bb.21672:                            ;   in Loop: Header=BB6_20564 Depth=3
	v_and_b32_e32 v14, 0x7fffff, v5
	v_bfe_u32 v5, v5, 23, 8
	v_cmp_gt_u32_e64 s[28:29], s97, v5
	v_sub_u32_e32 v15, 0x79, v5
	v_cmp_eq_u32_e32 vcc, 0, v5
	v_cndmask_b32_e64 v15, 0, v15, s[28:29]
	v_mov_b32_e32 v20, 0x78
	v_or_b32_e32 v16, 0x800000, v14
	v_cndmask_b32_e32 v20, v15, v20, vcc
	v_cndmask_b32_e32 v14, v16, v14, vcc
	v_add_u32_e32 v16, 20, v20
	v_lshlrev_b64 v[21:22], v16, -1
	v_mov_b32_e32 v15, v51
	v_add_u32_e32 v16, 19, v20
	v_bfi_b32 v21, v21, 0, v14
	v_lshlrev_b64 v[27:28], v16, 1
	v_lshrrev_b64 v[14:15], v20, v[14:15]
	v_bfi_b32 v22, v22, 0, 0
	v_cmp_eq_u64_e64 s[28:29], v[21:22], v[27:28]
	v_mov_b32_e32 v16, v15
	v_mov_b32_e32 v15, v14
	s_and_saveexec_b64 s[48:49], s[28:29]
; %bb.21673:                            ;   in Loop: Header=BB6_20564 Depth=3
	v_bfe_u32 v15, v14, 20, 1
	v_add_co_u32_e64 v15, s[28:29], v14, v15
	v_add_co_u32_e64 v15, s[28:29], -1, v15
; %bb.21674:                            ;   in Loop: Header=BB6_20564 Depth=3
	s_or_b64 exec, exec, s[48:49]
	v_add_u32_e32 v5, 0xffffff81, v5
	v_mov_b32_e32 v16, 0xffffff82
	v_cndmask_b32_e32 v5, v5, v16, vcc
	v_lshrrev_b32_e32 v16, 23, v14
	v_add3_u32 v20, v20, v5, v16
	v_add_u32_e32 v16, 6, v20
	v_and_b32_e32 v5, 0xfffff, v15
	v_add_u32_e32 v14, v5, v14
	v_mov_b32_e32 v15, v51
	v_cmp_ne_u32_e32 vcc, 0, v16
                                        ; implicit-def: $vgpr5
	s_and_saveexec_b64 s[28:29], vcc
	s_xor_b64 s[28:29], exec, s[28:29]
; %bb.21675:                            ;   in Loop: Header=BB6_20564 Depth=3
	v_cmp_lt_u64_e32 vcc, s[88:89], v[14:15]
	v_add_u32_e32 v5, 7, v20
	v_cndmask_b32_e32 v5, v16, v5, vcc
	v_cndmask_b32_e64 v16, 0, 1, vcc
	v_lshrrev_b64 v[14:15], v16, v[14:15]
; %bb.21676:                            ;   in Loop: Header=BB6_20564 Depth=3
	s_andn2_saveexec_b64 s[28:29], s[28:29]
; %bb.21677:                            ;   in Loop: Header=BB6_20564 Depth=3
	v_bfe_u32 v5, v14, 23, 1
; %bb.21678:                            ;   in Loop: Header=BB6_20564 Depth=3
	s_or_b64 exec, exec, s[28:29]
	v_lshrrev_b64 v[14:15], 20, v[14:15]
	v_cmp_gt_i32_e32 vcc, 16, v5
	v_cndmask_b32_e32 v15, 0, v15, vcc
	v_cndmask_b32_e32 v14, 7, v14, vcc
	v_cmp_ne_u64_e32 vcc, 0, v[14:15]
	v_cmp_ne_u32_e64 s[28:29], 0, v5
	s_or_b64 s[28:29], s[28:29], vcc
                                        ; implicit-def: $vgpr55
	s_and_saveexec_b64 vcc, s[28:29]
	s_xor_b64 s[28:29], exec, vcc
; %bb.21679:                            ;   in Loop: Header=BB6_20564 Depth=3
	v_min_i32_e32 v5, 15, v5
	v_lshl_or_b32 v4, v5, 3, v4
	v_and_or_b32 v55, v14, 7, v4
                                        ; implicit-def: $vgpr4
; %bb.21680:                            ;   in Loop: Header=BB6_20564 Depth=3
	s_andn2_saveexec_b64 s[28:29], s[28:29]
; %bb.21681:                            ;   in Loop: Header=BB6_20564 Depth=3
	v_mov_b32_e32 v55, v4
; %bb.21682:                            ;   in Loop: Header=BB6_20564 Depth=3
	s_or_b64 exec, exec, s[28:29]
.LBB6_21683:                            ;   in Loop: Header=BB6_20564 Depth=3
	s_or_b64 exec, exec, s[38:39]
                                        ; implicit-def: $vgpr4
.LBB6_21684:                            ;   in Loop: Header=BB6_20564 Depth=3
	s_andn2_saveexec_b64 s[28:29], s[36:37]
; %bb.21685:                            ;   in Loop: Header=BB6_20564 Depth=3
	v_or_b32_e32 v55, 0x7e, v4
; %bb.21686:                            ;   in Loop: Header=BB6_20564 Depth=3
	s_or_b64 exec, exec, s[28:29]
                                        ; implicit-def: $vgpr5
.LBB6_21687:                            ;   in Loop: Header=BB6_20564 Depth=3
	s_andn2_saveexec_b64 s[28:29], s[34:35]
; %bb.21688:                            ;   in Loop: Header=BB6_20564 Depth=3
	v_or_b32_sdwa v55, v5, s86 dst_sel:DWORD dst_unused:UNUSED_PAD src0_sel:BYTE_3 src1_sel:DWORD
; %bb.21689:                            ;   in Loop: Header=BB6_20564 Depth=3
	s_or_b64 exec, exec, s[28:29]
	v_and_b32_e32 v14, 0xff, v54
	v_cmp_ne_u16_e32 vcc, 0, v14
	v_mov_b32_e32 v4, 0
	v_mov_b32_e32 v5, 0
	s_and_saveexec_b64 s[28:29], vcc
	s_cbranch_execz .LBB6_21695
; %bb.21690:                            ;   in Loop: Header=BB6_20564 Depth=3
	v_cmp_ne_u16_e32 vcc, s96, v14
	v_bfrev_b32_e32 v5, 1
	s_and_saveexec_b64 s[34:35], vcc
	s_cbranch_execz .LBB6_21694
; %bb.21691:                            ;   in Loop: Header=BB6_20564 Depth=3
	v_and_b32_e32 v15, 0x7f, v54
	v_cmp_ne_u32_e32 vcc, s86, v15
	v_mov_b32_e32 v5, 0x7f800001
	s_and_saveexec_b64 s[36:37], vcc
	s_cbranch_execz .LBB6_21693
; %bb.21692:                            ;   in Loop: Header=BB6_20564 Depth=3
	v_and_b32_e32 v5, 7, v14
	v_lshrrev_b32_e32 v16, 3, v15
	v_cmp_gt_u32_e32 vcc, 8, v15
	v_ffbh_u32_e32 v15, v5
	v_min_u32_e32 v20, 32, v15
	v_subrev_u32_e32 v15, 28, v20
	v_lshlrev_b64 v[14:15], v15, v[14:15]
	v_sub_u32_e32 v15, 29, v20
	v_and_b32_e32 v14, 7, v14
	v_cndmask_b32_e32 v15, v16, v15, vcc
	v_cndmask_b32_e32 v5, v5, v14, vcc
	v_lshlrev_b32_e32 v14, 24, v54
	v_bfrev_b32_e32 v16, 60
	v_lshlrev_b32_e32 v5, 20, v5
	v_and_b32_e32 v14, 0x80000000, v14
	v_lshl_add_u32 v15, v15, 23, v16
	v_or3_b32 v5, v14, v15, v5
.LBB6_21693:                            ;   in Loop: Header=BB6_20564 Depth=3
	s_or_b64 exec, exec, s[36:37]
.LBB6_21694:                            ;   in Loop: Header=BB6_20564 Depth=3
	s_or_b64 exec, exec, s[34:35]
.LBB6_21695:                            ;   in Loop: Header=BB6_20564 Depth=3
	s_or_b64 exec, exec, s[28:29]
	v_and_b32_e32 v14, 0xff, v3
	v_cmp_ne_u16_e32 vcc, 0, v14
	s_and_saveexec_b64 s[28:29], vcc
	s_cbranch_execz .LBB6_21701
; %bb.21696:                            ;   in Loop: Header=BB6_20564 Depth=3
	v_cmp_ne_u16_e32 vcc, s96, v14
	v_bfrev_b32_e32 v4, 1
	s_and_saveexec_b64 s[34:35], vcc
	s_cbranch_execz .LBB6_21700
; %bb.21697:                            ;   in Loop: Header=BB6_20564 Depth=3
	v_and_b32_e32 v15, 0x7f, v3
	v_cmp_ne_u32_e32 vcc, s86, v15
	v_mov_b32_e32 v4, 0x7f800001
	s_and_saveexec_b64 s[36:37], vcc
	s_cbranch_execz .LBB6_21699
; %bb.21698:                            ;   in Loop: Header=BB6_20564 Depth=3
	v_and_b32_e32 v4, 7, v14
	v_lshrrev_b32_e32 v16, 3, v15
	v_cmp_gt_u32_e32 vcc, 8, v15
	v_ffbh_u32_e32 v15, v4
	v_min_u32_e32 v20, 32, v15
	v_subrev_u32_e32 v15, 28, v20
	v_lshlrev_b64 v[14:15], v15, v[14:15]
	v_sub_u32_e32 v15, 29, v20
	v_and_b32_e32 v14, 7, v14
	v_cndmask_b32_e32 v15, v16, v15, vcc
	v_cndmask_b32_e32 v4, v4, v14, vcc
	v_lshlrev_b32_e32 v3, 24, v3
	v_bfrev_b32_e32 v14, 60
	v_lshlrev_b32_e32 v4, 20, v4
	v_and_b32_e32 v3, 0x80000000, v3
	v_lshl_add_u32 v14, v15, 23, v14
	v_or3_b32 v4, v3, v14, v4
.LBB6_21699:                            ;   in Loop: Header=BB6_20564 Depth=3
	s_or_b64 exec, exec, s[36:37]
.LBB6_21700:                            ;   in Loop: Header=BB6_20564 Depth=3
	s_or_b64 exec, exec, s[34:35]
.LBB6_21701:                            ;   in Loop: Header=BB6_20564 Depth=3
	s_or_b64 exec, exec, s[28:29]
	v_add_f32_e32 v4, v5, v4
	v_and_b32_e32 v14, 0x7f800000, v4
	v_mov_b32_e32 v15, v51
	v_cmp_ne_u64_e32 vcc, s[76:77], v[14:15]
                                        ; implicit-def: $vgpr54
	s_and_saveexec_b64 s[28:29], vcc
	s_xor_b64 s[34:35], exec, s[28:29]
	s_cbranch_execz .LBB6_21719
; %bb.21702:                            ;   in Loop: Header=BB6_20564 Depth=3
	v_and_b32_e32 v14, 0x7fffffff, v4
	v_mov_b32_e32 v15, v51
	v_cmp_gt_u64_e32 vcc, s[78:79], v[14:15]
	v_and_b32_sdwa v3, v4, s96 dst_sel:DWORD dst_unused:UNUSED_PAD src0_sel:BYTE_3 src1_sel:DWORD
                                        ; implicit-def: $vgpr54
	s_and_saveexec_b64 s[28:29], vcc
	s_xor_b64 s[36:37], exec, s[28:29]
	s_cbranch_execz .LBB6_21716
; %bb.21703:                            ;   in Loop: Header=BB6_20564 Depth=3
	v_cmp_ne_u32_e32 vcc, 0, v4
	v_mov_b32_e32 v54, 0
	s_and_saveexec_b64 s[38:39], vcc
	s_cbranch_execz .LBB6_21715
; %bb.21704:                            ;   in Loop: Header=BB6_20564 Depth=3
	v_and_b32_e32 v14, 0x7fffff, v4
	v_bfe_u32 v4, v4, 23, 8
	v_cmp_gt_u32_e64 s[28:29], s97, v4
	v_sub_u32_e32 v5, 0x79, v4
	v_cmp_eq_u32_e32 vcc, 0, v4
	v_cndmask_b32_e64 v5, 0, v5, s[28:29]
	v_mov_b32_e32 v16, 0x78
	v_cndmask_b32_e32 v5, v5, v16, vcc
	v_add_u32_e32 v16, 20, v5
	v_or_b32_e32 v15, 0x800000, v14
	v_lshlrev_b64 v[20:21], v16, -1
	v_cndmask_b32_e32 v14, v15, v14, vcc
	v_mov_b32_e32 v15, v51
	v_add_u32_e32 v16, 19, v5
	v_bfi_b32 v20, v20, 0, v14
	v_lshlrev_b64 v[22:23], v16, 1
	v_lshrrev_b64 v[14:15], v5, v[14:15]
	v_bfi_b32 v21, v21, 0, 0
	v_cmp_eq_u64_e64 s[28:29], v[20:21], v[22:23]
	v_mov_b32_e32 v16, v15
	v_mov_b32_e32 v15, v14
	s_and_saveexec_b64 s[48:49], s[28:29]
; %bb.21705:                            ;   in Loop: Header=BB6_20564 Depth=3
	v_bfe_u32 v15, v14, 20, 1
	v_add_co_u32_e64 v15, s[28:29], v14, v15
	v_add_co_u32_e64 v15, s[28:29], -1, v15
; %bb.21706:                            ;   in Loop: Header=BB6_20564 Depth=3
	s_or_b64 exec, exec, s[48:49]
	v_add_u32_e32 v4, 0xffffff81, v4
	v_mov_b32_e32 v16, 0xffffff82
	v_cndmask_b32_e32 v4, v4, v16, vcc
	v_lshrrev_b32_e32 v16, 23, v14
	v_add3_u32 v16, v5, v4, v16
	v_add_u32_e32 v5, 6, v16
	v_and_b32_e32 v4, 0xfffff, v15
	v_add_u32_e32 v14, v4, v14
	v_mov_b32_e32 v15, v51
	v_cmp_ne_u32_e32 vcc, 0, v5
                                        ; implicit-def: $vgpr4
	s_and_saveexec_b64 s[28:29], vcc
	s_xor_b64 s[28:29], exec, s[28:29]
; %bb.21707:                            ;   in Loop: Header=BB6_20564 Depth=3
	v_cmp_lt_u64_e32 vcc, s[88:89], v[14:15]
	v_add_u32_e32 v4, 7, v16
	v_cndmask_b32_e32 v4, v5, v4, vcc
	v_cndmask_b32_e64 v5, 0, 1, vcc
	v_lshrrev_b64 v[14:15], v5, v[14:15]
; %bb.21708:                            ;   in Loop: Header=BB6_20564 Depth=3
	s_andn2_saveexec_b64 s[28:29], s[28:29]
; %bb.21709:                            ;   in Loop: Header=BB6_20564 Depth=3
	v_bfe_u32 v4, v14, 23, 1
; %bb.21710:                            ;   in Loop: Header=BB6_20564 Depth=3
	s_or_b64 exec, exec, s[28:29]
	v_lshrrev_b64 v[14:15], 20, v[14:15]
	v_cmp_gt_i32_e32 vcc, 16, v4
	v_cndmask_b32_e32 v15, 0, v15, vcc
	v_cndmask_b32_e32 v14, 7, v14, vcc
	v_cmp_ne_u64_e32 vcc, 0, v[14:15]
	v_cmp_ne_u32_e64 s[28:29], 0, v4
	s_or_b64 s[28:29], s[28:29], vcc
                                        ; implicit-def: $vgpr54
	s_and_saveexec_b64 vcc, s[28:29]
	s_xor_b64 s[28:29], exec, vcc
; %bb.21711:                            ;   in Loop: Header=BB6_20564 Depth=3
	v_min_i32_e32 v4, 15, v4
	v_lshl_or_b32 v3, v4, 3, v3
	v_and_or_b32 v54, v14, 7, v3
                                        ; implicit-def: $vgpr3
; %bb.21712:                            ;   in Loop: Header=BB6_20564 Depth=3
	s_andn2_saveexec_b64 s[28:29], s[28:29]
; %bb.21713:                            ;   in Loop: Header=BB6_20564 Depth=3
	v_mov_b32_e32 v54, v3
; %bb.21714:                            ;   in Loop: Header=BB6_20564 Depth=3
	s_or_b64 exec, exec, s[28:29]
.LBB6_21715:                            ;   in Loop: Header=BB6_20564 Depth=3
	s_or_b64 exec, exec, s[38:39]
                                        ; implicit-def: $vgpr3
.LBB6_21716:                            ;   in Loop: Header=BB6_20564 Depth=3
	s_andn2_saveexec_b64 s[28:29], s[36:37]
; %bb.21717:                            ;   in Loop: Header=BB6_20564 Depth=3
	v_or_b32_e32 v54, 0x7e, v3
; %bb.21718:                            ;   in Loop: Header=BB6_20564 Depth=3
	s_or_b64 exec, exec, s[28:29]
                                        ; implicit-def: $vgpr4
.LBB6_21719:                            ;   in Loop: Header=BB6_20564 Depth=3
	s_andn2_saveexec_b64 s[28:29], s[34:35]
; %bb.21720:                            ;   in Loop: Header=BB6_20564 Depth=3
	v_or_b32_sdwa v54, v4, s86 dst_sel:DWORD dst_unused:UNUSED_PAD src0_sel:BYTE_3 src1_sel:DWORD
; %bb.21721:                            ;   in Loop: Header=BB6_20564 Depth=3
	s_or_b64 exec, exec, s[28:29]
	v_and_b32_e32 v14, 0xff, v53
	v_cmp_ne_u16_e32 vcc, 0, v14
	v_mov_b32_e32 v3, 0
	v_mov_b32_e32 v4, 0
	s_and_saveexec_b64 s[28:29], vcc
	s_cbranch_execz .LBB6_21727
; %bb.21722:                            ;   in Loop: Header=BB6_20564 Depth=3
	v_cmp_ne_u16_e32 vcc, s96, v14
	v_bfrev_b32_e32 v4, 1
	s_and_saveexec_b64 s[34:35], vcc
	s_cbranch_execz .LBB6_21726
; %bb.21723:                            ;   in Loop: Header=BB6_20564 Depth=3
	v_and_b32_e32 v5, 0x7f, v53
	v_cmp_ne_u32_e32 vcc, s86, v5
	v_mov_b32_e32 v4, 0x7f800001
	s_and_saveexec_b64 s[36:37], vcc
	s_cbranch_execz .LBB6_21725
; %bb.21724:                            ;   in Loop: Header=BB6_20564 Depth=3
	v_and_b32_e32 v15, 7, v14
	v_ffbh_u32_e32 v4, v15
	v_min_u32_e32 v20, 32, v4
	v_subrev_u32_e32 v4, 28, v20
	v_lshrrev_b32_e32 v16, 3, v5
	v_cmp_gt_u32_e32 vcc, 8, v5
	v_lshlrev_b64 v[4:5], v4, v[14:15]
	v_sub_u32_e32 v5, 29, v20
	v_and_b32_e32 v4, 7, v4
	v_cndmask_b32_e32 v5, v16, v5, vcc
	v_cndmask_b32_e32 v4, v15, v4, vcc
	v_lshlrev_b32_e32 v14, 24, v53
	v_bfrev_b32_e32 v15, 60
	v_lshlrev_b32_e32 v4, 20, v4
	v_and_b32_e32 v14, 0x80000000, v14
	v_lshl_add_u32 v5, v5, 23, v15
	v_or3_b32 v4, v14, v5, v4
.LBB6_21725:                            ;   in Loop: Header=BB6_20564 Depth=3
	s_or_b64 exec, exec, s[36:37]
.LBB6_21726:                            ;   in Loop: Header=BB6_20564 Depth=3
	s_or_b64 exec, exec, s[34:35]
.LBB6_21727:                            ;   in Loop: Header=BB6_20564 Depth=3
	s_or_b64 exec, exec, s[28:29]
	v_and_b32_e32 v14, 0xff, v1
	v_cmp_ne_u16_e32 vcc, 0, v14
	s_and_saveexec_b64 s[28:29], vcc
	s_cbranch_execz .LBB6_21733
; %bb.21728:                            ;   in Loop: Header=BB6_20564 Depth=3
	v_cmp_ne_u16_e32 vcc, s96, v14
	v_bfrev_b32_e32 v3, 1
	s_and_saveexec_b64 s[34:35], vcc
	s_cbranch_execz .LBB6_21732
; %bb.21729:                            ;   in Loop: Header=BB6_20564 Depth=3
	v_and_b32_e32 v5, 0x7f, v1
	v_cmp_ne_u32_e32 vcc, s86, v5
	v_mov_b32_e32 v3, 0x7f800001
	s_and_saveexec_b64 s[36:37], vcc
	s_cbranch_execz .LBB6_21731
; %bb.21730:                            ;   in Loop: Header=BB6_20564 Depth=3
	v_and_b32_e32 v3, 7, v14
	v_lshrrev_b32_e32 v16, 3, v5
	v_cmp_gt_u32_e32 vcc, 8, v5
	v_ffbh_u32_e32 v5, v3
	v_min_u32_e32 v5, 32, v5
	v_subrev_u32_e32 v15, 28, v5
	v_lshlrev_b64 v[14:15], v15, v[14:15]
	v_sub_u32_e32 v5, 29, v5
	v_and_b32_e32 v14, 7, v14
	v_cndmask_b32_e32 v5, v16, v5, vcc
	v_cndmask_b32_e32 v3, v3, v14, vcc
	v_lshlrev_b32_e32 v1, 24, v1
	v_bfrev_b32_e32 v14, 60
	v_lshlrev_b32_e32 v3, 20, v3
	v_and_b32_e32 v1, 0x80000000, v1
	v_lshl_add_u32 v5, v5, 23, v14
	v_or3_b32 v3, v1, v5, v3
.LBB6_21731:                            ;   in Loop: Header=BB6_20564 Depth=3
	s_or_b64 exec, exec, s[36:37]
.LBB6_21732:                            ;   in Loop: Header=BB6_20564 Depth=3
	s_or_b64 exec, exec, s[34:35]
.LBB6_21733:                            ;   in Loop: Header=BB6_20564 Depth=3
	s_or_b64 exec, exec, s[28:29]
	v_add_f32_e32 v3, v4, v3
	v_and_b32_e32 v4, 0x7f800000, v3
	v_mov_b32_e32 v5, v51
	v_cmp_ne_u64_e32 vcc, s[76:77], v[4:5]
                                        ; implicit-def: $vgpr53
	s_and_saveexec_b64 s[28:29], vcc
	s_xor_b64 s[34:35], exec, s[28:29]
	s_cbranch_execz .LBB6_21751
; %bb.21734:                            ;   in Loop: Header=BB6_20564 Depth=3
	v_and_b32_e32 v4, 0x7fffffff, v3
	v_mov_b32_e32 v5, v51
	v_cmp_gt_u64_e32 vcc, s[78:79], v[4:5]
	v_and_b32_sdwa v1, v3, s96 dst_sel:DWORD dst_unused:UNUSED_PAD src0_sel:BYTE_3 src1_sel:DWORD
                                        ; implicit-def: $vgpr53
	s_and_saveexec_b64 s[28:29], vcc
	s_xor_b64 s[36:37], exec, s[28:29]
	s_cbranch_execz .LBB6_21748
; %bb.21735:                            ;   in Loop: Header=BB6_20564 Depth=3
	v_cmp_ne_u32_e32 vcc, 0, v3
	v_mov_b32_e32 v53, 0
	s_and_saveexec_b64 s[38:39], vcc
	s_cbranch_execz .LBB6_21747
; %bb.21736:                            ;   in Loop: Header=BB6_20564 Depth=3
	v_and_b32_e32 v5, 0x7fffff, v3
	v_bfe_u32 v3, v3, 23, 8
	v_cmp_gt_u32_e64 s[28:29], s97, v3
	v_sub_u32_e32 v4, 0x79, v3
	v_cmp_eq_u32_e32 vcc, 0, v3
	v_cndmask_b32_e64 v4, 0, v4, s[28:29]
	v_mov_b32_e32 v15, 0x78
	v_or_b32_e32 v14, 0x800000, v5
	v_cndmask_b32_e32 v4, v4, v15, vcc
	v_cndmask_b32_e32 v14, v14, v5, vcc
	v_add_u32_e32 v5, 20, v4
	v_lshlrev_b64 v[20:21], v5, -1
	v_mov_b32_e32 v15, v51
	v_add_u32_e32 v5, 19, v4
	v_bfi_b32 v20, v20, 0, v14
	v_lshlrev_b64 v[22:23], v5, 1
	v_lshrrev_b64 v[14:15], v4, v[14:15]
	v_bfi_b32 v21, v21, 0, 0
	v_cmp_eq_u64_e64 s[28:29], v[20:21], v[22:23]
	v_mov_b32_e32 v16, v15
	v_mov_b32_e32 v15, v14
	s_and_saveexec_b64 s[48:49], s[28:29]
; %bb.21737:                            ;   in Loop: Header=BB6_20564 Depth=3
	v_bfe_u32 v5, v14, 20, 1
	v_add_co_u32_e64 v5, s[28:29], v14, v5
	v_add_co_u32_e64 v15, s[28:29], -1, v5
; %bb.21738:                            ;   in Loop: Header=BB6_20564 Depth=3
	s_or_b64 exec, exec, s[48:49]
	v_add_u32_e32 v3, 0xffffff81, v3
	v_mov_b32_e32 v5, 0xffffff82
	v_cndmask_b32_e32 v3, v3, v5, vcc
	v_lshrrev_b32_e32 v5, 23, v14
	v_add3_u32 v5, v4, v3, v5
	v_add_u32_e32 v4, 6, v5
	v_and_b32_e32 v3, 0xfffff, v15
	v_add_u32_e32 v14, v3, v14
	v_mov_b32_e32 v15, v51
	v_cmp_ne_u32_e32 vcc, 0, v4
                                        ; implicit-def: $vgpr3
	s_and_saveexec_b64 s[28:29], vcc
	s_xor_b64 s[28:29], exec, s[28:29]
; %bb.21739:                            ;   in Loop: Header=BB6_20564 Depth=3
	v_cmp_lt_u64_e32 vcc, s[88:89], v[14:15]
	v_add_u32_e32 v3, 7, v5
	v_cndmask_b32_e32 v3, v4, v3, vcc
	v_cndmask_b32_e64 v4, 0, 1, vcc
	v_lshrrev_b64 v[14:15], v4, v[14:15]
; %bb.21740:                            ;   in Loop: Header=BB6_20564 Depth=3
	s_andn2_saveexec_b64 s[28:29], s[28:29]
; %bb.21741:                            ;   in Loop: Header=BB6_20564 Depth=3
	v_bfe_u32 v3, v14, 23, 1
; %bb.21742:                            ;   in Loop: Header=BB6_20564 Depth=3
	s_or_b64 exec, exec, s[28:29]
	v_lshrrev_b64 v[4:5], 20, v[14:15]
	v_cmp_gt_i32_e32 vcc, 16, v3
	v_cndmask_b32_e32 v15, 0, v5, vcc
	v_cndmask_b32_e32 v14, 7, v4, vcc
	v_cmp_ne_u64_e32 vcc, 0, v[14:15]
	v_cmp_ne_u32_e64 s[28:29], 0, v3
	s_or_b64 s[28:29], s[28:29], vcc
                                        ; implicit-def: $vgpr53
	s_and_saveexec_b64 vcc, s[28:29]
	s_xor_b64 s[28:29], exec, vcc
; %bb.21743:                            ;   in Loop: Header=BB6_20564 Depth=3
	v_min_i32_e32 v3, 15, v3
	v_lshl_or_b32 v1, v3, 3, v1
	v_and_or_b32 v53, v14, 7, v1
                                        ; implicit-def: $vgpr1
; %bb.21744:                            ;   in Loop: Header=BB6_20564 Depth=3
	s_andn2_saveexec_b64 s[28:29], s[28:29]
; %bb.21745:                            ;   in Loop: Header=BB6_20564 Depth=3
	v_mov_b32_e32 v53, v1
; %bb.21746:                            ;   in Loop: Header=BB6_20564 Depth=3
	s_or_b64 exec, exec, s[28:29]
.LBB6_21747:                            ;   in Loop: Header=BB6_20564 Depth=3
	s_or_b64 exec, exec, s[38:39]
                                        ; implicit-def: $vgpr1
.LBB6_21748:                            ;   in Loop: Header=BB6_20564 Depth=3
	s_andn2_saveexec_b64 s[28:29], s[36:37]
; %bb.21749:                            ;   in Loop: Header=BB6_20564 Depth=3
	v_or_b32_e32 v53, 0x7e, v1
; %bb.21750:                            ;   in Loop: Header=BB6_20564 Depth=3
	s_or_b64 exec, exec, s[28:29]
                                        ; implicit-def: $vgpr3
.LBB6_21751:                            ;   in Loop: Header=BB6_20564 Depth=3
	s_andn2_saveexec_b64 s[28:29], s[34:35]
; %bb.21752:                            ;   in Loop: Header=BB6_20564 Depth=3
	v_or_b32_sdwa v53, v3, s86 dst_sel:DWORD dst_unused:UNUSED_PAD src0_sel:BYTE_3 src1_sel:DWORD
; %bb.21753:                            ;   in Loop: Header=BB6_20564 Depth=3
	s_or_b64 exec, exec, s[28:29]
	v_and_b32_e32 v14, 0xff, v52
	v_cmp_ne_u16_e32 vcc, 0, v14
	v_mov_b32_e32 v1, 0
	v_mov_b32_e32 v3, 0
	s_and_saveexec_b64 s[28:29], vcc
	s_cbranch_execz .LBB6_21759
; %bb.21754:                            ;   in Loop: Header=BB6_20564 Depth=3
	v_cmp_ne_u16_e32 vcc, s96, v14
	v_bfrev_b32_e32 v3, 1
	s_and_saveexec_b64 s[34:35], vcc
	s_cbranch_execz .LBB6_21758
; %bb.21755:                            ;   in Loop: Header=BB6_20564 Depth=3
	v_and_b32_e32 v4, 0x7f, v52
	v_cmp_ne_u32_e32 vcc, s86, v4
	v_mov_b32_e32 v3, 0x7f800001
	s_and_saveexec_b64 s[36:37], vcc
	s_cbranch_execz .LBB6_21757
; %bb.21756:                            ;   in Loop: Header=BB6_20564 Depth=3
	v_and_b32_e32 v5, 7, v14
	v_ffbh_u32_e32 v3, v5
	v_min_u32_e32 v16, 32, v3
	v_lshrrev_b32_e32 v15, 3, v4
	v_subrev_u32_e32 v3, 28, v16
	v_cmp_gt_u32_e32 vcc, 8, v4
	v_lshlrev_b64 v[3:4], v3, v[14:15]
	v_sub_u32_e32 v4, 29, v16
	v_and_b32_e32 v3, 7, v3
	v_cndmask_b32_e32 v4, v15, v4, vcc
	v_cndmask_b32_e32 v3, v5, v3, vcc
	v_lshlrev_b32_e32 v5, 24, v52
	v_bfrev_b32_e32 v14, 60
	v_lshlrev_b32_e32 v3, 20, v3
	v_and_b32_e32 v5, 0x80000000, v5
	v_lshl_add_u32 v4, v4, 23, v14
	v_or3_b32 v3, v5, v4, v3
.LBB6_21757:                            ;   in Loop: Header=BB6_20564 Depth=3
	s_or_b64 exec, exec, s[36:37]
.LBB6_21758:                            ;   in Loop: Header=BB6_20564 Depth=3
	s_or_b64 exec, exec, s[34:35]
.LBB6_21759:                            ;   in Loop: Header=BB6_20564 Depth=3
	s_or_b64 exec, exec, s[28:29]
	v_and_b32_e32 v14, 0xff, v24
	v_cmp_ne_u16_e32 vcc, 0, v14
	s_and_saveexec_b64 s[28:29], vcc
	s_cbranch_execz .LBB6_21765
; %bb.21760:                            ;   in Loop: Header=BB6_20564 Depth=3
	v_cmp_ne_u16_e32 vcc, s96, v14
	v_bfrev_b32_e32 v1, 1
	s_and_saveexec_b64 s[34:35], vcc
	s_cbranch_execz .LBB6_21764
; %bb.21761:                            ;   in Loop: Header=BB6_20564 Depth=3
	v_and_b32_e32 v4, 0x7f, v24
	v_cmp_ne_u32_e32 vcc, s86, v4
	v_mov_b32_e32 v1, 0x7f800001
	s_and_saveexec_b64 s[36:37], vcc
	s_cbranch_execz .LBB6_21763
; %bb.21762:                            ;   in Loop: Header=BB6_20564 Depth=3
	v_and_b32_e32 v1, 7, v14
	v_lshrrev_b32_e32 v15, 3, v4
	v_cmp_gt_u32_e32 vcc, 8, v4
	v_ffbh_u32_e32 v4, v1
	v_min_u32_e32 v16, 32, v4
	v_subrev_u32_e32 v4, 28, v16
	v_lshlrev_b64 v[4:5], v4, v[14:15]
	v_sub_u32_e32 v5, 29, v16
	v_and_b32_e32 v4, 7, v4
	v_cndmask_b32_e32 v5, v15, v5, vcc
	v_cndmask_b32_e32 v1, v1, v4, vcc
	v_lshlrev_b32_e32 v4, 24, v24
	v_bfrev_b32_e32 v14, 60
	v_lshlrev_b32_e32 v1, 20, v1
	v_and_b32_e32 v4, 0x80000000, v4
	v_lshl_add_u32 v5, v5, 23, v14
	v_or3_b32 v1, v4, v5, v1
.LBB6_21763:                            ;   in Loop: Header=BB6_20564 Depth=3
	s_or_b64 exec, exec, s[36:37]
.LBB6_21764:                            ;   in Loop: Header=BB6_20564 Depth=3
	s_or_b64 exec, exec, s[34:35]
.LBB6_21765:                            ;   in Loop: Header=BB6_20564 Depth=3
	s_or_b64 exec, exec, s[28:29]
	v_add_f32_e32 v3, v3, v1
	v_and_b32_e32 v4, 0x7f800000, v3
	v_mov_b32_e32 v5, v51
	v_cmp_ne_u64_e32 vcc, s[76:77], v[4:5]
                                        ; implicit-def: $vgpr52
	s_and_saveexec_b64 s[28:29], vcc
	s_xor_b64 s[34:35], exec, s[28:29]
	s_cbranch_execz .LBB6_21783
; %bb.21766:                            ;   in Loop: Header=BB6_20564 Depth=3
	v_and_b32_e32 v4, 0x7fffffff, v3
	v_mov_b32_e32 v5, v51
	v_cmp_gt_u64_e32 vcc, s[78:79], v[4:5]
	v_and_b32_sdwa v1, v3, s96 dst_sel:DWORD dst_unused:UNUSED_PAD src0_sel:BYTE_3 src1_sel:DWORD
                                        ; implicit-def: $vgpr52
	s_and_saveexec_b64 s[28:29], vcc
	s_xor_b64 s[36:37], exec, s[28:29]
	s_cbranch_execz .LBB6_21780
; %bb.21767:                            ;   in Loop: Header=BB6_20564 Depth=3
	v_cmp_ne_u32_e32 vcc, 0, v3
	v_mov_b32_e32 v52, 0
	s_and_saveexec_b64 s[38:39], vcc
	s_cbranch_execz .LBB6_21779
; %bb.21768:                            ;   in Loop: Header=BB6_20564 Depth=3
	v_and_b32_e32 v5, 0x7fffff, v3
	v_bfe_u32 v3, v3, 23, 8
	v_cmp_gt_u32_e64 s[28:29], s97, v3
	v_sub_u32_e32 v4, 0x79, v3
	v_cmp_eq_u32_e32 vcc, 0, v3
	v_cndmask_b32_e64 v4, 0, v4, s[28:29]
	v_mov_b32_e32 v15, 0x78
	v_or_b32_e32 v14, 0x800000, v5
	v_cndmask_b32_e32 v4, v4, v15, vcc
	v_cndmask_b32_e32 v14, v14, v5, vcc
	v_add_u32_e32 v5, 20, v4
	v_lshlrev_b64 v[20:21], v5, -1
	v_mov_b32_e32 v15, v51
	v_add_u32_e32 v5, 19, v4
	v_bfi_b32 v20, v20, 0, v14
	v_lshlrev_b64 v[22:23], v5, 1
	v_lshrrev_b64 v[14:15], v4, v[14:15]
	v_bfi_b32 v21, v21, 0, 0
	v_cmp_eq_u64_e64 s[28:29], v[20:21], v[22:23]
	v_mov_b32_e32 v16, v15
	v_mov_b32_e32 v15, v14
	s_and_saveexec_b64 s[48:49], s[28:29]
; %bb.21769:                            ;   in Loop: Header=BB6_20564 Depth=3
	v_bfe_u32 v5, v14, 20, 1
	v_add_co_u32_e64 v5, s[28:29], v14, v5
	v_add_co_u32_e64 v15, s[28:29], -1, v5
; %bb.21770:                            ;   in Loop: Header=BB6_20564 Depth=3
	s_or_b64 exec, exec, s[48:49]
	v_add_u32_e32 v3, 0xffffff81, v3
	v_mov_b32_e32 v5, 0xffffff82
	v_cndmask_b32_e32 v3, v3, v5, vcc
	v_lshrrev_b32_e32 v5, 23, v14
	v_add3_u32 v5, v4, v3, v5
	v_add_u32_e32 v4, 6, v5
	v_and_b32_e32 v3, 0xfffff, v15
	v_add_u32_e32 v14, v3, v14
	v_mov_b32_e32 v15, v51
	v_cmp_ne_u32_e32 vcc, 0, v4
                                        ; implicit-def: $vgpr3
	s_and_saveexec_b64 s[28:29], vcc
	s_xor_b64 s[28:29], exec, s[28:29]
; %bb.21771:                            ;   in Loop: Header=BB6_20564 Depth=3
	v_cmp_lt_u64_e32 vcc, s[88:89], v[14:15]
	v_add_u32_e32 v3, 7, v5
	v_cndmask_b32_e32 v3, v4, v3, vcc
	v_cndmask_b32_e64 v4, 0, 1, vcc
	v_lshrrev_b64 v[14:15], v4, v[14:15]
; %bb.21772:                            ;   in Loop: Header=BB6_20564 Depth=3
	s_andn2_saveexec_b64 s[28:29], s[28:29]
; %bb.21773:                            ;   in Loop: Header=BB6_20564 Depth=3
	v_bfe_u32 v3, v14, 23, 1
; %bb.21774:                            ;   in Loop: Header=BB6_20564 Depth=3
	s_or_b64 exec, exec, s[28:29]
	v_lshrrev_b64 v[4:5], 20, v[14:15]
	v_cmp_gt_i32_e32 vcc, 16, v3
	v_cndmask_b32_e32 v15, 0, v5, vcc
	v_cndmask_b32_e32 v14, 7, v4, vcc
	v_cmp_ne_u64_e32 vcc, 0, v[14:15]
	v_cmp_ne_u32_e64 s[28:29], 0, v3
	s_or_b64 s[28:29], s[28:29], vcc
                                        ; implicit-def: $vgpr52
	s_and_saveexec_b64 vcc, s[28:29]
	s_xor_b64 s[28:29], exec, vcc
; %bb.21775:                            ;   in Loop: Header=BB6_20564 Depth=3
	v_min_i32_e32 v3, 15, v3
	v_lshl_or_b32 v1, v3, 3, v1
	v_and_or_b32 v52, v14, 7, v1
                                        ; implicit-def: $vgpr1
; %bb.21776:                            ;   in Loop: Header=BB6_20564 Depth=3
	s_andn2_saveexec_b64 s[28:29], s[28:29]
; %bb.21777:                            ;   in Loop: Header=BB6_20564 Depth=3
	v_mov_b32_e32 v52, v1
; %bb.21778:                            ;   in Loop: Header=BB6_20564 Depth=3
	s_or_b64 exec, exec, s[28:29]
.LBB6_21779:                            ;   in Loop: Header=BB6_20564 Depth=3
	s_or_b64 exec, exec, s[38:39]
                                        ; implicit-def: $vgpr1
.LBB6_21780:                            ;   in Loop: Header=BB6_20564 Depth=3
	s_andn2_saveexec_b64 s[28:29], s[36:37]
; %bb.21781:                            ;   in Loop: Header=BB6_20564 Depth=3
	v_or_b32_e32 v52, 0x7e, v1
; %bb.21782:                            ;   in Loop: Header=BB6_20564 Depth=3
	s_or_b64 exec, exec, s[28:29]
                                        ; implicit-def: $vgpr3
.LBB6_21783:                            ;   in Loop: Header=BB6_20564 Depth=3
	s_andn2_saveexec_b64 s[28:29], s[34:35]
; %bb.21784:                            ;   in Loop: Header=BB6_20564 Depth=3
	v_or_b32_sdwa v52, v3, s86 dst_sel:DWORD dst_unused:UNUSED_PAD src0_sel:BYTE_3 src1_sel:DWORD
; %bb.21785:                            ;   in Loop: Header=BB6_20564 Depth=3
	s_or_b64 exec, exec, s[28:29]
	v_and_b32_e32 v14, 0xff, v50
	v_cmp_ne_u16_e32 vcc, 0, v14
	v_mov_b32_e32 v1, 0
	v_mov_b32_e32 v3, 0
	s_and_saveexec_b64 s[28:29], vcc
	s_cbranch_execz .LBB6_21791
; %bb.21786:                            ;   in Loop: Header=BB6_20564 Depth=3
	v_cmp_ne_u16_e32 vcc, s96, v14
	v_bfrev_b32_e32 v3, 1
	s_and_saveexec_b64 s[34:35], vcc
	s_cbranch_execz .LBB6_21790
; %bb.21787:                            ;   in Loop: Header=BB6_20564 Depth=3
	v_and_b32_e32 v4, 0x7f, v50
	v_cmp_ne_u32_e32 vcc, s86, v4
	v_mov_b32_e32 v3, 0x7f800001
	s_and_saveexec_b64 s[36:37], vcc
	s_cbranch_execz .LBB6_21789
; %bb.21788:                            ;   in Loop: Header=BB6_20564 Depth=3
	v_and_b32_e32 v5, 7, v14
	v_ffbh_u32_e32 v3, v5
	v_min_u32_e32 v16, 32, v3
	v_lshrrev_b32_e32 v15, 3, v4
	v_subrev_u32_e32 v3, 28, v16
	v_cmp_gt_u32_e32 vcc, 8, v4
	v_lshlrev_b64 v[3:4], v3, v[14:15]
	v_sub_u32_e32 v4, 29, v16
	v_and_b32_e32 v3, 7, v3
	v_cndmask_b32_e32 v4, v15, v4, vcc
	v_cndmask_b32_e32 v3, v5, v3, vcc
	v_lshlrev_b32_e32 v5, 24, v50
	v_bfrev_b32_e32 v14, 60
	v_lshlrev_b32_e32 v3, 20, v3
	v_and_b32_e32 v5, 0x80000000, v5
	v_lshl_add_u32 v4, v4, 23, v14
	v_or3_b32 v3, v5, v4, v3
.LBB6_21789:                            ;   in Loop: Header=BB6_20564 Depth=3
	s_or_b64 exec, exec, s[36:37]
.LBB6_21790:                            ;   in Loop: Header=BB6_20564 Depth=3
	s_or_b64 exec, exec, s[34:35]
.LBB6_21791:                            ;   in Loop: Header=BB6_20564 Depth=3
	s_or_b64 exec, exec, s[28:29]
	v_and_b32_e32 v14, 0xff, v2
	v_cmp_ne_u16_e32 vcc, 0, v14
	s_and_saveexec_b64 s[28:29], vcc
	s_cbranch_execz .LBB6_21797
; %bb.21792:                            ;   in Loop: Header=BB6_20564 Depth=3
	v_cmp_ne_u16_e32 vcc, s96, v14
	v_bfrev_b32_e32 v1, 1
	s_and_saveexec_b64 s[34:35], vcc
	s_cbranch_execz .LBB6_21796
; %bb.21793:                            ;   in Loop: Header=BB6_20564 Depth=3
	v_and_b32_e32 v4, 0x7f, v2
	v_cmp_ne_u32_e32 vcc, s86, v4
	v_mov_b32_e32 v1, 0x7f800001
	s_and_saveexec_b64 s[36:37], vcc
	s_cbranch_execz .LBB6_21795
; %bb.21794:                            ;   in Loop: Header=BB6_20564 Depth=3
	v_and_b32_e32 v1, 7, v14
	v_lshrrev_b32_e32 v15, 3, v4
	v_cmp_gt_u32_e32 vcc, 8, v4
	v_ffbh_u32_e32 v4, v1
	v_min_u32_e32 v16, 32, v4
	v_subrev_u32_e32 v4, 28, v16
	v_lshlrev_b64 v[4:5], v4, v[14:15]
	v_sub_u32_e32 v5, 29, v16
	v_and_b32_e32 v4, 7, v4
	v_cndmask_b32_e32 v5, v15, v5, vcc
	v_cndmask_b32_e32 v1, v1, v4, vcc
	v_lshlrev_b32_e32 v2, 24, v2
	v_bfrev_b32_e32 v4, 60
	v_lshlrev_b32_e32 v1, 20, v1
	v_and_b32_e32 v2, 0x80000000, v2
	v_lshl_add_u32 v4, v5, 23, v4
	v_or3_b32 v1, v2, v4, v1
.LBB6_21795:                            ;   in Loop: Header=BB6_20564 Depth=3
	s_or_b64 exec, exec, s[36:37]
.LBB6_21796:                            ;   in Loop: Header=BB6_20564 Depth=3
	s_or_b64 exec, exec, s[34:35]
.LBB6_21797:                            ;   in Loop: Header=BB6_20564 Depth=3
	s_or_b64 exec, exec, s[28:29]
	v_add_f32_e32 v2, v3, v1
	v_and_b32_e32 v3, 0x7f800000, v2
	v_mov_b32_e32 v4, v51
	v_cmp_ne_u64_e32 vcc, s[76:77], v[3:4]
                                        ; implicit-def: $vgpr50
	s_and_saveexec_b64 s[28:29], vcc
	s_xor_b64 s[34:35], exec, s[28:29]
	s_cbranch_execz .LBB6_21815
; %bb.21798:                            ;   in Loop: Header=BB6_20564 Depth=3
	v_and_b32_e32 v3, 0x7fffffff, v2
	v_mov_b32_e32 v4, v51
	v_cmp_gt_u64_e32 vcc, s[78:79], v[3:4]
	v_and_b32_sdwa v1, v2, s96 dst_sel:DWORD dst_unused:UNUSED_PAD src0_sel:BYTE_3 src1_sel:DWORD
                                        ; implicit-def: $vgpr50
	s_and_saveexec_b64 s[28:29], vcc
	s_xor_b64 s[36:37], exec, s[28:29]
	s_cbranch_execz .LBB6_21812
; %bb.21799:                            ;   in Loop: Header=BB6_20564 Depth=3
	v_cmp_ne_u32_e32 vcc, 0, v2
	v_mov_b32_e32 v50, 0
	s_and_saveexec_b64 s[38:39], vcc
	s_cbranch_execz .LBB6_21811
; %bb.21800:                            ;   in Loop: Header=BB6_20564 Depth=3
	v_and_b32_e32 v4, 0x7fffff, v2
	v_bfe_u32 v2, v2, 23, 8
	v_cmp_gt_u32_e64 s[28:29], s97, v2
	v_sub_u32_e32 v3, 0x79, v2
	v_cmp_eq_u32_e32 vcc, 0, v2
	v_cndmask_b32_e64 v3, 0, v3, s[28:29]
	v_mov_b32_e32 v14, 0x78
	v_cndmask_b32_e32 v3, v3, v14, vcc
	v_add_u32_e32 v14, 20, v3
	v_or_b32_e32 v5, 0x800000, v4
	v_lshlrev_b64 v[14:15], v14, -1
	v_add_u32_e32 v16, 19, v3
	v_cndmask_b32_e32 v4, v5, v4, vcc
	v_lshlrev_b64 v[20:21], v16, 1
	v_mov_b32_e32 v5, v51
	v_bfi_b32 v15, v15, 0, 0
	v_bfi_b32 v14, v14, 0, v4
	v_cmp_eq_u64_e64 s[28:29], v[14:15], v[20:21]
	v_lshrrev_b64 v[14:15], v3, v[4:5]
	v_mov_b32_e32 v16, v15
	v_mov_b32_e32 v15, v14
	s_and_saveexec_b64 s[48:49], s[28:29]
; %bb.21801:                            ;   in Loop: Header=BB6_20564 Depth=3
	v_bfe_u32 v4, v14, 20, 1
	v_add_co_u32_e64 v4, s[28:29], v14, v4
	v_add_co_u32_e64 v15, s[28:29], -1, v4
; %bb.21802:                            ;   in Loop: Header=BB6_20564 Depth=3
	s_or_b64 exec, exec, s[48:49]
	v_add_u32_e32 v2, 0xffffff81, v2
	v_mov_b32_e32 v4, 0xffffff82
	v_cndmask_b32_e32 v2, v2, v4, vcc
	v_lshrrev_b32_e32 v4, 23, v14
	v_add3_u32 v4, v3, v2, v4
	v_add_u32_e32 v3, 6, v4
	v_and_b32_e32 v2, 0xfffff, v15
	v_add_u32_e32 v14, v2, v14
	v_mov_b32_e32 v15, v51
	v_cmp_ne_u32_e32 vcc, 0, v3
                                        ; implicit-def: $vgpr2
	s_and_saveexec_b64 s[28:29], vcc
	s_xor_b64 s[28:29], exec, s[28:29]
; %bb.21803:                            ;   in Loop: Header=BB6_20564 Depth=3
	v_cmp_lt_u64_e32 vcc, s[88:89], v[14:15]
	v_add_u32_e32 v2, 7, v4
	v_cndmask_b32_e32 v2, v3, v2, vcc
	v_cndmask_b32_e64 v3, 0, 1, vcc
	v_lshrrev_b64 v[14:15], v3, v[14:15]
; %bb.21804:                            ;   in Loop: Header=BB6_20564 Depth=3
	s_andn2_saveexec_b64 s[28:29], s[28:29]
; %bb.21805:                            ;   in Loop: Header=BB6_20564 Depth=3
	v_bfe_u32 v2, v14, 23, 1
; %bb.21806:                            ;   in Loop: Header=BB6_20564 Depth=3
	s_or_b64 exec, exec, s[28:29]
	v_lshrrev_b64 v[3:4], 20, v[14:15]
	v_cmp_gt_i32_e32 vcc, 16, v2
	v_cndmask_b32_e32 v15, 0, v4, vcc
	v_cndmask_b32_e32 v14, 7, v3, vcc
	v_cmp_ne_u64_e32 vcc, 0, v[14:15]
	v_cmp_ne_u32_e64 s[28:29], 0, v2
	s_or_b64 s[28:29], s[28:29], vcc
                                        ; implicit-def: $vgpr50
	s_and_saveexec_b64 vcc, s[28:29]
	s_xor_b64 s[28:29], exec, vcc
; %bb.21807:                            ;   in Loop: Header=BB6_20564 Depth=3
	v_min_i32_e32 v2, 15, v2
	v_lshl_or_b32 v1, v2, 3, v1
	v_and_or_b32 v50, v14, 7, v1
                                        ; implicit-def: $vgpr1
; %bb.21808:                            ;   in Loop: Header=BB6_20564 Depth=3
	s_andn2_saveexec_b64 s[28:29], s[28:29]
; %bb.21809:                            ;   in Loop: Header=BB6_20564 Depth=3
	v_mov_b32_e32 v50, v1
; %bb.21810:                            ;   in Loop: Header=BB6_20564 Depth=3
	s_or_b64 exec, exec, s[28:29]
.LBB6_21811:                            ;   in Loop: Header=BB6_20564 Depth=3
	s_or_b64 exec, exec, s[38:39]
                                        ; implicit-def: $vgpr1
.LBB6_21812:                            ;   in Loop: Header=BB6_20564 Depth=3
	s_andn2_saveexec_b64 s[28:29], s[36:37]
; %bb.21813:                            ;   in Loop: Header=BB6_20564 Depth=3
	v_or_b32_e32 v50, 0x7e, v1
; %bb.21814:                            ;   in Loop: Header=BB6_20564 Depth=3
	s_or_b64 exec, exec, s[28:29]
                                        ; implicit-def: $vgpr2
.LBB6_21815:                            ;   in Loop: Header=BB6_20564 Depth=3
	s_andn2_saveexec_b64 s[28:29], s[34:35]
; %bb.21816:                            ;   in Loop: Header=BB6_20564 Depth=3
	v_or_b32_sdwa v50, v2, s86 dst_sel:DWORD dst_unused:UNUSED_PAD src0_sel:BYTE_3 src1_sel:DWORD
; %bb.21817:                            ;   in Loop: Header=BB6_20564 Depth=3
	s_or_b64 exec, exec, s[28:29]
	v_and_b32_e32 v14, 0xff, v39
	v_cmp_ne_u16_e32 vcc, 0, v14
	v_mov_b32_e32 v1, 0
	v_mov_b32_e32 v2, 0
	s_and_saveexec_b64 s[28:29], vcc
	s_cbranch_execz .LBB6_21823
; %bb.21818:                            ;   in Loop: Header=BB6_20564 Depth=3
	v_cmp_ne_u16_e32 vcc, s96, v14
	v_bfrev_b32_e32 v2, 1
	s_and_saveexec_b64 s[34:35], vcc
	s_cbranch_execz .LBB6_21822
; %bb.21819:                            ;   in Loop: Header=BB6_20564 Depth=3
	v_and_b32_e32 v3, 0x7f, v39
	v_cmp_ne_u32_e32 vcc, s86, v3
	v_mov_b32_e32 v2, 0x7f800001
	s_and_saveexec_b64 s[36:37], vcc
	s_cbranch_execz .LBB6_21821
; %bb.21820:                            ;   in Loop: Header=BB6_20564 Depth=3
	v_and_b32_e32 v4, 7, v14
	v_ffbh_u32_e32 v2, v4
	v_min_u32_e32 v15, 32, v2
	v_subrev_u32_e32 v2, 28, v15
	v_lshrrev_b32_e32 v5, 3, v3
	v_cmp_gt_u32_e32 vcc, 8, v3
	v_lshlrev_b64 v[2:3], v2, v[14:15]
	v_sub_u32_e32 v3, 29, v15
	v_and_b32_e32 v2, 7, v2
	v_cndmask_b32_e32 v3, v5, v3, vcc
	v_cndmask_b32_e32 v2, v4, v2, vcc
	v_lshlrev_b32_e32 v4, 24, v39
	v_bfrev_b32_e32 v5, 60
	v_lshlrev_b32_e32 v2, 20, v2
	v_and_b32_e32 v4, 0x80000000, v4
	v_lshl_add_u32 v3, v3, 23, v5
	v_or3_b32 v2, v4, v3, v2
.LBB6_21821:                            ;   in Loop: Header=BB6_20564 Depth=3
	s_or_b64 exec, exec, s[36:37]
.LBB6_21822:                            ;   in Loop: Header=BB6_20564 Depth=3
	s_or_b64 exec, exec, s[34:35]
.LBB6_21823:                            ;   in Loop: Header=BB6_20564 Depth=3
	s_or_b64 exec, exec, s[28:29]
	v_and_b32_e32 v14, 0xff, v6
	v_cmp_ne_u16_e32 vcc, 0, v14
	s_and_saveexec_b64 s[28:29], vcc
	s_cbranch_execz .LBB6_21829
; %bb.21824:                            ;   in Loop: Header=BB6_20564 Depth=3
	v_cmp_ne_u16_e32 vcc, s96, v14
	v_bfrev_b32_e32 v1, 1
	s_and_saveexec_b64 s[34:35], vcc
	s_cbranch_execz .LBB6_21828
; %bb.21825:                            ;   in Loop: Header=BB6_20564 Depth=3
	v_and_b32_e32 v3, 0x7f, v6
	v_cmp_ne_u32_e32 vcc, s86, v3
	v_mov_b32_e32 v1, 0x7f800001
	s_and_saveexec_b64 s[36:37], vcc
	s_cbranch_execz .LBB6_21827
; %bb.21826:                            ;   in Loop: Header=BB6_20564 Depth=3
	v_and_b32_e32 v1, 7, v14
	v_lshrrev_b32_e32 v5, 3, v3
	v_cmp_gt_u32_e32 vcc, 8, v3
	v_ffbh_u32_e32 v3, v1
	v_min_u32_e32 v15, 32, v3
	v_subrev_u32_e32 v3, 28, v15
	v_lshlrev_b64 v[3:4], v3, v[14:15]
	v_sub_u32_e32 v4, 29, v15
	v_and_b32_e32 v3, 7, v3
	v_cndmask_b32_e32 v4, v5, v4, vcc
	v_cndmask_b32_e32 v1, v1, v3, vcc
	v_lshlrev_b32_e32 v3, 24, v6
	v_bfrev_b32_e32 v5, 60
	v_lshlrev_b32_e32 v1, 20, v1
	v_and_b32_e32 v3, 0x80000000, v3
	v_lshl_add_u32 v4, v4, 23, v5
	v_or3_b32 v1, v3, v4, v1
.LBB6_21827:                            ;   in Loop: Header=BB6_20564 Depth=3
	s_or_b64 exec, exec, s[36:37]
.LBB6_21828:                            ;   in Loop: Header=BB6_20564 Depth=3
	s_or_b64 exec, exec, s[34:35]
.LBB6_21829:                            ;   in Loop: Header=BB6_20564 Depth=3
	s_or_b64 exec, exec, s[28:29]
	v_add_f32_e32 v2, v2, v1
	v_and_b32_e32 v3, 0x7f800000, v2
	v_mov_b32_e32 v4, v51
	v_cmp_ne_u64_e32 vcc, s[76:77], v[3:4]
                                        ; implicit-def: $vgpr39
	s_and_saveexec_b64 s[28:29], vcc
	s_xor_b64 s[34:35], exec, s[28:29]
	s_cbranch_execz .LBB6_21847
; %bb.21830:                            ;   in Loop: Header=BB6_20564 Depth=3
	v_and_b32_e32 v3, 0x7fffffff, v2
	v_mov_b32_e32 v4, v51
	v_cmp_gt_u64_e32 vcc, s[78:79], v[3:4]
	v_and_b32_sdwa v1, v2, s96 dst_sel:DWORD dst_unused:UNUSED_PAD src0_sel:BYTE_3 src1_sel:DWORD
                                        ; implicit-def: $vgpr39
	s_and_saveexec_b64 s[28:29], vcc
	s_xor_b64 s[36:37], exec, s[28:29]
	s_cbranch_execz .LBB6_21844
; %bb.21831:                            ;   in Loop: Header=BB6_20564 Depth=3
	v_cmp_ne_u32_e32 vcc, 0, v2
	v_mov_b32_e32 v39, 0
	s_and_saveexec_b64 s[38:39], vcc
	s_cbranch_execz .LBB6_21843
; %bb.21832:                            ;   in Loop: Header=BB6_20564 Depth=3
	v_and_b32_e32 v4, 0x7fffff, v2
	v_bfe_u32 v2, v2, 23, 8
	v_cmp_gt_u32_e64 s[28:29], s97, v2
	v_sub_u32_e32 v3, 0x79, v2
	v_cmp_eq_u32_e32 vcc, 0, v2
	v_cndmask_b32_e64 v3, 0, v3, s[28:29]
	v_mov_b32_e32 v6, 0x78
	v_cndmask_b32_e32 v3, v3, v6, vcc
	v_add_u32_e32 v6, 20, v3
	v_or_b32_e32 v5, 0x800000, v4
	v_lshlrev_b64 v[14:15], v6, -1
	v_add_u32_e32 v6, 19, v3
	v_cndmask_b32_e32 v4, v5, v4, vcc
	v_lshlrev_b64 v[20:21], v6, 1
	v_mov_b32_e32 v5, v51
	v_bfi_b32 v15, v15, 0, 0
	v_bfi_b32 v14, v14, 0, v4
	v_cmp_eq_u64_e64 s[28:29], v[14:15], v[20:21]
	v_lshrrev_b64 v[14:15], v3, v[4:5]
	v_mov_b32_e32 v16, v15
	v_mov_b32_e32 v15, v14
	s_and_saveexec_b64 s[48:49], s[28:29]
; %bb.21833:                            ;   in Loop: Header=BB6_20564 Depth=3
	v_bfe_u32 v4, v14, 20, 1
	v_add_co_u32_e64 v4, s[28:29], v14, v4
	v_add_co_u32_e64 v15, s[28:29], -1, v4
; %bb.21834:                            ;   in Loop: Header=BB6_20564 Depth=3
	s_or_b64 exec, exec, s[48:49]
	v_add_u32_e32 v2, 0xffffff81, v2
	v_mov_b32_e32 v4, 0xffffff82
	v_cndmask_b32_e32 v2, v2, v4, vcc
	v_lshrrev_b32_e32 v4, 23, v14
	v_add3_u32 v4, v3, v2, v4
	v_add_u32_e32 v3, 6, v4
	v_and_b32_e32 v2, 0xfffff, v15
	v_add_u32_e32 v14, v2, v14
	v_mov_b32_e32 v15, v51
	v_cmp_ne_u32_e32 vcc, 0, v3
                                        ; implicit-def: $vgpr2
	s_and_saveexec_b64 s[28:29], vcc
	s_xor_b64 s[28:29], exec, s[28:29]
; %bb.21835:                            ;   in Loop: Header=BB6_20564 Depth=3
	v_cmp_lt_u64_e32 vcc, s[88:89], v[14:15]
	v_add_u32_e32 v2, 7, v4
	v_cndmask_b32_e32 v2, v3, v2, vcc
	v_cndmask_b32_e64 v3, 0, 1, vcc
	v_lshrrev_b64 v[14:15], v3, v[14:15]
; %bb.21836:                            ;   in Loop: Header=BB6_20564 Depth=3
	s_andn2_saveexec_b64 s[28:29], s[28:29]
; %bb.21837:                            ;   in Loop: Header=BB6_20564 Depth=3
	v_bfe_u32 v2, v14, 23, 1
; %bb.21838:                            ;   in Loop: Header=BB6_20564 Depth=3
	s_or_b64 exec, exec, s[28:29]
	v_lshrrev_b64 v[3:4], 20, v[14:15]
	v_cmp_gt_i32_e32 vcc, 16, v2
	v_cndmask_b32_e32 v15, 0, v4, vcc
	v_cndmask_b32_e32 v14, 7, v3, vcc
	v_cmp_ne_u64_e32 vcc, 0, v[14:15]
	v_cmp_ne_u32_e64 s[28:29], 0, v2
	s_or_b64 s[28:29], s[28:29], vcc
                                        ; implicit-def: $vgpr39
	s_and_saveexec_b64 vcc, s[28:29]
	s_xor_b64 s[28:29], exec, vcc
; %bb.21839:                            ;   in Loop: Header=BB6_20564 Depth=3
	v_min_i32_e32 v2, 15, v2
	v_lshl_or_b32 v1, v2, 3, v1
	v_and_or_b32 v39, v14, 7, v1
                                        ; implicit-def: $vgpr1
; %bb.21840:                            ;   in Loop: Header=BB6_20564 Depth=3
	s_andn2_saveexec_b64 s[28:29], s[28:29]
; %bb.21841:                            ;   in Loop: Header=BB6_20564 Depth=3
	v_mov_b32_e32 v39, v1
; %bb.21842:                            ;   in Loop: Header=BB6_20564 Depth=3
	s_or_b64 exec, exec, s[28:29]
.LBB6_21843:                            ;   in Loop: Header=BB6_20564 Depth=3
	s_or_b64 exec, exec, s[38:39]
                                        ; implicit-def: $vgpr1
.LBB6_21844:                            ;   in Loop: Header=BB6_20564 Depth=3
	s_andn2_saveexec_b64 s[28:29], s[36:37]
; %bb.21845:                            ;   in Loop: Header=BB6_20564 Depth=3
	v_or_b32_e32 v39, 0x7e, v1
; %bb.21846:                            ;   in Loop: Header=BB6_20564 Depth=3
	s_or_b64 exec, exec, s[28:29]
                                        ; implicit-def: $vgpr2
.LBB6_21847:                            ;   in Loop: Header=BB6_20564 Depth=3
	s_andn2_saveexec_b64 s[28:29], s[34:35]
; %bb.21848:                            ;   in Loop: Header=BB6_20564 Depth=3
	v_or_b32_sdwa v39, v2, s86 dst_sel:DWORD dst_unused:UNUSED_PAD src0_sel:BYTE_3 src1_sel:DWORD
; %bb.21849:                            ;   in Loop: Header=BB6_20564 Depth=3
	s_or_b64 exec, exec, s[28:29]
	v_and_b32_e32 v14, 0xff, v38
	v_cmp_ne_u16_e32 vcc, 0, v14
	v_mov_b32_e32 v1, 0
	v_mov_b32_e32 v2, 0
	s_and_saveexec_b64 s[28:29], vcc
	s_cbranch_execz .LBB6_21855
; %bb.21850:                            ;   in Loop: Header=BB6_20564 Depth=3
	v_cmp_ne_u16_e32 vcc, s96, v14
	v_bfrev_b32_e32 v2, 1
	s_and_saveexec_b64 s[34:35], vcc
	s_cbranch_execz .LBB6_21854
; %bb.21851:                            ;   in Loop: Header=BB6_20564 Depth=3
	v_and_b32_e32 v3, 0x7f, v38
	v_cmp_ne_u32_e32 vcc, s86, v3
	v_mov_b32_e32 v2, 0x7f800001
	s_and_saveexec_b64 s[36:37], vcc
	s_cbranch_execz .LBB6_21853
; %bb.21852:                            ;   in Loop: Header=BB6_20564 Depth=3
	v_and_b32_e32 v4, 7, v14
	v_ffbh_u32_e32 v2, v4
	v_min_u32_e32 v6, 32, v2
	v_subrev_u32_e32 v2, 28, v6
	v_lshrrev_b32_e32 v5, 3, v3
	v_cmp_gt_u32_e32 vcc, 8, v3
	v_lshlrev_b64 v[2:3], v2, v[14:15]
	v_sub_u32_e32 v3, 29, v6
	v_and_b32_e32 v2, 7, v2
	v_cndmask_b32_e32 v3, v5, v3, vcc
	v_cndmask_b32_e32 v2, v4, v2, vcc
	v_lshlrev_b32_e32 v4, 24, v38
	v_bfrev_b32_e32 v5, 60
	v_lshlrev_b32_e32 v2, 20, v2
	v_and_b32_e32 v4, 0x80000000, v4
	v_lshl_add_u32 v3, v3, 23, v5
	v_or3_b32 v2, v4, v3, v2
.LBB6_21853:                            ;   in Loop: Header=BB6_20564 Depth=3
	s_or_b64 exec, exec, s[36:37]
.LBB6_21854:                            ;   in Loop: Header=BB6_20564 Depth=3
	s_or_b64 exec, exec, s[34:35]
.LBB6_21855:                            ;   in Loop: Header=BB6_20564 Depth=3
	s_or_b64 exec, exec, s[28:29]
	v_and_b32_e32 v14, 0xff, v7
	v_cmp_ne_u16_e32 vcc, 0, v14
	s_and_saveexec_b64 s[28:29], vcc
	s_cbranch_execz .LBB6_21861
; %bb.21856:                            ;   in Loop: Header=BB6_20564 Depth=3
	v_cmp_ne_u16_e32 vcc, s96, v14
	v_bfrev_b32_e32 v1, 1
	s_and_saveexec_b64 s[34:35], vcc
	s_cbranch_execz .LBB6_21860
; %bb.21857:                            ;   in Loop: Header=BB6_20564 Depth=3
	v_and_b32_e32 v3, 0x7f, v7
	v_cmp_ne_u32_e32 vcc, s86, v3
	v_mov_b32_e32 v1, 0x7f800001
	s_and_saveexec_b64 s[36:37], vcc
	s_cbranch_execz .LBB6_21859
; %bb.21858:                            ;   in Loop: Header=BB6_20564 Depth=3
	v_and_b32_e32 v1, 7, v14
	v_lshrrev_b32_e32 v5, 3, v3
	v_cmp_gt_u32_e32 vcc, 8, v3
	v_ffbh_u32_e32 v3, v1
	v_min_u32_e32 v6, 32, v3
	v_subrev_u32_e32 v3, 28, v6
	v_lshlrev_b64 v[3:4], v3, v[14:15]
	v_sub_u32_e32 v4, 29, v6
	v_and_b32_e32 v3, 7, v3
	v_cndmask_b32_e32 v4, v5, v4, vcc
	v_cndmask_b32_e32 v1, v1, v3, vcc
	v_lshlrev_b32_e32 v3, 24, v7
	v_bfrev_b32_e32 v5, 60
	v_lshlrev_b32_e32 v1, 20, v1
	v_and_b32_e32 v3, 0x80000000, v3
	v_lshl_add_u32 v4, v4, 23, v5
	v_or3_b32 v1, v3, v4, v1
.LBB6_21859:                            ;   in Loop: Header=BB6_20564 Depth=3
	s_or_b64 exec, exec, s[36:37]
.LBB6_21860:                            ;   in Loop: Header=BB6_20564 Depth=3
	s_or_b64 exec, exec, s[34:35]
.LBB6_21861:                            ;   in Loop: Header=BB6_20564 Depth=3
	s_or_b64 exec, exec, s[28:29]
	v_add_f32_e32 v2, v2, v1
	v_and_b32_e32 v3, 0x7f800000, v2
	v_mov_b32_e32 v4, v51
	v_cmp_ne_u64_e32 vcc, s[76:77], v[3:4]
                                        ; implicit-def: $vgpr38
	s_and_saveexec_b64 s[28:29], vcc
	s_xor_b64 s[34:35], exec, s[28:29]
	s_cbranch_execz .LBB6_21879
; %bb.21862:                            ;   in Loop: Header=BB6_20564 Depth=3
	v_and_b32_e32 v3, 0x7fffffff, v2
	v_mov_b32_e32 v4, v51
	v_cmp_gt_u64_e32 vcc, s[78:79], v[3:4]
	v_and_b32_sdwa v1, v2, s96 dst_sel:DWORD dst_unused:UNUSED_PAD src0_sel:BYTE_3 src1_sel:DWORD
                                        ; implicit-def: $vgpr38
	s_and_saveexec_b64 s[28:29], vcc
	s_xor_b64 s[36:37], exec, s[28:29]
	s_cbranch_execz .LBB6_21876
; %bb.21863:                            ;   in Loop: Header=BB6_20564 Depth=3
	v_cmp_ne_u32_e32 vcc, 0, v2
	v_mov_b32_e32 v38, 0
	s_and_saveexec_b64 s[38:39], vcc
	s_cbranch_execz .LBB6_21875
; %bb.21864:                            ;   in Loop: Header=BB6_20564 Depth=3
	v_and_b32_e32 v4, 0x7fffff, v2
	v_bfe_u32 v2, v2, 23, 8
	v_cmp_gt_u32_e64 s[28:29], s97, v2
	v_sub_u32_e32 v3, 0x79, v2
	v_cmp_eq_u32_e32 vcc, 0, v2
	v_cndmask_b32_e64 v3, 0, v3, s[28:29]
	v_mov_b32_e32 v6, 0x78
	v_cndmask_b32_e32 v3, v3, v6, vcc
	v_add_u32_e32 v6, 20, v3
	v_or_b32_e32 v5, 0x800000, v4
	v_lshlrev_b64 v[6:7], v6, -1
	v_add_u32_e32 v14, 19, v3
	v_cndmask_b32_e32 v4, v5, v4, vcc
	v_lshlrev_b64 v[14:15], v14, 1
	v_mov_b32_e32 v5, v51
	v_bfi_b32 v7, v7, 0, 0
	v_bfi_b32 v6, v6, 0, v4
	v_cmp_eq_u64_e64 s[28:29], v[6:7], v[14:15]
	v_lshrrev_b64 v[14:15], v3, v[4:5]
	v_mov_b32_e32 v16, v15
	v_mov_b32_e32 v15, v14
	s_and_saveexec_b64 s[48:49], s[28:29]
; %bb.21865:                            ;   in Loop: Header=BB6_20564 Depth=3
	v_bfe_u32 v4, v14, 20, 1
	v_add_co_u32_e64 v4, s[28:29], v14, v4
	v_add_co_u32_e64 v15, s[28:29], -1, v4
; %bb.21866:                            ;   in Loop: Header=BB6_20564 Depth=3
	s_or_b64 exec, exec, s[48:49]
	v_add_u32_e32 v2, 0xffffff81, v2
	v_mov_b32_e32 v4, 0xffffff82
	v_cndmask_b32_e32 v2, v2, v4, vcc
	v_lshrrev_b32_e32 v4, 23, v14
	v_add3_u32 v4, v3, v2, v4
	v_add_u32_e32 v3, 6, v4
	v_and_b32_e32 v2, 0xfffff, v15
	v_add_u32_e32 v14, v2, v14
	v_mov_b32_e32 v15, v51
	v_cmp_ne_u32_e32 vcc, 0, v3
                                        ; implicit-def: $vgpr2
	s_and_saveexec_b64 s[28:29], vcc
	s_xor_b64 s[28:29], exec, s[28:29]
; %bb.21867:                            ;   in Loop: Header=BB6_20564 Depth=3
	v_cmp_lt_u64_e32 vcc, s[88:89], v[14:15]
	v_add_u32_e32 v2, 7, v4
	v_cndmask_b32_e32 v2, v3, v2, vcc
	v_cndmask_b32_e64 v3, 0, 1, vcc
	v_lshrrev_b64 v[14:15], v3, v[14:15]
; %bb.21868:                            ;   in Loop: Header=BB6_20564 Depth=3
	s_andn2_saveexec_b64 s[28:29], s[28:29]
; %bb.21869:                            ;   in Loop: Header=BB6_20564 Depth=3
	v_bfe_u32 v2, v14, 23, 1
; %bb.21870:                            ;   in Loop: Header=BB6_20564 Depth=3
	s_or_b64 exec, exec, s[28:29]
	v_lshrrev_b64 v[3:4], 20, v[14:15]
	v_cmp_gt_i32_e32 vcc, 16, v2
	v_cndmask_b32_e32 v15, 0, v4, vcc
	v_cndmask_b32_e32 v14, 7, v3, vcc
	v_cmp_ne_u64_e32 vcc, 0, v[14:15]
	v_cmp_ne_u32_e64 s[28:29], 0, v2
	s_or_b64 s[28:29], s[28:29], vcc
                                        ; implicit-def: $vgpr38
	s_and_saveexec_b64 vcc, s[28:29]
	s_xor_b64 s[28:29], exec, vcc
; %bb.21871:                            ;   in Loop: Header=BB6_20564 Depth=3
	v_min_i32_e32 v2, 15, v2
	v_lshl_or_b32 v1, v2, 3, v1
	v_and_or_b32 v38, v14, 7, v1
                                        ; implicit-def: $vgpr1
; %bb.21872:                            ;   in Loop: Header=BB6_20564 Depth=3
	s_andn2_saveexec_b64 s[28:29], s[28:29]
; %bb.21873:                            ;   in Loop: Header=BB6_20564 Depth=3
	v_mov_b32_e32 v38, v1
; %bb.21874:                            ;   in Loop: Header=BB6_20564 Depth=3
	s_or_b64 exec, exec, s[28:29]
.LBB6_21875:                            ;   in Loop: Header=BB6_20564 Depth=3
	s_or_b64 exec, exec, s[38:39]
                                        ; implicit-def: $vgpr1
.LBB6_21876:                            ;   in Loop: Header=BB6_20564 Depth=3
	s_andn2_saveexec_b64 s[28:29], s[36:37]
; %bb.21877:                            ;   in Loop: Header=BB6_20564 Depth=3
	v_or_b32_e32 v38, 0x7e, v1
; %bb.21878:                            ;   in Loop: Header=BB6_20564 Depth=3
	s_or_b64 exec, exec, s[28:29]
                                        ; implicit-def: $vgpr2
.LBB6_21879:                            ;   in Loop: Header=BB6_20564 Depth=3
	s_andn2_saveexec_b64 s[28:29], s[34:35]
; %bb.21880:                            ;   in Loop: Header=BB6_20564 Depth=3
	v_or_b32_sdwa v38, v2, s86 dst_sel:DWORD dst_unused:UNUSED_PAD src0_sel:BYTE_3 src1_sel:DWORD
; %bb.21881:                            ;   in Loop: Header=BB6_20564 Depth=3
	s_or_b64 exec, exec, s[28:29]
	v_and_b32_e32 v14, 0xff, v37
	v_cmp_ne_u16_e32 vcc, 0, v14
	v_mov_b32_e32 v1, 0
	v_mov_b32_e32 v2, 0
	s_and_saveexec_b64 s[28:29], vcc
	s_cbranch_execz .LBB6_21887
; %bb.21882:                            ;   in Loop: Header=BB6_20564 Depth=3
	v_cmp_ne_u16_e32 vcc, s96, v14
	v_bfrev_b32_e32 v2, 1
	s_and_saveexec_b64 s[34:35], vcc
	s_cbranch_execz .LBB6_21886
; %bb.21883:                            ;   in Loop: Header=BB6_20564 Depth=3
	v_and_b32_e32 v3, 0x7f, v37
	v_cmp_ne_u32_e32 vcc, s86, v3
	v_mov_b32_e32 v2, 0x7f800001
	s_and_saveexec_b64 s[36:37], vcc
	s_cbranch_execz .LBB6_21885
; %bb.21884:                            ;   in Loop: Header=BB6_20564 Depth=3
	v_and_b32_e32 v4, 7, v14
	v_ffbh_u32_e32 v2, v4
	v_min_u32_e32 v6, 32, v2
	v_subrev_u32_e32 v2, 28, v6
	v_lshrrev_b32_e32 v5, 3, v3
	v_cmp_gt_u32_e32 vcc, 8, v3
	v_lshlrev_b64 v[2:3], v2, v[14:15]
	v_sub_u32_e32 v3, 29, v6
	v_and_b32_e32 v2, 7, v2
	v_cndmask_b32_e32 v3, v5, v3, vcc
	v_cndmask_b32_e32 v2, v4, v2, vcc
	v_lshlrev_b32_e32 v4, 24, v37
	v_bfrev_b32_e32 v5, 60
	v_lshlrev_b32_e32 v2, 20, v2
	v_and_b32_e32 v4, 0x80000000, v4
	v_lshl_add_u32 v3, v3, 23, v5
	v_or3_b32 v2, v4, v3, v2
.LBB6_21885:                            ;   in Loop: Header=BB6_20564 Depth=3
	s_or_b64 exec, exec, s[36:37]
.LBB6_21886:                            ;   in Loop: Header=BB6_20564 Depth=3
	s_or_b64 exec, exec, s[34:35]
.LBB6_21887:                            ;   in Loop: Header=BB6_20564 Depth=3
	s_or_b64 exec, exec, s[28:29]
	v_and_b32_e32 v14, 0xff, v0
	v_cmp_ne_u16_e32 vcc, 0, v14
	s_and_saveexec_b64 s[28:29], vcc
	s_cbranch_execz .LBB6_21893
; %bb.21888:                            ;   in Loop: Header=BB6_20564 Depth=3
	v_cmp_ne_u16_e32 vcc, s96, v14
	v_bfrev_b32_e32 v1, 1
	s_and_saveexec_b64 s[34:35], vcc
	s_cbranch_execz .LBB6_21892
; %bb.21889:                            ;   in Loop: Header=BB6_20564 Depth=3
	v_and_b32_e32 v3, 0x7f, v0
	v_cmp_ne_u32_e32 vcc, s86, v3
	v_mov_b32_e32 v1, 0x7f800001
	s_and_saveexec_b64 s[36:37], vcc
	s_cbranch_execz .LBB6_21891
; %bb.21890:                            ;   in Loop: Header=BB6_20564 Depth=3
	v_and_b32_e32 v1, 7, v14
	v_lshrrev_b32_e32 v5, 3, v3
	v_cmp_gt_u32_e32 vcc, 8, v3
	v_ffbh_u32_e32 v3, v1
	v_min_u32_e32 v6, 32, v3
	v_subrev_u32_e32 v3, 28, v6
	v_lshlrev_b64 v[3:4], v3, v[14:15]
	v_sub_u32_e32 v4, 29, v6
	v_and_b32_e32 v3, 7, v3
	v_cndmask_b32_e32 v4, v5, v4, vcc
	v_cndmask_b32_e32 v1, v1, v3, vcc
	v_lshlrev_b32_e32 v0, 24, v0
	v_bfrev_b32_e32 v3, 60
	v_lshlrev_b32_e32 v1, 20, v1
	v_and_b32_e32 v0, 0x80000000, v0
	v_lshl_add_u32 v3, v4, 23, v3
	v_or3_b32 v1, v0, v3, v1
.LBB6_21891:                            ;   in Loop: Header=BB6_20564 Depth=3
	s_or_b64 exec, exec, s[36:37]
.LBB6_21892:                            ;   in Loop: Header=BB6_20564 Depth=3
	s_or_b64 exec, exec, s[34:35]
.LBB6_21893:                            ;   in Loop: Header=BB6_20564 Depth=3
	s_or_b64 exec, exec, s[28:29]
	v_add_f32_e32 v1, v2, v1
	v_and_b32_e32 v2, 0x7f800000, v1
	v_mov_b32_e32 v3, v51
	v_cmp_ne_u64_e32 vcc, s[76:77], v[2:3]
                                        ; implicit-def: $vgpr37
	s_and_saveexec_b64 s[28:29], vcc
	s_xor_b64 s[34:35], exec, s[28:29]
	s_cbranch_execz .LBB6_21911
; %bb.21894:                            ;   in Loop: Header=BB6_20564 Depth=3
	v_and_b32_e32 v2, 0x7fffffff, v1
	v_mov_b32_e32 v3, v51
	v_cmp_gt_u64_e32 vcc, s[78:79], v[2:3]
	v_and_b32_sdwa v0, v1, s96 dst_sel:DWORD dst_unused:UNUSED_PAD src0_sel:BYTE_3 src1_sel:DWORD
                                        ; implicit-def: $vgpr37
	s_and_saveexec_b64 s[28:29], vcc
	s_xor_b64 s[36:37], exec, s[28:29]
	s_cbranch_execz .LBB6_21908
; %bb.21895:                            ;   in Loop: Header=BB6_20564 Depth=3
	v_cmp_ne_u32_e32 vcc, 0, v1
	v_mov_b32_e32 v37, 0
	s_and_saveexec_b64 s[38:39], vcc
	s_cbranch_execz .LBB6_21907
; %bb.21896:                            ;   in Loop: Header=BB6_20564 Depth=3
	v_and_b32_e32 v3, 0x7fffff, v1
	v_bfe_u32 v1, v1, 23, 8
	v_cmp_gt_u32_e64 s[28:29], s97, v1
	v_sub_u32_e32 v2, 0x79, v1
	v_cmp_eq_u32_e32 vcc, 0, v1
	v_cndmask_b32_e64 v2, 0, v2, s[28:29]
	v_mov_b32_e32 v5, 0x78
	v_cndmask_b32_e32 v2, v2, v5, vcc
	v_add_u32_e32 v5, 20, v2
	v_or_b32_e32 v4, 0x800000, v3
	v_lshlrev_b64 v[5:6], v5, -1
	v_add_u32_e32 v7, 19, v2
	v_cndmask_b32_e32 v3, v4, v3, vcc
	v_lshlrev_b64 v[14:15], v7, 1
	v_mov_b32_e32 v4, v51
	v_bfi_b32 v6, v6, 0, 0
	v_bfi_b32 v5, v5, 0, v3
	v_cmp_eq_u64_e64 s[28:29], v[5:6], v[14:15]
	v_lshrrev_b64 v[14:15], v2, v[3:4]
	v_mov_b32_e32 v16, v15
	v_mov_b32_e32 v15, v14
	s_and_saveexec_b64 s[48:49], s[28:29]
; %bb.21897:                            ;   in Loop: Header=BB6_20564 Depth=3
	v_bfe_u32 v3, v14, 20, 1
	v_add_co_u32_e64 v3, s[28:29], v14, v3
	v_add_co_u32_e64 v15, s[28:29], -1, v3
; %bb.21898:                            ;   in Loop: Header=BB6_20564 Depth=3
	s_or_b64 exec, exec, s[48:49]
	v_add_u32_e32 v1, 0xffffff81, v1
	v_mov_b32_e32 v3, 0xffffff82
	v_cndmask_b32_e32 v1, v1, v3, vcc
	v_lshrrev_b32_e32 v3, 23, v14
	v_add3_u32 v3, v2, v1, v3
	v_add_u32_e32 v2, 6, v3
	v_and_b32_e32 v1, 0xfffff, v15
	v_add_u32_e32 v14, v1, v14
	v_mov_b32_e32 v15, v51
	v_cmp_ne_u32_e32 vcc, 0, v2
                                        ; implicit-def: $vgpr1
	s_and_saveexec_b64 s[28:29], vcc
	s_xor_b64 s[28:29], exec, s[28:29]
; %bb.21899:                            ;   in Loop: Header=BB6_20564 Depth=3
	v_cmp_lt_u64_e32 vcc, s[88:89], v[14:15]
	v_add_u32_e32 v1, 7, v3
	v_cndmask_b32_e32 v1, v2, v1, vcc
	v_cndmask_b32_e64 v2, 0, 1, vcc
	v_lshrrev_b64 v[14:15], v2, v[14:15]
; %bb.21900:                            ;   in Loop: Header=BB6_20564 Depth=3
	s_andn2_saveexec_b64 s[28:29], s[28:29]
; %bb.21901:                            ;   in Loop: Header=BB6_20564 Depth=3
	v_bfe_u32 v1, v14, 23, 1
; %bb.21902:                            ;   in Loop: Header=BB6_20564 Depth=3
	s_or_b64 exec, exec, s[28:29]
	v_lshrrev_b64 v[2:3], 20, v[14:15]
	v_cmp_gt_i32_e32 vcc, 16, v1
	v_cndmask_b32_e32 v15, 0, v3, vcc
	v_cndmask_b32_e32 v14, 7, v2, vcc
	v_cmp_ne_u64_e32 vcc, 0, v[14:15]
	v_cmp_ne_u32_e64 s[28:29], 0, v1
	s_or_b64 s[28:29], s[28:29], vcc
                                        ; implicit-def: $vgpr37
	s_and_saveexec_b64 vcc, s[28:29]
	s_xor_b64 s[28:29], exec, vcc
; %bb.21903:                            ;   in Loop: Header=BB6_20564 Depth=3
	v_min_i32_e32 v1, 15, v1
	v_lshl_or_b32 v0, v1, 3, v0
	v_and_or_b32 v37, v14, 7, v0
                                        ; implicit-def: $vgpr0
; %bb.21904:                            ;   in Loop: Header=BB6_20564 Depth=3
	s_andn2_saveexec_b64 s[28:29], s[28:29]
; %bb.21905:                            ;   in Loop: Header=BB6_20564 Depth=3
	v_mov_b32_e32 v37, v0
; %bb.21906:                            ;   in Loop: Header=BB6_20564 Depth=3
	s_or_b64 exec, exec, s[28:29]
.LBB6_21907:                            ;   in Loop: Header=BB6_20564 Depth=3
	s_or_b64 exec, exec, s[38:39]
                                        ; implicit-def: $vgpr0
.LBB6_21908:                            ;   in Loop: Header=BB6_20564 Depth=3
	s_andn2_saveexec_b64 s[28:29], s[36:37]
; %bb.21909:                            ;   in Loop: Header=BB6_20564 Depth=3
	v_or_b32_e32 v37, 0x7e, v0
; %bb.21910:                            ;   in Loop: Header=BB6_20564 Depth=3
	s_or_b64 exec, exec, s[28:29]
                                        ; implicit-def: $vgpr1
.LBB6_21911:                            ;   in Loop: Header=BB6_20564 Depth=3
	s_andn2_saveexec_b64 s[28:29], s[34:35]
; %bb.21912:                            ;   in Loop: Header=BB6_20564 Depth=3
	v_or_b32_sdwa v37, v1, s86 dst_sel:DWORD dst_unused:UNUSED_PAD src0_sel:BYTE_3 src1_sel:DWORD
; %bb.21913:                            ;   in Loop: Header=BB6_20564 Depth=3
	s_or_b64 exec, exec, s[28:29]
	v_and_b32_e32 v14, 0xff, v36
	v_cmp_ne_u16_e32 vcc, 0, v14
	v_mov_b32_e32 v0, 0
	v_mov_b32_e32 v1, 0
	s_and_saveexec_b64 s[28:29], vcc
	s_cbranch_execz .LBB6_21919
; %bb.21914:                            ;   in Loop: Header=BB6_20564 Depth=3
	v_cmp_ne_u16_e32 vcc, s96, v14
	v_bfrev_b32_e32 v1, 1
	s_and_saveexec_b64 s[34:35], vcc
	s_cbranch_execz .LBB6_21918
; %bb.21915:                            ;   in Loop: Header=BB6_20564 Depth=3
	v_and_b32_e32 v2, 0x7f, v36
	v_cmp_ne_u32_e32 vcc, s86, v2
	v_mov_b32_e32 v1, 0x7f800001
	s_and_saveexec_b64 s[36:37], vcc
	s_cbranch_execz .LBB6_21917
; %bb.21916:                            ;   in Loop: Header=BB6_20564 Depth=3
	v_and_b32_e32 v3, 7, v14
	v_ffbh_u32_e32 v1, v3
	v_min_u32_e32 v5, 32, v1
	v_subrev_u32_e32 v1, 28, v5
	v_lshrrev_b32_e32 v4, 3, v2
	v_cmp_gt_u32_e32 vcc, 8, v2
	v_lshlrev_b64 v[1:2], v1, v[14:15]
	v_sub_u32_e32 v2, 29, v5
	v_and_b32_e32 v1, 7, v1
	v_cndmask_b32_e32 v2, v4, v2, vcc
	v_cndmask_b32_e32 v1, v3, v1, vcc
	v_lshlrev_b32_e32 v3, 24, v36
	v_bfrev_b32_e32 v4, 60
	v_lshlrev_b32_e32 v1, 20, v1
	v_and_b32_e32 v3, 0x80000000, v3
	v_lshl_add_u32 v2, v2, 23, v4
	v_or3_b32 v1, v3, v2, v1
.LBB6_21917:                            ;   in Loop: Header=BB6_20564 Depth=3
	s_or_b64 exec, exec, s[36:37]
.LBB6_21918:                            ;   in Loop: Header=BB6_20564 Depth=3
	s_or_b64 exec, exec, s[34:35]
.LBB6_21919:                            ;   in Loop: Header=BB6_20564 Depth=3
	s_or_b64 exec, exec, s[28:29]
	v_and_b32_e32 v14, 0xff, v19
	v_cmp_ne_u16_e32 vcc, 0, v14
	s_and_saveexec_b64 s[28:29], vcc
	s_cbranch_execz .LBB6_21925
; %bb.21920:                            ;   in Loop: Header=BB6_20564 Depth=3
	v_cmp_ne_u16_e32 vcc, s96, v14
	v_bfrev_b32_e32 v0, 1
	s_and_saveexec_b64 s[34:35], vcc
	s_cbranch_execz .LBB6_21924
; %bb.21921:                            ;   in Loop: Header=BB6_20564 Depth=3
	v_and_b32_e32 v2, 0x7f, v19
	v_cmp_ne_u32_e32 vcc, s86, v2
	v_mov_b32_e32 v0, 0x7f800001
	s_and_saveexec_b64 s[36:37], vcc
	s_cbranch_execz .LBB6_21923
; %bb.21922:                            ;   in Loop: Header=BB6_20564 Depth=3
	v_and_b32_e32 v0, 7, v14
	v_lshrrev_b32_e32 v4, 3, v2
	v_cmp_gt_u32_e32 vcc, 8, v2
	v_ffbh_u32_e32 v2, v0
	v_min_u32_e32 v5, 32, v2
	v_subrev_u32_e32 v2, 28, v5
	v_lshlrev_b64 v[2:3], v2, v[14:15]
	v_sub_u32_e32 v3, 29, v5
	v_and_b32_e32 v2, 7, v2
	v_cndmask_b32_e32 v3, v4, v3, vcc
	v_cndmask_b32_e32 v0, v0, v2, vcc
	v_lshlrev_b32_e32 v2, 24, v19
	v_bfrev_b32_e32 v4, 60
	v_lshlrev_b32_e32 v0, 20, v0
	v_and_b32_e32 v2, 0x80000000, v2
	v_lshl_add_u32 v3, v3, 23, v4
	v_or3_b32 v0, v2, v3, v0
.LBB6_21923:                            ;   in Loop: Header=BB6_20564 Depth=3
	s_or_b64 exec, exec, s[36:37]
.LBB6_21924:                            ;   in Loop: Header=BB6_20564 Depth=3
	s_or_b64 exec, exec, s[34:35]
.LBB6_21925:                            ;   in Loop: Header=BB6_20564 Depth=3
	s_or_b64 exec, exec, s[28:29]
	v_add_f32_e32 v1, v1, v0
	v_and_b32_e32 v2, 0x7f800000, v1
	v_mov_b32_e32 v3, v51
	v_cmp_ne_u64_e32 vcc, s[76:77], v[2:3]
                                        ; implicit-def: $vgpr19
	s_and_saveexec_b64 s[28:29], vcc
	s_xor_b64 s[34:35], exec, s[28:29]
	s_cbranch_execz .LBB6_21943
; %bb.21926:                            ;   in Loop: Header=BB6_20564 Depth=3
	v_and_b32_e32 v2, 0x7fffffff, v1
	v_mov_b32_e32 v3, v51
	v_cmp_gt_u64_e32 vcc, s[78:79], v[2:3]
	v_and_b32_sdwa v0, v1, s96 dst_sel:DWORD dst_unused:UNUSED_PAD src0_sel:BYTE_3 src1_sel:DWORD
                                        ; implicit-def: $vgpr19
	s_and_saveexec_b64 s[28:29], vcc
	s_xor_b64 s[36:37], exec, s[28:29]
	s_cbranch_execz .LBB6_21940
; %bb.21927:                            ;   in Loop: Header=BB6_20564 Depth=3
	v_cmp_ne_u32_e32 vcc, 0, v1
	v_mov_b32_e32 v19, 0
	s_and_saveexec_b64 s[38:39], vcc
	s_cbranch_execz .LBB6_21939
; %bb.21928:                            ;   in Loop: Header=BB6_20564 Depth=3
	v_and_b32_e32 v3, 0x7fffff, v1
	v_bfe_u32 v1, v1, 23, 8
	v_cmp_gt_u32_e64 s[28:29], s97, v1
	v_sub_u32_e32 v2, 0x79, v1
	v_cmp_eq_u32_e32 vcc, 0, v1
	v_cndmask_b32_e64 v2, 0, v2, s[28:29]
	v_mov_b32_e32 v5, 0x78
	v_cndmask_b32_e32 v2, v2, v5, vcc
	v_add_u32_e32 v5, 20, v2
	v_or_b32_e32 v4, 0x800000, v3
	v_lshlrev_b64 v[5:6], v5, -1
	v_add_u32_e32 v7, 19, v2
	v_cndmask_b32_e32 v3, v4, v3, vcc
	v_lshlrev_b64 v[14:15], v7, 1
	v_mov_b32_e32 v4, v51
	v_bfi_b32 v6, v6, 0, 0
	v_bfi_b32 v5, v5, 0, v3
	v_cmp_eq_u64_e64 s[28:29], v[5:6], v[14:15]
	v_lshrrev_b64 v[14:15], v2, v[3:4]
	v_mov_b32_e32 v16, v15
	v_mov_b32_e32 v15, v14
	s_and_saveexec_b64 s[48:49], s[28:29]
; %bb.21929:                            ;   in Loop: Header=BB6_20564 Depth=3
	v_bfe_u32 v3, v14, 20, 1
	v_add_co_u32_e64 v3, s[28:29], v14, v3
	v_add_co_u32_e64 v15, s[28:29], -1, v3
; %bb.21930:                            ;   in Loop: Header=BB6_20564 Depth=3
	s_or_b64 exec, exec, s[48:49]
	v_add_u32_e32 v1, 0xffffff81, v1
	v_mov_b32_e32 v3, 0xffffff82
	v_cndmask_b32_e32 v1, v1, v3, vcc
	v_lshrrev_b32_e32 v3, 23, v14
	v_add3_u32 v3, v2, v1, v3
	v_add_u32_e32 v2, 6, v3
	v_and_b32_e32 v1, 0xfffff, v15
	v_add_u32_e32 v14, v1, v14
	v_mov_b32_e32 v15, v51
	v_cmp_ne_u32_e32 vcc, 0, v2
                                        ; implicit-def: $vgpr1
	s_and_saveexec_b64 s[28:29], vcc
	s_xor_b64 s[28:29], exec, s[28:29]
; %bb.21931:                            ;   in Loop: Header=BB6_20564 Depth=3
	v_cmp_lt_u64_e32 vcc, s[88:89], v[14:15]
	v_add_u32_e32 v1, 7, v3
	v_cndmask_b32_e32 v1, v2, v1, vcc
	v_cndmask_b32_e64 v2, 0, 1, vcc
	v_lshrrev_b64 v[14:15], v2, v[14:15]
; %bb.21932:                            ;   in Loop: Header=BB6_20564 Depth=3
	s_andn2_saveexec_b64 s[28:29], s[28:29]
; %bb.21933:                            ;   in Loop: Header=BB6_20564 Depth=3
	v_bfe_u32 v1, v14, 23, 1
; %bb.21934:                            ;   in Loop: Header=BB6_20564 Depth=3
	s_or_b64 exec, exec, s[28:29]
	v_lshrrev_b64 v[2:3], 20, v[14:15]
	v_cmp_gt_i32_e32 vcc, 16, v1
	v_cndmask_b32_e32 v15, 0, v3, vcc
	v_cndmask_b32_e32 v14, 7, v2, vcc
	v_cmp_ne_u64_e32 vcc, 0, v[14:15]
	v_cmp_ne_u32_e64 s[28:29], 0, v1
	s_or_b64 s[28:29], s[28:29], vcc
                                        ; implicit-def: $vgpr19
	s_and_saveexec_b64 vcc, s[28:29]
	s_xor_b64 s[28:29], exec, vcc
; %bb.21935:                            ;   in Loop: Header=BB6_20564 Depth=3
	v_min_i32_e32 v1, 15, v1
	v_lshl_or_b32 v0, v1, 3, v0
	v_and_or_b32 v19, v14, 7, v0
                                        ; implicit-def: $vgpr0
; %bb.21936:                            ;   in Loop: Header=BB6_20564 Depth=3
	s_andn2_saveexec_b64 s[28:29], s[28:29]
; %bb.21937:                            ;   in Loop: Header=BB6_20564 Depth=3
	v_mov_b32_e32 v19, v0
; %bb.21938:                            ;   in Loop: Header=BB6_20564 Depth=3
	s_or_b64 exec, exec, s[28:29]
.LBB6_21939:                            ;   in Loop: Header=BB6_20564 Depth=3
	s_or_b64 exec, exec, s[38:39]
                                        ; implicit-def: $vgpr0
.LBB6_21940:                            ;   in Loop: Header=BB6_20564 Depth=3
	s_andn2_saveexec_b64 s[28:29], s[36:37]
; %bb.21941:                            ;   in Loop: Header=BB6_20564 Depth=3
	v_or_b32_e32 v19, 0x7e, v0
; %bb.21942:                            ;   in Loop: Header=BB6_20564 Depth=3
	s_or_b64 exec, exec, s[28:29]
                                        ; implicit-def: $vgpr1
.LBB6_21943:                            ;   in Loop: Header=BB6_20564 Depth=3
	s_andn2_saveexec_b64 s[28:29], s[34:35]
; %bb.21944:                            ;   in Loop: Header=BB6_20564 Depth=3
	v_or_b32_sdwa v19, v1, s86 dst_sel:DWORD dst_unused:UNUSED_PAD src0_sel:BYTE_3 src1_sel:DWORD
; %bb.21945:                            ;   in Loop: Header=BB6_20564 Depth=3
	s_or_b64 exec, exec, s[28:29]
	buffer_load_dword v0, off, s[0:3], s33 offset:148 ; 4-byte Folded Reload
	v_mov_b32_e32 v1, 0
	s_waitcnt vmcnt(0)
	v_and_b32_e32 v14, 0xff, v0
	v_cmp_ne_u16_e32 vcc, 0, v14
	v_mov_b32_e32 v0, 0
	s_and_saveexec_b64 s[28:29], vcc
	s_cbranch_execz .LBB6_21951
; %bb.21946:                            ;   in Loop: Header=BB6_20564 Depth=3
	v_cmp_ne_u16_e32 vcc, s96, v14
	v_bfrev_b32_e32 v1, 1
	s_and_saveexec_b64 s[34:35], vcc
	s_cbranch_execz .LBB6_21950
; %bb.21947:                            ;   in Loop: Header=BB6_20564 Depth=3
	buffer_load_dword v6, off, s[0:3], s33 offset:148 ; 4-byte Folded Reload
	v_mov_b32_e32 v1, 0x7f800001
	s_waitcnt vmcnt(0)
	v_and_b32_e32 v2, 0x7f, v6
	v_cmp_ne_u32_e32 vcc, s86, v2
	s_and_saveexec_b64 s[36:37], vcc
	s_cbranch_execz .LBB6_21949
; %bb.21948:                            ;   in Loop: Header=BB6_20564 Depth=3
	v_and_b32_e32 v3, 7, v14
	v_ffbh_u32_e32 v1, v3
	v_min_u32_e32 v5, 32, v1
	v_subrev_u32_e32 v1, 28, v5
	v_lshrrev_b32_e32 v4, 3, v2
	v_cmp_gt_u32_e32 vcc, 8, v2
	v_lshlrev_b64 v[1:2], v1, v[14:15]
	v_sub_u32_e32 v2, 29, v5
	v_and_b32_e32 v1, 7, v1
	v_cndmask_b32_e32 v2, v4, v2, vcc
	v_cndmask_b32_e32 v1, v3, v1, vcc
	v_lshlrev_b32_e32 v3, 24, v6
	v_bfrev_b32_e32 v4, 60
	v_lshlrev_b32_e32 v1, 20, v1
	v_and_b32_e32 v3, 0x80000000, v3
	v_lshl_add_u32 v2, v2, 23, v4
	v_or3_b32 v1, v3, v2, v1
.LBB6_21949:                            ;   in Loop: Header=BB6_20564 Depth=3
	s_or_b64 exec, exec, s[36:37]
.LBB6_21950:                            ;   in Loop: Header=BB6_20564 Depth=3
	s_or_b64 exec, exec, s[34:35]
.LBB6_21951:                            ;   in Loop: Header=BB6_20564 Depth=3
	s_or_b64 exec, exec, s[28:29]
	v_and_b32_e32 v14, 0xff, v17
	v_cmp_ne_u16_e32 vcc, 0, v14
	s_and_saveexec_b64 s[28:29], vcc
	s_cbranch_execz .LBB6_21957
; %bb.21952:                            ;   in Loop: Header=BB6_20564 Depth=3
	v_cmp_ne_u16_e32 vcc, s96, v14
	v_bfrev_b32_e32 v0, 1
	s_and_saveexec_b64 s[34:35], vcc
	s_cbranch_execz .LBB6_21956
; %bb.21953:                            ;   in Loop: Header=BB6_20564 Depth=3
	v_and_b32_e32 v2, 0x7f, v17
	v_cmp_ne_u32_e32 vcc, s86, v2
	v_mov_b32_e32 v0, 0x7f800001
	s_and_saveexec_b64 s[36:37], vcc
	s_cbranch_execz .LBB6_21955
; %bb.21954:                            ;   in Loop: Header=BB6_20564 Depth=3
	v_and_b32_e32 v0, 7, v14
	v_lshrrev_b32_e32 v4, 3, v2
	v_cmp_gt_u32_e32 vcc, 8, v2
	v_ffbh_u32_e32 v2, v0
	v_min_u32_e32 v5, 32, v2
	v_subrev_u32_e32 v2, 28, v5
	v_lshlrev_b64 v[2:3], v2, v[14:15]
	v_sub_u32_e32 v3, 29, v5
	v_and_b32_e32 v2, 7, v2
	v_cndmask_b32_e32 v3, v4, v3, vcc
	v_cndmask_b32_e32 v0, v0, v2, vcc
	v_lshlrev_b32_e32 v2, 24, v17
	v_bfrev_b32_e32 v4, 60
	v_lshlrev_b32_e32 v0, 20, v0
	v_and_b32_e32 v2, 0x80000000, v2
	v_lshl_add_u32 v3, v3, 23, v4
	v_or3_b32 v0, v2, v3, v0
.LBB6_21955:                            ;   in Loop: Header=BB6_20564 Depth=3
	s_or_b64 exec, exec, s[36:37]
.LBB6_21956:                            ;   in Loop: Header=BB6_20564 Depth=3
	s_or_b64 exec, exec, s[34:35]
.LBB6_21957:                            ;   in Loop: Header=BB6_20564 Depth=3
	s_or_b64 exec, exec, s[28:29]
	v_add_f32_e32 v2, v1, v0
	v_and_b32_e32 v0, 0x7f800000, v2
	v_mov_b32_e32 v1, v51
	v_cmp_ne_u64_e32 vcc, s[76:77], v[0:1]
                                        ; implicit-def: $vgpr0
	s_and_saveexec_b64 s[28:29], vcc
	s_xor_b64 s[34:35], exec, s[28:29]
	s_cbranch_execz .LBB6_21975
; %bb.21958:                            ;   in Loop: Header=BB6_20564 Depth=3
	v_and_b32_e32 v0, 0x7fffffff, v2
	v_mov_b32_e32 v1, v51
	v_cmp_gt_u64_e32 vcc, s[78:79], v[0:1]
	v_and_b32_sdwa v1, v2, s96 dst_sel:DWORD dst_unused:UNUSED_PAD src0_sel:BYTE_3 src1_sel:DWORD
                                        ; implicit-def: $vgpr0
	s_and_saveexec_b64 s[28:29], vcc
	s_xor_b64 s[36:37], exec, s[28:29]
	s_cbranch_execz .LBB6_21972
; %bb.21959:                            ;   in Loop: Header=BB6_20564 Depth=3
	v_cmp_ne_u32_e32 vcc, 0, v2
	v_mov_b32_e32 v0, 0
	s_and_saveexec_b64 s[38:39], vcc
	s_cbranch_execz .LBB6_21971
; %bb.21960:                            ;   in Loop: Header=BB6_20564 Depth=3
	v_bfe_u32 v0, v2, 23, 8
	v_and_b32_e32 v3, 0x7fffff, v2
	v_cmp_gt_u32_e64 s[28:29], s97, v0
	v_sub_u32_e32 v2, 0x79, v0
	v_cmp_eq_u32_e32 vcc, 0, v0
	v_cndmask_b32_e64 v2, 0, v2, s[28:29]
	v_mov_b32_e32 v5, 0x78
	v_cndmask_b32_e32 v2, v2, v5, vcc
	v_add_u32_e32 v5, 20, v2
	v_or_b32_e32 v4, 0x800000, v3
	v_lshlrev_b64 v[5:6], v5, -1
	v_add_u32_e32 v7, 19, v2
	v_cndmask_b32_e32 v3, v4, v3, vcc
	v_lshlrev_b64 v[14:15], v7, 1
	v_mov_b32_e32 v4, v51
	v_bfi_b32 v6, v6, 0, 0
	v_bfi_b32 v5, v5, 0, v3
	v_cmp_eq_u64_e64 s[28:29], v[5:6], v[14:15]
	v_lshrrev_b64 v[14:15], v2, v[3:4]
	v_mov_b32_e32 v16, v15
	v_mov_b32_e32 v15, v14
	s_and_saveexec_b64 s[48:49], s[28:29]
; %bb.21961:                            ;   in Loop: Header=BB6_20564 Depth=3
	v_bfe_u32 v3, v14, 20, 1
	v_add_co_u32_e64 v3, s[28:29], v14, v3
	v_add_co_u32_e64 v15, s[28:29], -1, v3
; %bb.21962:                            ;   in Loop: Header=BB6_20564 Depth=3
	s_or_b64 exec, exec, s[48:49]
	v_add_u32_e32 v0, 0xffffff81, v0
	v_mov_b32_e32 v3, 0xffffff82
	v_cndmask_b32_e32 v0, v0, v3, vcc
	v_lshrrev_b32_e32 v3, 23, v14
	v_add3_u32 v3, v2, v0, v3
	v_add_u32_e32 v0, 6, v3
	v_and_b32_e32 v2, 0xfffff, v15
	v_add_u32_e32 v14, v2, v14
	v_mov_b32_e32 v15, v51
	v_cmp_ne_u32_e32 vcc, 0, v0
                                        ; implicit-def: $vgpr2
	s_and_saveexec_b64 s[28:29], vcc
	s_xor_b64 s[28:29], exec, s[28:29]
; %bb.21963:                            ;   in Loop: Header=BB6_20564 Depth=3
	v_cmp_lt_u64_e32 vcc, s[88:89], v[14:15]
	v_add_u32_e32 v2, 7, v3
	v_cndmask_b32_e32 v2, v0, v2, vcc
	v_cndmask_b32_e64 v0, 0, 1, vcc
	v_lshrrev_b64 v[14:15], v0, v[14:15]
; %bb.21964:                            ;   in Loop: Header=BB6_20564 Depth=3
	s_andn2_saveexec_b64 s[28:29], s[28:29]
; %bb.21965:                            ;   in Loop: Header=BB6_20564 Depth=3
	v_bfe_u32 v2, v14, 23, 1
; %bb.21966:                            ;   in Loop: Header=BB6_20564 Depth=3
	s_or_b64 exec, exec, s[28:29]
	v_lshrrev_b64 v[3:4], 20, v[14:15]
	v_cmp_gt_i32_e32 vcc, 16, v2
	v_cndmask_b32_e32 v15, 0, v4, vcc
	v_cndmask_b32_e32 v14, 7, v3, vcc
	v_cmp_ne_u64_e32 vcc, 0, v[14:15]
	v_cmp_ne_u32_e64 s[28:29], 0, v2
	s_or_b64 s[28:29], s[28:29], vcc
                                        ; implicit-def: $vgpr0
	s_and_saveexec_b64 vcc, s[28:29]
	s_xor_b64 s[28:29], exec, vcc
; %bb.21967:                            ;   in Loop: Header=BB6_20564 Depth=3
	v_min_i32_e32 v0, 15, v2
	v_lshl_or_b32 v0, v0, 3, v1
	v_and_or_b32 v0, v14, 7, v0
                                        ; implicit-def: $vgpr1
; %bb.21968:                            ;   in Loop: Header=BB6_20564 Depth=3
	s_andn2_saveexec_b64 s[28:29], s[28:29]
; %bb.21969:                            ;   in Loop: Header=BB6_20564 Depth=3
	v_mov_b32_e32 v0, v1
; %bb.21970:                            ;   in Loop: Header=BB6_20564 Depth=3
	s_or_b64 exec, exec, s[28:29]
.LBB6_21971:                            ;   in Loop: Header=BB6_20564 Depth=3
	s_or_b64 exec, exec, s[38:39]
                                        ; implicit-def: $vgpr1
.LBB6_21972:                            ;   in Loop: Header=BB6_20564 Depth=3
	s_andn2_saveexec_b64 s[28:29], s[36:37]
; %bb.21973:                            ;   in Loop: Header=BB6_20564 Depth=3
	v_or_b32_e32 v0, 0x7e, v1
; %bb.21974:                            ;   in Loop: Header=BB6_20564 Depth=3
	s_or_b64 exec, exec, s[28:29]
                                        ; implicit-def: $vgpr2
.LBB6_21975:                            ;   in Loop: Header=BB6_20564 Depth=3
	s_andn2_saveexec_b64 s[28:29], s[34:35]
; %bb.21976:                            ;   in Loop: Header=BB6_20564 Depth=3
	v_or_b32_sdwa v0, v2, s86 dst_sel:DWORD dst_unused:UNUSED_PAD src0_sel:BYTE_3 src1_sel:DWORD
; %bb.21977:                            ;   in Loop: Header=BB6_20564 Depth=3
	s_or_b64 exec, exec, s[28:29]
	buffer_load_dword v1, off, s[0:3], s33 offset:144 ; 4-byte Folded Reload
	v_mov_b32_e32 v2, 0
	s_waitcnt vmcnt(0)
	v_and_b32_e32 v14, 0xff, v1
	v_cmp_ne_u16_e32 vcc, 0, v14
	v_mov_b32_e32 v1, 0
	s_and_saveexec_b64 s[28:29], vcc
	s_cbranch_execz .LBB6_21983
; %bb.21978:                            ;   in Loop: Header=BB6_20564 Depth=3
	v_cmp_ne_u16_e32 vcc, s96, v14
	v_bfrev_b32_e32 v2, 1
	s_and_saveexec_b64 s[34:35], vcc
	s_cbranch_execz .LBB6_21982
; %bb.21979:                            ;   in Loop: Header=BB6_20564 Depth=3
	buffer_load_dword v7, off, s[0:3], s33 offset:144 ; 4-byte Folded Reload
	v_mov_b32_e32 v2, 0x7f800001
	s_waitcnt vmcnt(0)
	v_and_b32_e32 v3, 0x7f, v7
	v_cmp_ne_u32_e32 vcc, s86, v3
	s_and_saveexec_b64 s[36:37], vcc
	s_cbranch_execz .LBB6_21981
; %bb.21980:                            ;   in Loop: Header=BB6_20564 Depth=3
	v_and_b32_e32 v4, 7, v14
	v_ffbh_u32_e32 v2, v4
	v_min_u32_e32 v6, 32, v2
	v_subrev_u32_e32 v2, 28, v6
	v_lshrrev_b32_e32 v5, 3, v3
	v_cmp_gt_u32_e32 vcc, 8, v3
	v_lshlrev_b64 v[2:3], v2, v[14:15]
	v_sub_u32_e32 v3, 29, v6
	v_and_b32_e32 v2, 7, v2
	v_cndmask_b32_e32 v3, v5, v3, vcc
	v_cndmask_b32_e32 v2, v4, v2, vcc
	v_lshlrev_b32_e32 v4, 24, v7
	v_bfrev_b32_e32 v5, 60
	v_lshlrev_b32_e32 v2, 20, v2
	v_and_b32_e32 v4, 0x80000000, v4
	v_lshl_add_u32 v3, v3, 23, v5
	v_or3_b32 v2, v4, v3, v2
.LBB6_21981:                            ;   in Loop: Header=BB6_20564 Depth=3
	s_or_b64 exec, exec, s[36:37]
.LBB6_21982:                            ;   in Loop: Header=BB6_20564 Depth=3
	s_or_b64 exec, exec, s[34:35]
.LBB6_21983:                            ;   in Loop: Header=BB6_20564 Depth=3
	s_or_b64 exec, exec, s[28:29]
	v_and_b32_e32 v14, 0xff, v61
	v_cmp_ne_u16_e32 vcc, 0, v14
	s_and_saveexec_b64 s[28:29], vcc
	s_cbranch_execz .LBB6_21989
; %bb.21984:                            ;   in Loop: Header=BB6_20564 Depth=3
	v_cmp_ne_u16_e32 vcc, s96, v14
	v_bfrev_b32_e32 v1, 1
	s_and_saveexec_b64 s[34:35], vcc
	s_cbranch_execz .LBB6_21988
; %bb.21985:                            ;   in Loop: Header=BB6_20564 Depth=3
	v_and_b32_e32 v3, 0x7f, v61
	v_cmp_ne_u32_e32 vcc, s86, v3
	v_mov_b32_e32 v1, 0x7f800001
	s_and_saveexec_b64 s[36:37], vcc
	s_cbranch_execz .LBB6_21987
; %bb.21986:                            ;   in Loop: Header=BB6_20564 Depth=3
	v_and_b32_e32 v1, 7, v14
	v_lshrrev_b32_e32 v5, 3, v3
	v_cmp_gt_u32_e32 vcc, 8, v3
	v_ffbh_u32_e32 v3, v1
	v_min_u32_e32 v6, 32, v3
	v_subrev_u32_e32 v3, 28, v6
	v_lshlrev_b64 v[3:4], v3, v[14:15]
	v_sub_u32_e32 v4, 29, v6
	v_and_b32_e32 v3, 7, v3
	v_cndmask_b32_e32 v4, v5, v4, vcc
	v_cndmask_b32_e32 v1, v1, v3, vcc
	v_lshlrev_b32_e32 v3, 24, v61
	v_bfrev_b32_e32 v5, 60
	v_lshlrev_b32_e32 v1, 20, v1
	v_and_b32_e32 v3, 0x80000000, v3
	v_lshl_add_u32 v4, v4, 23, v5
	v_or3_b32 v1, v3, v4, v1
.LBB6_21987:                            ;   in Loop: Header=BB6_20564 Depth=3
	s_or_b64 exec, exec, s[36:37]
.LBB6_21988:                            ;   in Loop: Header=BB6_20564 Depth=3
	s_or_b64 exec, exec, s[34:35]
.LBB6_21989:                            ;   in Loop: Header=BB6_20564 Depth=3
	s_or_b64 exec, exec, s[28:29]
	v_add_f32_e32 v2, v2, v1
	v_and_b32_e32 v3, 0x7f800000, v2
	v_mov_b32_e32 v4, v51
	v_cmp_ne_u64_e32 vcc, s[76:77], v[3:4]
                                        ; implicit-def: $vgpr7
	s_and_saveexec_b64 s[28:29], vcc
	s_xor_b64 s[34:35], exec, s[28:29]
	s_cbranch_execz .LBB6_22007
; %bb.21990:                            ;   in Loop: Header=BB6_20564 Depth=3
	v_and_b32_e32 v3, 0x7fffffff, v2
	v_mov_b32_e32 v4, v51
	v_cmp_gt_u64_e32 vcc, s[78:79], v[3:4]
	v_and_b32_sdwa v1, v2, s96 dst_sel:DWORD dst_unused:UNUSED_PAD src0_sel:BYTE_3 src1_sel:DWORD
                                        ; implicit-def: $vgpr7
	s_and_saveexec_b64 s[28:29], vcc
	s_xor_b64 s[36:37], exec, s[28:29]
	s_cbranch_execz .LBB6_22004
; %bb.21991:                            ;   in Loop: Header=BB6_20564 Depth=3
	v_cmp_ne_u32_e32 vcc, 0, v2
	v_mov_b32_e32 v7, 0
	s_and_saveexec_b64 s[38:39], vcc
	s_cbranch_execz .LBB6_22003
; %bb.21992:                            ;   in Loop: Header=BB6_20564 Depth=3
	v_and_b32_e32 v4, 0x7fffff, v2
	v_bfe_u32 v2, v2, 23, 8
	v_cmp_gt_u32_e64 s[28:29], s97, v2
	v_sub_u32_e32 v3, 0x79, v2
	v_cmp_eq_u32_e32 vcc, 0, v2
	v_cndmask_b32_e64 v3, 0, v3, s[28:29]
	v_mov_b32_e32 v6, 0x78
	v_cndmask_b32_e32 v3, v3, v6, vcc
	v_add_u32_e32 v6, 20, v3
	v_or_b32_e32 v5, 0x800000, v4
	v_lshlrev_b64 v[6:7], v6, -1
	v_add_u32_e32 v14, 19, v3
	v_cndmask_b32_e32 v4, v5, v4, vcc
	v_lshlrev_b64 v[14:15], v14, 1
	v_mov_b32_e32 v5, v51
	v_bfi_b32 v7, v7, 0, 0
	v_bfi_b32 v6, v6, 0, v4
	v_cmp_eq_u64_e64 s[28:29], v[6:7], v[14:15]
	v_lshrrev_b64 v[14:15], v3, v[4:5]
	v_mov_b32_e32 v16, v15
	v_mov_b32_e32 v15, v14
	s_and_saveexec_b64 s[48:49], s[28:29]
; %bb.21993:                            ;   in Loop: Header=BB6_20564 Depth=3
	v_bfe_u32 v4, v14, 20, 1
	v_add_co_u32_e64 v4, s[28:29], v14, v4
	v_add_co_u32_e64 v15, s[28:29], -1, v4
; %bb.21994:                            ;   in Loop: Header=BB6_20564 Depth=3
	s_or_b64 exec, exec, s[48:49]
	v_add_u32_e32 v2, 0xffffff81, v2
	v_mov_b32_e32 v4, 0xffffff82
	v_cndmask_b32_e32 v2, v2, v4, vcc
	v_lshrrev_b32_e32 v4, 23, v14
	v_add3_u32 v4, v3, v2, v4
	v_add_u32_e32 v3, 6, v4
	v_and_b32_e32 v2, 0xfffff, v15
	v_add_u32_e32 v14, v2, v14
	v_mov_b32_e32 v15, v51
	v_cmp_ne_u32_e32 vcc, 0, v3
                                        ; implicit-def: $vgpr2
	s_and_saveexec_b64 s[28:29], vcc
	s_xor_b64 s[28:29], exec, s[28:29]
; %bb.21995:                            ;   in Loop: Header=BB6_20564 Depth=3
	v_cmp_lt_u64_e32 vcc, s[88:89], v[14:15]
	v_add_u32_e32 v2, 7, v4
	v_cndmask_b32_e32 v2, v3, v2, vcc
	v_cndmask_b32_e64 v3, 0, 1, vcc
	v_lshrrev_b64 v[14:15], v3, v[14:15]
; %bb.21996:                            ;   in Loop: Header=BB6_20564 Depth=3
	s_andn2_saveexec_b64 s[28:29], s[28:29]
; %bb.21997:                            ;   in Loop: Header=BB6_20564 Depth=3
	v_bfe_u32 v2, v14, 23, 1
; %bb.21998:                            ;   in Loop: Header=BB6_20564 Depth=3
	s_or_b64 exec, exec, s[28:29]
	v_lshrrev_b64 v[3:4], 20, v[14:15]
	v_cmp_gt_i32_e32 vcc, 16, v2
	v_cndmask_b32_e32 v15, 0, v4, vcc
	v_cndmask_b32_e32 v14, 7, v3, vcc
	v_cmp_ne_u64_e32 vcc, 0, v[14:15]
	v_cmp_ne_u32_e64 s[28:29], 0, v2
	s_or_b64 s[28:29], s[28:29], vcc
                                        ; implicit-def: $vgpr7
	s_and_saveexec_b64 vcc, s[28:29]
	s_xor_b64 s[28:29], exec, vcc
; %bb.21999:                            ;   in Loop: Header=BB6_20564 Depth=3
	v_min_i32_e32 v2, 15, v2
	v_lshl_or_b32 v1, v2, 3, v1
	v_and_or_b32 v7, v14, 7, v1
                                        ; implicit-def: $vgpr1
; %bb.22000:                            ;   in Loop: Header=BB6_20564 Depth=3
	s_andn2_saveexec_b64 s[28:29], s[28:29]
; %bb.22001:                            ;   in Loop: Header=BB6_20564 Depth=3
	v_mov_b32_e32 v7, v1
; %bb.22002:                            ;   in Loop: Header=BB6_20564 Depth=3
	s_or_b64 exec, exec, s[28:29]
.LBB6_22003:                            ;   in Loop: Header=BB6_20564 Depth=3
	s_or_b64 exec, exec, s[38:39]
                                        ; implicit-def: $vgpr1
.LBB6_22004:                            ;   in Loop: Header=BB6_20564 Depth=3
	s_andn2_saveexec_b64 s[28:29], s[36:37]
; %bb.22005:                            ;   in Loop: Header=BB6_20564 Depth=3
	v_or_b32_e32 v7, 0x7e, v1
; %bb.22006:                            ;   in Loop: Header=BB6_20564 Depth=3
	s_or_b64 exec, exec, s[28:29]
                                        ; implicit-def: $vgpr2
.LBB6_22007:                            ;   in Loop: Header=BB6_20564 Depth=3
	s_andn2_saveexec_b64 s[28:29], s[34:35]
; %bb.22008:                            ;   in Loop: Header=BB6_20564 Depth=3
	v_or_b32_sdwa v7, v2, s86 dst_sel:DWORD dst_unused:UNUSED_PAD src0_sel:BYTE_3 src1_sel:DWORD
; %bb.22009:                            ;   in Loop: Header=BB6_20564 Depth=3
	s_or_b64 exec, exec, s[28:29]
	buffer_load_dword v1, off, s[0:3], s33 offset:140 ; 4-byte Folded Reload
	v_mov_b32_e32 v2, 0
	s_waitcnt vmcnt(0)
	v_and_b32_e32 v14, 0xff, v1
	v_cmp_ne_u16_e32 vcc, 0, v14
	v_mov_b32_e32 v1, 0
	s_and_saveexec_b64 s[28:29], vcc
	s_cbranch_execz .LBB6_22015
; %bb.22010:                            ;   in Loop: Header=BB6_20564 Depth=3
	v_cmp_ne_u16_e32 vcc, s96, v14
	v_bfrev_b32_e32 v2, 1
	s_and_saveexec_b64 s[34:35], vcc
	s_cbranch_execz .LBB6_22014
; %bb.22011:                            ;   in Loop: Header=BB6_20564 Depth=3
	buffer_load_dword v15, off, s[0:3], s33 offset:140 ; 4-byte Folded Reload
	v_mov_b32_e32 v2, 0x7f800001
	s_waitcnt vmcnt(0)
	v_and_b32_e32 v3, 0x7f, v15
	v_cmp_ne_u32_e32 vcc, s86, v3
	s_and_saveexec_b64 s[36:37], vcc
	s_cbranch_execz .LBB6_22013
; %bb.22012:                            ;   in Loop: Header=BB6_20564 Depth=3
	v_and_b32_e32 v4, 7, v14
	v_ffbh_u32_e32 v2, v4
	v_min_u32_e32 v6, 32, v2
	v_subrev_u32_e32 v2, 28, v6
	v_lshrrev_b32_e32 v5, 3, v3
	v_cmp_gt_u32_e32 vcc, 8, v3
	v_lshlrev_b64 v[2:3], v2, v[14:15]
	v_sub_u32_e32 v3, 29, v6
	v_and_b32_e32 v2, 7, v2
	v_cndmask_b32_e32 v3, v5, v3, vcc
	v_cndmask_b32_e32 v2, v4, v2, vcc
	v_lshlrev_b32_e32 v4, 24, v15
	v_bfrev_b32_e32 v5, 60
	v_lshlrev_b32_e32 v2, 20, v2
	v_and_b32_e32 v4, 0x80000000, v4
	v_lshl_add_u32 v3, v3, 23, v5
	v_or3_b32 v2, v4, v3, v2
.LBB6_22013:                            ;   in Loop: Header=BB6_20564 Depth=3
	s_or_b64 exec, exec, s[36:37]
.LBB6_22014:                            ;   in Loop: Header=BB6_20564 Depth=3
	s_or_b64 exec, exec, s[34:35]
.LBB6_22015:                            ;   in Loop: Header=BB6_20564 Depth=3
	s_or_b64 exec, exec, s[28:29]
	v_and_b32_e32 v14, 0xff, v60
	v_cmp_ne_u16_e32 vcc, 0, v14
	s_and_saveexec_b64 s[28:29], vcc
	s_cbranch_execz .LBB6_22021
; %bb.22016:                            ;   in Loop: Header=BB6_20564 Depth=3
	v_cmp_ne_u16_e32 vcc, s96, v14
	v_bfrev_b32_e32 v1, 1
	s_and_saveexec_b64 s[34:35], vcc
	s_cbranch_execz .LBB6_22020
; %bb.22017:                            ;   in Loop: Header=BB6_20564 Depth=3
	v_and_b32_e32 v3, 0x7f, v60
	v_cmp_ne_u32_e32 vcc, s86, v3
	v_mov_b32_e32 v1, 0x7f800001
	s_and_saveexec_b64 s[36:37], vcc
	s_cbranch_execz .LBB6_22019
; %bb.22018:                            ;   in Loop: Header=BB6_20564 Depth=3
	v_and_b32_e32 v1, 7, v14
	v_lshrrev_b32_e32 v5, 3, v3
	v_cmp_gt_u32_e32 vcc, 8, v3
	v_ffbh_u32_e32 v3, v1
	v_min_u32_e32 v6, 32, v3
	v_subrev_u32_e32 v3, 28, v6
	v_lshlrev_b64 v[3:4], v3, v[14:15]
	v_sub_u32_e32 v4, 29, v6
	v_and_b32_e32 v3, 7, v3
	v_cndmask_b32_e32 v4, v5, v4, vcc
	v_cndmask_b32_e32 v1, v1, v3, vcc
	v_lshlrev_b32_e32 v3, 24, v60
	v_bfrev_b32_e32 v5, 60
	v_lshlrev_b32_e32 v1, 20, v1
	v_and_b32_e32 v3, 0x80000000, v3
	v_lshl_add_u32 v4, v4, 23, v5
	v_or3_b32 v1, v3, v4, v1
.LBB6_22019:                            ;   in Loop: Header=BB6_20564 Depth=3
	s_or_b64 exec, exec, s[36:37]
.LBB6_22020:                            ;   in Loop: Header=BB6_20564 Depth=3
	s_or_b64 exec, exec, s[34:35]
.LBB6_22021:                            ;   in Loop: Header=BB6_20564 Depth=3
	s_or_b64 exec, exec, s[28:29]
	v_add_f32_e32 v2, v2, v1
	v_and_b32_e32 v3, 0x7f800000, v2
	v_mov_b32_e32 v4, v51
	v_cmp_ne_u64_e32 vcc, s[76:77], v[3:4]
                                        ; implicit-def: $vgpr6
	s_and_saveexec_b64 s[28:29], vcc
	s_xor_b64 s[34:35], exec, s[28:29]
	s_cbranch_execz .LBB6_22039
; %bb.22022:                            ;   in Loop: Header=BB6_20564 Depth=3
	v_and_b32_e32 v3, 0x7fffffff, v2
	v_mov_b32_e32 v4, v51
	v_cmp_gt_u64_e32 vcc, s[78:79], v[3:4]
	v_and_b32_sdwa v1, v2, s96 dst_sel:DWORD dst_unused:UNUSED_PAD src0_sel:BYTE_3 src1_sel:DWORD
                                        ; implicit-def: $vgpr6
	s_and_saveexec_b64 s[28:29], vcc
	s_xor_b64 s[36:37], exec, s[28:29]
	s_cbranch_execz .LBB6_22036
; %bb.22023:                            ;   in Loop: Header=BB6_20564 Depth=3
	v_cmp_ne_u32_e32 vcc, 0, v2
	v_mov_b32_e32 v6, 0
	s_and_saveexec_b64 s[38:39], vcc
	s_cbranch_execz .LBB6_22035
; %bb.22024:                            ;   in Loop: Header=BB6_20564 Depth=3
	v_and_b32_e32 v4, 0x7fffff, v2
	v_bfe_u32 v2, v2, 23, 8
	v_cmp_gt_u32_e64 s[28:29], s97, v2
	v_sub_u32_e32 v3, 0x79, v2
	v_cmp_eq_u32_e32 vcc, 0, v2
	v_cndmask_b32_e64 v3, 0, v3, s[28:29]
	v_mov_b32_e32 v6, 0x78
	v_cndmask_b32_e32 v3, v3, v6, vcc
	v_add_u32_e32 v6, 20, v3
	v_or_b32_e32 v5, 0x800000, v4
	v_lshlrev_b64 v[14:15], v6, -1
	v_add_u32_e32 v6, 19, v3
	v_cndmask_b32_e32 v4, v5, v4, vcc
	v_lshlrev_b64 v[16:17], v6, 1
	v_mov_b32_e32 v5, v51
	v_bfi_b32 v15, v15, 0, 0
	v_bfi_b32 v14, v14, 0, v4
	v_cmp_eq_u64_e64 s[28:29], v[14:15], v[16:17]
	v_lshrrev_b64 v[14:15], v3, v[4:5]
	v_mov_b32_e32 v16, v15
	v_mov_b32_e32 v15, v14
	s_and_saveexec_b64 s[48:49], s[28:29]
; %bb.22025:                            ;   in Loop: Header=BB6_20564 Depth=3
	v_bfe_u32 v4, v14, 20, 1
	v_add_co_u32_e64 v4, s[28:29], v14, v4
	v_add_co_u32_e64 v15, s[28:29], -1, v4
; %bb.22026:                            ;   in Loop: Header=BB6_20564 Depth=3
	s_or_b64 exec, exec, s[48:49]
	v_add_u32_e32 v2, 0xffffff81, v2
	v_mov_b32_e32 v4, 0xffffff82
	v_cndmask_b32_e32 v2, v2, v4, vcc
	v_lshrrev_b32_e32 v4, 23, v14
	v_add3_u32 v4, v3, v2, v4
	v_add_u32_e32 v3, 6, v4
	v_and_b32_e32 v2, 0xfffff, v15
	v_add_u32_e32 v14, v2, v14
	v_mov_b32_e32 v15, v51
	v_cmp_ne_u32_e32 vcc, 0, v3
                                        ; implicit-def: $vgpr2
	s_and_saveexec_b64 s[28:29], vcc
	s_xor_b64 s[28:29], exec, s[28:29]
; %bb.22027:                            ;   in Loop: Header=BB6_20564 Depth=3
	v_cmp_lt_u64_e32 vcc, s[88:89], v[14:15]
	v_add_u32_e32 v2, 7, v4
	v_cndmask_b32_e32 v2, v3, v2, vcc
	v_cndmask_b32_e64 v3, 0, 1, vcc
	v_lshrrev_b64 v[14:15], v3, v[14:15]
; %bb.22028:                            ;   in Loop: Header=BB6_20564 Depth=3
	s_andn2_saveexec_b64 s[28:29], s[28:29]
; %bb.22029:                            ;   in Loop: Header=BB6_20564 Depth=3
	v_bfe_u32 v2, v14, 23, 1
; %bb.22030:                            ;   in Loop: Header=BB6_20564 Depth=3
	s_or_b64 exec, exec, s[28:29]
	v_lshrrev_b64 v[3:4], 20, v[14:15]
	v_cmp_gt_i32_e32 vcc, 16, v2
	v_cndmask_b32_e32 v15, 0, v4, vcc
	v_cndmask_b32_e32 v14, 7, v3, vcc
	v_cmp_ne_u64_e32 vcc, 0, v[14:15]
	v_cmp_ne_u32_e64 s[28:29], 0, v2
	s_or_b64 s[28:29], s[28:29], vcc
                                        ; implicit-def: $vgpr6
	s_and_saveexec_b64 vcc, s[28:29]
	s_xor_b64 s[28:29], exec, vcc
; %bb.22031:                            ;   in Loop: Header=BB6_20564 Depth=3
	v_min_i32_e32 v2, 15, v2
	v_lshl_or_b32 v1, v2, 3, v1
	v_and_or_b32 v6, v14, 7, v1
                                        ; implicit-def: $vgpr1
; %bb.22032:                            ;   in Loop: Header=BB6_20564 Depth=3
	s_andn2_saveexec_b64 s[28:29], s[28:29]
; %bb.22033:                            ;   in Loop: Header=BB6_20564 Depth=3
	v_mov_b32_e32 v6, v1
; %bb.22034:                            ;   in Loop: Header=BB6_20564 Depth=3
	s_or_b64 exec, exec, s[28:29]
.LBB6_22035:                            ;   in Loop: Header=BB6_20564 Depth=3
	s_or_b64 exec, exec, s[38:39]
                                        ; implicit-def: $vgpr1
.LBB6_22036:                            ;   in Loop: Header=BB6_20564 Depth=3
	s_andn2_saveexec_b64 s[28:29], s[36:37]
; %bb.22037:                            ;   in Loop: Header=BB6_20564 Depth=3
	v_or_b32_e32 v6, 0x7e, v1
; %bb.22038:                            ;   in Loop: Header=BB6_20564 Depth=3
	s_or_b64 exec, exec, s[28:29]
                                        ; implicit-def: $vgpr2
.LBB6_22039:                            ;   in Loop: Header=BB6_20564 Depth=3
	s_andn2_saveexec_b64 s[28:29], s[34:35]
; %bb.22040:                            ;   in Loop: Header=BB6_20564 Depth=3
	v_or_b32_sdwa v6, v2, s86 dst_sel:DWORD dst_unused:UNUSED_PAD src0_sel:BYTE_3 src1_sel:DWORD
; %bb.22041:                            ;   in Loop: Header=BB6_20564 Depth=3
	s_or_b64 exec, exec, s[28:29]
	buffer_load_dword v1, off, s[0:3], s33 offset:136 ; 4-byte Folded Reload
	v_mov_b32_e32 v2, 0
	s_waitcnt vmcnt(0)
	v_and_b32_e32 v14, 0xff, v1
	v_cmp_ne_u16_e32 vcc, 0, v14
	v_mov_b32_e32 v1, 0
	s_and_saveexec_b64 s[28:29], vcc
	s_cbranch_execz .LBB6_22047
; %bb.22042:                            ;   in Loop: Header=BB6_20564 Depth=3
	v_cmp_ne_u16_e32 vcc, s96, v14
	v_bfrev_b32_e32 v2, 1
	s_and_saveexec_b64 s[34:35], vcc
	s_cbranch_execz .LBB6_22046
; %bb.22043:                            ;   in Loop: Header=BB6_20564 Depth=3
	buffer_load_dword v16, off, s[0:3], s33 offset:136 ; 4-byte Folded Reload
	v_mov_b32_e32 v2, 0x7f800001
	s_waitcnt vmcnt(0)
	v_and_b32_e32 v3, 0x7f, v16
	v_cmp_ne_u32_e32 vcc, s86, v3
	s_and_saveexec_b64 s[36:37], vcc
	s_cbranch_execz .LBB6_22045
; %bb.22044:                            ;   in Loop: Header=BB6_20564 Depth=3
	v_and_b32_e32 v4, 7, v14
	v_ffbh_u32_e32 v2, v4
	v_min_u32_e32 v15, 32, v2
	v_subrev_u32_e32 v2, 28, v15
	v_lshrrev_b32_e32 v5, 3, v3
	v_cmp_gt_u32_e32 vcc, 8, v3
	v_lshlrev_b64 v[2:3], v2, v[14:15]
	v_sub_u32_e32 v3, 29, v15
	v_and_b32_e32 v2, 7, v2
	v_cndmask_b32_e32 v3, v5, v3, vcc
	v_cndmask_b32_e32 v2, v4, v2, vcc
	v_lshlrev_b32_e32 v4, 24, v16
	v_bfrev_b32_e32 v5, 60
	v_lshlrev_b32_e32 v2, 20, v2
	v_and_b32_e32 v4, 0x80000000, v4
	v_lshl_add_u32 v3, v3, 23, v5
	v_or3_b32 v2, v4, v3, v2
.LBB6_22045:                            ;   in Loop: Header=BB6_20564 Depth=3
	s_or_b64 exec, exec, s[36:37]
.LBB6_22046:                            ;   in Loop: Header=BB6_20564 Depth=3
	s_or_b64 exec, exec, s[34:35]
.LBB6_22047:                            ;   in Loop: Header=BB6_20564 Depth=3
	s_or_b64 exec, exec, s[28:29]
	v_and_b32_e32 v14, 0xff, v59
	v_cmp_ne_u16_e32 vcc, 0, v14
	s_and_saveexec_b64 s[28:29], vcc
	s_cbranch_execz .LBB6_22053
; %bb.22048:                            ;   in Loop: Header=BB6_20564 Depth=3
	v_cmp_ne_u16_e32 vcc, s96, v14
	v_bfrev_b32_e32 v1, 1
	s_and_saveexec_b64 s[34:35], vcc
	s_cbranch_execz .LBB6_22052
; %bb.22049:                            ;   in Loop: Header=BB6_20564 Depth=3
	v_and_b32_e32 v3, 0x7f, v59
	v_cmp_ne_u32_e32 vcc, s86, v3
	v_mov_b32_e32 v1, 0x7f800001
	s_and_saveexec_b64 s[36:37], vcc
	s_cbranch_execz .LBB6_22051
; %bb.22050:                            ;   in Loop: Header=BB6_20564 Depth=3
	v_and_b32_e32 v1, 7, v14
	v_lshrrev_b32_e32 v5, 3, v3
	v_cmp_gt_u32_e32 vcc, 8, v3
	v_ffbh_u32_e32 v3, v1
	v_min_u32_e32 v15, 32, v3
	v_subrev_u32_e32 v3, 28, v15
	v_lshlrev_b64 v[3:4], v3, v[14:15]
	v_sub_u32_e32 v4, 29, v15
	v_and_b32_e32 v3, 7, v3
	v_cndmask_b32_e32 v4, v5, v4, vcc
	v_cndmask_b32_e32 v1, v1, v3, vcc
	v_lshlrev_b32_e32 v3, 24, v59
	v_bfrev_b32_e32 v5, 60
	v_lshlrev_b32_e32 v1, 20, v1
	v_and_b32_e32 v3, 0x80000000, v3
	v_lshl_add_u32 v4, v4, 23, v5
	v_or3_b32 v1, v3, v4, v1
.LBB6_22051:                            ;   in Loop: Header=BB6_20564 Depth=3
	s_or_b64 exec, exec, s[36:37]
.LBB6_22052:                            ;   in Loop: Header=BB6_20564 Depth=3
	s_or_b64 exec, exec, s[34:35]
.LBB6_22053:                            ;   in Loop: Header=BB6_20564 Depth=3
	s_or_b64 exec, exec, s[28:29]
	v_add_f32_e32 v3, v2, v1
	v_and_b32_e32 v1, 0x7f800000, v3
	v_mov_b32_e32 v2, v51
	v_cmp_ne_u64_e32 vcc, s[76:77], v[1:2]
                                        ; implicit-def: $vgpr2
	s_and_saveexec_b64 s[28:29], vcc
	s_xor_b64 s[34:35], exec, s[28:29]
	s_cbranch_execz .LBB6_22071
; %bb.22054:                            ;   in Loop: Header=BB6_20564 Depth=3
	v_and_b32_e32 v1, 0x7fffffff, v3
	v_mov_b32_e32 v2, v51
	v_cmp_gt_u64_e32 vcc, s[78:79], v[1:2]
	v_and_b32_sdwa v1, v3, s96 dst_sel:DWORD dst_unused:UNUSED_PAD src0_sel:BYTE_3 src1_sel:DWORD
                                        ; implicit-def: $vgpr2
	s_and_saveexec_b64 s[28:29], vcc
	s_xor_b64 s[36:37], exec, s[28:29]
	s_cbranch_execz .LBB6_22068
; %bb.22055:                            ;   in Loop: Header=BB6_20564 Depth=3
	v_cmp_ne_u32_e32 vcc, 0, v3
	v_mov_b32_e32 v2, 0
	s_and_saveexec_b64 s[38:39], vcc
	s_cbranch_execz .LBB6_22067
; %bb.22056:                            ;   in Loop: Header=BB6_20564 Depth=3
	v_bfe_u32 v2, v3, 23, 8
	v_and_b32_e32 v4, 0x7fffff, v3
	v_cmp_gt_u32_e64 s[28:29], s97, v2
	v_sub_u32_e32 v3, 0x79, v2
	v_cmp_eq_u32_e32 vcc, 0, v2
	v_cndmask_b32_e64 v3, 0, v3, s[28:29]
	v_mov_b32_e32 v14, 0x78
	v_cndmask_b32_e32 v3, v3, v14, vcc
	v_add_u32_e32 v14, 20, v3
	v_or_b32_e32 v5, 0x800000, v4
	v_lshlrev_b64 v[14:15], v14, -1
	v_add_u32_e32 v16, 19, v3
	v_cndmask_b32_e32 v4, v5, v4, vcc
	v_lshlrev_b64 v[16:17], v16, 1
	v_mov_b32_e32 v5, v51
	v_bfi_b32 v15, v15, 0, 0
	v_bfi_b32 v14, v14, 0, v4
	v_cmp_eq_u64_e64 s[28:29], v[14:15], v[16:17]
	v_lshrrev_b64 v[14:15], v3, v[4:5]
	v_mov_b32_e32 v16, v15
	v_mov_b32_e32 v15, v14
	s_and_saveexec_b64 s[48:49], s[28:29]
; %bb.22057:                            ;   in Loop: Header=BB6_20564 Depth=3
	v_bfe_u32 v4, v14, 20, 1
	v_add_co_u32_e64 v4, s[28:29], v14, v4
	v_add_co_u32_e64 v15, s[28:29], -1, v4
; %bb.22058:                            ;   in Loop: Header=BB6_20564 Depth=3
	s_or_b64 exec, exec, s[48:49]
	v_add_u32_e32 v2, 0xffffff81, v2
	v_mov_b32_e32 v4, 0xffffff82
	v_cndmask_b32_e32 v2, v2, v4, vcc
	v_lshrrev_b32_e32 v4, 23, v14
	v_add3_u32 v4, v3, v2, v4
	v_add_u32_e32 v2, 6, v4
	v_and_b32_e32 v3, 0xfffff, v15
	v_add_u32_e32 v14, v3, v14
	v_mov_b32_e32 v15, v51
	v_cmp_ne_u32_e32 vcc, 0, v2
                                        ; implicit-def: $vgpr3
	s_and_saveexec_b64 s[28:29], vcc
	s_xor_b64 s[28:29], exec, s[28:29]
; %bb.22059:                            ;   in Loop: Header=BB6_20564 Depth=3
	v_cmp_lt_u64_e32 vcc, s[88:89], v[14:15]
	v_add_u32_e32 v3, 7, v4
	v_cndmask_b32_e32 v3, v2, v3, vcc
	v_cndmask_b32_e64 v2, 0, 1, vcc
	v_lshrrev_b64 v[14:15], v2, v[14:15]
; %bb.22060:                            ;   in Loop: Header=BB6_20564 Depth=3
	s_andn2_saveexec_b64 s[28:29], s[28:29]
; %bb.22061:                            ;   in Loop: Header=BB6_20564 Depth=3
	v_bfe_u32 v3, v14, 23, 1
; %bb.22062:                            ;   in Loop: Header=BB6_20564 Depth=3
	s_or_b64 exec, exec, s[28:29]
	v_lshrrev_b64 v[4:5], 20, v[14:15]
	v_cmp_gt_i32_e32 vcc, 16, v3
	v_cndmask_b32_e32 v15, 0, v5, vcc
	v_cndmask_b32_e32 v14, 7, v4, vcc
	v_cmp_ne_u64_e32 vcc, 0, v[14:15]
	v_cmp_ne_u32_e64 s[28:29], 0, v3
	s_or_b64 s[28:29], s[28:29], vcc
                                        ; implicit-def: $vgpr2
	s_and_saveexec_b64 vcc, s[28:29]
	s_xor_b64 s[28:29], exec, vcc
; %bb.22063:                            ;   in Loop: Header=BB6_20564 Depth=3
	v_min_i32_e32 v2, 15, v3
	v_lshl_or_b32 v1, v2, 3, v1
	v_and_or_b32 v2, v14, 7, v1
                                        ; implicit-def: $vgpr1
; %bb.22064:                            ;   in Loop: Header=BB6_20564 Depth=3
	s_andn2_saveexec_b64 s[28:29], s[28:29]
; %bb.22065:                            ;   in Loop: Header=BB6_20564 Depth=3
	v_mov_b32_e32 v2, v1
; %bb.22066:                            ;   in Loop: Header=BB6_20564 Depth=3
	s_or_b64 exec, exec, s[28:29]
.LBB6_22067:                            ;   in Loop: Header=BB6_20564 Depth=3
	s_or_b64 exec, exec, s[38:39]
                                        ; implicit-def: $vgpr1
.LBB6_22068:                            ;   in Loop: Header=BB6_20564 Depth=3
	s_andn2_saveexec_b64 s[28:29], s[36:37]
; %bb.22069:                            ;   in Loop: Header=BB6_20564 Depth=3
	v_or_b32_e32 v2, 0x7e, v1
; %bb.22070:                            ;   in Loop: Header=BB6_20564 Depth=3
	s_or_b64 exec, exec, s[28:29]
                                        ; implicit-def: $vgpr3
.LBB6_22071:                            ;   in Loop: Header=BB6_20564 Depth=3
	s_andn2_saveexec_b64 s[28:29], s[34:35]
; %bb.22072:                            ;   in Loop: Header=BB6_20564 Depth=3
	v_or_b32_sdwa v2, v3, s86 dst_sel:DWORD dst_unused:UNUSED_PAD src0_sel:BYTE_3 src1_sel:DWORD
; %bb.22073:                            ;   in Loop: Header=BB6_20564 Depth=3
	s_or_b64 exec, exec, s[28:29]
	buffer_load_dword v1, off, s[0:3], s33 offset:132 ; 4-byte Folded Reload
	v_mov_b32_e32 v3, 0
	s_waitcnt vmcnt(0)
	v_and_b32_e32 v14, 0xff, v1
	v_cmp_ne_u16_e32 vcc, 0, v14
	v_mov_b32_e32 v1, 0
	s_and_saveexec_b64 s[28:29], vcc
	s_cbranch_execz .LBB6_22079
; %bb.22074:                            ;   in Loop: Header=BB6_20564 Depth=3
	v_cmp_ne_u16_e32 vcc, s96, v14
	v_bfrev_b32_e32 v3, 1
	s_and_saveexec_b64 s[34:35], vcc
	s_cbranch_execz .LBB6_22078
; %bb.22075:                            ;   in Loop: Header=BB6_20564 Depth=3
	buffer_load_dword v17, off, s[0:3], s33 offset:132 ; 4-byte Folded Reload
	v_mov_b32_e32 v3, 0x7f800001
	s_waitcnt vmcnt(0)
	v_and_b32_e32 v4, 0x7f, v17
	v_cmp_ne_u32_e32 vcc, s86, v4
	s_and_saveexec_b64 s[36:37], vcc
	s_cbranch_execz .LBB6_22077
; %bb.22076:                            ;   in Loop: Header=BB6_20564 Depth=3
	v_and_b32_e32 v5, 7, v14
	v_ffbh_u32_e32 v3, v5
	v_min_u32_e32 v16, 32, v3
	v_lshrrev_b32_e32 v15, 3, v4
	v_subrev_u32_e32 v3, 28, v16
	v_cmp_gt_u32_e32 vcc, 8, v4
	v_lshlrev_b64 v[3:4], v3, v[14:15]
	v_sub_u32_e32 v4, 29, v16
	v_and_b32_e32 v3, 7, v3
	v_cndmask_b32_e32 v4, v15, v4, vcc
	v_cndmask_b32_e32 v3, v5, v3, vcc
	v_lshlrev_b32_e32 v5, 24, v17
	v_bfrev_b32_e32 v14, 60
	v_lshlrev_b32_e32 v3, 20, v3
	v_and_b32_e32 v5, 0x80000000, v5
	v_lshl_add_u32 v4, v4, 23, v14
	v_or3_b32 v3, v5, v4, v3
.LBB6_22077:                            ;   in Loop: Header=BB6_20564 Depth=3
	s_or_b64 exec, exec, s[36:37]
.LBB6_22078:                            ;   in Loop: Header=BB6_20564 Depth=3
	s_or_b64 exec, exec, s[34:35]
.LBB6_22079:                            ;   in Loop: Header=BB6_20564 Depth=3
	s_or_b64 exec, exec, s[28:29]
	v_and_b32_e32 v14, 0xff, v58
	v_cmp_ne_u16_e32 vcc, 0, v14
	s_and_saveexec_b64 s[28:29], vcc
	s_cbranch_execz .LBB6_22085
; %bb.22080:                            ;   in Loop: Header=BB6_20564 Depth=3
	v_cmp_ne_u16_e32 vcc, s96, v14
	v_bfrev_b32_e32 v1, 1
	s_and_saveexec_b64 s[34:35], vcc
	s_cbranch_execz .LBB6_22084
; %bb.22081:                            ;   in Loop: Header=BB6_20564 Depth=3
	v_and_b32_e32 v4, 0x7f, v58
	v_cmp_ne_u32_e32 vcc, s86, v4
	v_mov_b32_e32 v1, 0x7f800001
	s_and_saveexec_b64 s[36:37], vcc
	s_cbranch_execz .LBB6_22083
; %bb.22082:                            ;   in Loop: Header=BB6_20564 Depth=3
	v_and_b32_e32 v1, 7, v14
	v_lshrrev_b32_e32 v15, 3, v4
	v_cmp_gt_u32_e32 vcc, 8, v4
	v_ffbh_u32_e32 v4, v1
	v_min_u32_e32 v16, 32, v4
	v_subrev_u32_e32 v4, 28, v16
	v_lshlrev_b64 v[4:5], v4, v[14:15]
	v_sub_u32_e32 v5, 29, v16
	v_and_b32_e32 v4, 7, v4
	v_cndmask_b32_e32 v5, v15, v5, vcc
	v_cndmask_b32_e32 v1, v1, v4, vcc
	v_lshlrev_b32_e32 v4, 24, v58
	v_bfrev_b32_e32 v14, 60
	v_lshlrev_b32_e32 v1, 20, v1
	v_and_b32_e32 v4, 0x80000000, v4
	v_lshl_add_u32 v5, v5, 23, v14
	v_or3_b32 v1, v4, v5, v1
.LBB6_22083:                            ;   in Loop: Header=BB6_20564 Depth=3
	s_or_b64 exec, exec, s[36:37]
.LBB6_22084:                            ;   in Loop: Header=BB6_20564 Depth=3
	s_or_b64 exec, exec, s[34:35]
.LBB6_22085:                            ;   in Loop: Header=BB6_20564 Depth=3
	s_or_b64 exec, exec, s[28:29]
	v_add_f32_e32 v3, v3, v1
	v_and_b32_e32 v4, 0x7f800000, v3
	v_mov_b32_e32 v5, v51
	v_cmp_ne_u64_e32 vcc, s[76:77], v[4:5]
                                        ; implicit-def: $vgpr17
	s_and_saveexec_b64 s[28:29], vcc
	s_xor_b64 s[34:35], exec, s[28:29]
	s_cbranch_execz .LBB6_22103
; %bb.22086:                            ;   in Loop: Header=BB6_20564 Depth=3
	v_and_b32_e32 v4, 0x7fffffff, v3
	v_mov_b32_e32 v5, v51
	v_cmp_gt_u64_e32 vcc, s[78:79], v[4:5]
	v_and_b32_sdwa v1, v3, s96 dst_sel:DWORD dst_unused:UNUSED_PAD src0_sel:BYTE_3 src1_sel:DWORD
                                        ; implicit-def: $vgpr17
	s_and_saveexec_b64 s[28:29], vcc
	s_xor_b64 s[36:37], exec, s[28:29]
	s_cbranch_execz .LBB6_22100
; %bb.22087:                            ;   in Loop: Header=BB6_20564 Depth=3
	v_cmp_ne_u32_e32 vcc, 0, v3
	v_mov_b32_e32 v17, 0
	s_and_saveexec_b64 s[38:39], vcc
	s_cbranch_execz .LBB6_22099
; %bb.22088:                            ;   in Loop: Header=BB6_20564 Depth=3
	v_and_b32_e32 v5, 0x7fffff, v3
	v_bfe_u32 v3, v3, 23, 8
	v_cmp_gt_u32_e64 s[28:29], s97, v3
	v_sub_u32_e32 v4, 0x79, v3
	v_cmp_eq_u32_e32 vcc, 0, v3
	v_cndmask_b32_e64 v4, 0, v4, s[28:29]
	v_mov_b32_e32 v15, 0x78
	v_or_b32_e32 v14, 0x800000, v5
	v_cndmask_b32_e32 v4, v4, v15, vcc
	v_cndmask_b32_e32 v14, v14, v5, vcc
	v_add_u32_e32 v5, 20, v4
	v_lshlrev_b64 v[16:17], v5, -1
	v_mov_b32_e32 v15, v51
	v_add_u32_e32 v5, 19, v4
	v_bfi_b32 v16, v16, 0, v14
	v_lshlrev_b64 v[20:21], v5, 1
	v_lshrrev_b64 v[14:15], v4, v[14:15]
	v_bfi_b32 v17, v17, 0, 0
	v_cmp_eq_u64_e64 s[28:29], v[16:17], v[20:21]
	v_mov_b32_e32 v16, v15
	v_mov_b32_e32 v15, v14
	s_and_saveexec_b64 s[48:49], s[28:29]
; %bb.22089:                            ;   in Loop: Header=BB6_20564 Depth=3
	v_bfe_u32 v5, v14, 20, 1
	v_add_co_u32_e64 v5, s[28:29], v14, v5
	v_add_co_u32_e64 v15, s[28:29], -1, v5
; %bb.22090:                            ;   in Loop: Header=BB6_20564 Depth=3
	s_or_b64 exec, exec, s[48:49]
	v_add_u32_e32 v3, 0xffffff81, v3
	v_mov_b32_e32 v5, 0xffffff82
	v_cndmask_b32_e32 v3, v3, v5, vcc
	v_lshrrev_b32_e32 v5, 23, v14
	v_add3_u32 v5, v4, v3, v5
	v_add_u32_e32 v4, 6, v5
	v_and_b32_e32 v3, 0xfffff, v15
	v_add_u32_e32 v14, v3, v14
	v_mov_b32_e32 v15, v51
	v_cmp_ne_u32_e32 vcc, 0, v4
                                        ; implicit-def: $vgpr3
	s_and_saveexec_b64 s[28:29], vcc
	s_xor_b64 s[28:29], exec, s[28:29]
; %bb.22091:                            ;   in Loop: Header=BB6_20564 Depth=3
	v_cmp_lt_u64_e32 vcc, s[88:89], v[14:15]
	v_add_u32_e32 v3, 7, v5
	v_cndmask_b32_e32 v3, v4, v3, vcc
	v_cndmask_b32_e64 v4, 0, 1, vcc
	v_lshrrev_b64 v[14:15], v4, v[14:15]
; %bb.22092:                            ;   in Loop: Header=BB6_20564 Depth=3
	s_andn2_saveexec_b64 s[28:29], s[28:29]
; %bb.22093:                            ;   in Loop: Header=BB6_20564 Depth=3
	v_bfe_u32 v3, v14, 23, 1
; %bb.22094:                            ;   in Loop: Header=BB6_20564 Depth=3
	s_or_b64 exec, exec, s[28:29]
	v_lshrrev_b64 v[4:5], 20, v[14:15]
	v_cmp_gt_i32_e32 vcc, 16, v3
	v_cndmask_b32_e32 v15, 0, v5, vcc
	v_cndmask_b32_e32 v14, 7, v4, vcc
	v_cmp_ne_u64_e32 vcc, 0, v[14:15]
	v_cmp_ne_u32_e64 s[28:29], 0, v3
	s_or_b64 s[28:29], s[28:29], vcc
                                        ; implicit-def: $vgpr17
	s_and_saveexec_b64 vcc, s[28:29]
	s_xor_b64 s[28:29], exec, vcc
; %bb.22095:                            ;   in Loop: Header=BB6_20564 Depth=3
	v_min_i32_e32 v3, 15, v3
	v_lshl_or_b32 v1, v3, 3, v1
	v_and_or_b32 v17, v14, 7, v1
                                        ; implicit-def: $vgpr1
; %bb.22096:                            ;   in Loop: Header=BB6_20564 Depth=3
	s_andn2_saveexec_b64 s[28:29], s[28:29]
; %bb.22097:                            ;   in Loop: Header=BB6_20564 Depth=3
	v_mov_b32_e32 v17, v1
; %bb.22098:                            ;   in Loop: Header=BB6_20564 Depth=3
	s_or_b64 exec, exec, s[28:29]
.LBB6_22099:                            ;   in Loop: Header=BB6_20564 Depth=3
	s_or_b64 exec, exec, s[38:39]
                                        ; implicit-def: $vgpr1
.LBB6_22100:                            ;   in Loop: Header=BB6_20564 Depth=3
	s_andn2_saveexec_b64 s[28:29], s[36:37]
; %bb.22101:                            ;   in Loop: Header=BB6_20564 Depth=3
	v_or_b32_e32 v17, 0x7e, v1
; %bb.22102:                            ;   in Loop: Header=BB6_20564 Depth=3
	s_or_b64 exec, exec, s[28:29]
                                        ; implicit-def: $vgpr3
.LBB6_22103:                            ;   in Loop: Header=BB6_20564 Depth=3
	s_andn2_saveexec_b64 s[28:29], s[34:35]
; %bb.22104:                            ;   in Loop: Header=BB6_20564 Depth=3
	v_or_b32_sdwa v17, v3, s86 dst_sel:DWORD dst_unused:UNUSED_PAD src0_sel:BYTE_3 src1_sel:DWORD
; %bb.22105:                            ;   in Loop: Header=BB6_20564 Depth=3
	s_or_b64 exec, exec, s[28:29]
	buffer_load_dword v1, off, s[0:3], s33 offset:128 ; 4-byte Folded Reload
	v_mov_b32_e32 v3, 0
	s_waitcnt vmcnt(0)
	v_and_b32_e32 v14, 0xff, v1
	v_cmp_ne_u16_e32 vcc, 0, v14
	v_mov_b32_e32 v1, 0
	s_and_saveexec_b64 s[28:29], vcc
	s_cbranch_execz .LBB6_22111
; %bb.22106:                            ;   in Loop: Header=BB6_20564 Depth=3
	v_cmp_ne_u16_e32 vcc, s96, v14
	v_bfrev_b32_e32 v3, 1
	s_and_saveexec_b64 s[34:35], vcc
	s_cbranch_execz .LBB6_22110
; %bb.22107:                            ;   in Loop: Header=BB6_20564 Depth=3
	buffer_load_dword v20, off, s[0:3], s33 offset:128 ; 4-byte Folded Reload
	v_mov_b32_e32 v3, 0x7f800001
	s_waitcnt vmcnt(0)
	v_and_b32_e32 v4, 0x7f, v20
	v_cmp_ne_u32_e32 vcc, s86, v4
	s_and_saveexec_b64 s[36:37], vcc
	s_cbranch_execz .LBB6_22109
; %bb.22108:                            ;   in Loop: Header=BB6_20564 Depth=3
	v_and_b32_e32 v5, 7, v14
	v_ffbh_u32_e32 v3, v5
	v_min_u32_e32 v16, 32, v3
	v_lshrrev_b32_e32 v15, 3, v4
	v_subrev_u32_e32 v3, 28, v16
	v_cmp_gt_u32_e32 vcc, 8, v4
	v_lshlrev_b64 v[3:4], v3, v[14:15]
	v_sub_u32_e32 v4, 29, v16
	v_and_b32_e32 v3, 7, v3
	v_cndmask_b32_e32 v4, v15, v4, vcc
	v_cndmask_b32_e32 v3, v5, v3, vcc
	v_lshlrev_b32_e32 v5, 24, v20
	v_bfrev_b32_e32 v14, 60
	v_lshlrev_b32_e32 v3, 20, v3
	v_and_b32_e32 v5, 0x80000000, v5
	v_lshl_add_u32 v4, v4, 23, v14
	v_or3_b32 v3, v5, v4, v3
.LBB6_22109:                            ;   in Loop: Header=BB6_20564 Depth=3
	s_or_b64 exec, exec, s[36:37]
.LBB6_22110:                            ;   in Loop: Header=BB6_20564 Depth=3
	s_or_b64 exec, exec, s[34:35]
.LBB6_22111:                            ;   in Loop: Header=BB6_20564 Depth=3
	s_or_b64 exec, exec, s[28:29]
	v_and_b32_e32 v14, 0xff, v57
	v_cmp_ne_u16_e32 vcc, 0, v14
	s_and_saveexec_b64 s[28:29], vcc
	s_cbranch_execz .LBB6_22117
; %bb.22112:                            ;   in Loop: Header=BB6_20564 Depth=3
	v_cmp_ne_u16_e32 vcc, s96, v14
	v_bfrev_b32_e32 v1, 1
	s_and_saveexec_b64 s[34:35], vcc
	s_cbranch_execz .LBB6_22116
; %bb.22113:                            ;   in Loop: Header=BB6_20564 Depth=3
	v_and_b32_e32 v4, 0x7f, v57
	v_cmp_ne_u32_e32 vcc, s86, v4
	v_mov_b32_e32 v1, 0x7f800001
	s_and_saveexec_b64 s[36:37], vcc
	s_cbranch_execz .LBB6_22115
; %bb.22114:                            ;   in Loop: Header=BB6_20564 Depth=3
	v_and_b32_e32 v1, 7, v14
	v_lshrrev_b32_e32 v15, 3, v4
	v_cmp_gt_u32_e32 vcc, 8, v4
	v_ffbh_u32_e32 v4, v1
	v_min_u32_e32 v16, 32, v4
	v_subrev_u32_e32 v4, 28, v16
	v_lshlrev_b64 v[4:5], v4, v[14:15]
	v_sub_u32_e32 v5, 29, v16
	v_and_b32_e32 v4, 7, v4
	v_cndmask_b32_e32 v5, v15, v5, vcc
	v_cndmask_b32_e32 v1, v1, v4, vcc
	v_lshlrev_b32_e32 v4, 24, v57
	v_bfrev_b32_e32 v14, 60
	v_lshlrev_b32_e32 v1, 20, v1
	v_and_b32_e32 v4, 0x80000000, v4
	v_lshl_add_u32 v5, v5, 23, v14
	v_or3_b32 v1, v4, v5, v1
.LBB6_22115:                            ;   in Loop: Header=BB6_20564 Depth=3
	s_or_b64 exec, exec, s[36:37]
.LBB6_22116:                            ;   in Loop: Header=BB6_20564 Depth=3
	s_or_b64 exec, exec, s[34:35]
.LBB6_22117:                            ;   in Loop: Header=BB6_20564 Depth=3
	s_or_b64 exec, exec, s[28:29]
	v_add_f32_e32 v4, v3, v1
	v_and_b32_e32 v14, 0x7f800000, v4
	v_mov_b32_e32 v15, v51
	v_cmp_ne_u64_e32 vcc, s[76:77], v[14:15]
                                        ; implicit-def: $vgpr1
	s_and_saveexec_b64 s[28:29], vcc
	s_xor_b64 s[34:35], exec, s[28:29]
	s_cbranch_execz .LBB6_22135
; %bb.22118:                            ;   in Loop: Header=BB6_20564 Depth=3
	v_and_b32_e32 v14, 0x7fffffff, v4
	v_mov_b32_e32 v15, v51
	v_cmp_gt_u64_e32 vcc, s[78:79], v[14:15]
	v_and_b32_sdwa v3, v4, s96 dst_sel:DWORD dst_unused:UNUSED_PAD src0_sel:BYTE_3 src1_sel:DWORD
                                        ; implicit-def: $vgpr1
	s_and_saveexec_b64 s[28:29], vcc
	s_xor_b64 s[36:37], exec, s[28:29]
	s_cbranch_execz .LBB6_22132
; %bb.22119:                            ;   in Loop: Header=BB6_20564 Depth=3
	v_cmp_ne_u32_e32 vcc, 0, v4
	v_mov_b32_e32 v1, 0
	s_and_saveexec_b64 s[38:39], vcc
	s_cbranch_execz .LBB6_22131
; %bb.22120:                            ;   in Loop: Header=BB6_20564 Depth=3
	v_bfe_u32 v1, v4, 23, 8
	v_and_b32_e32 v5, 0x7fffff, v4
	v_cmp_gt_u32_e64 s[28:29], s97, v1
	v_sub_u32_e32 v4, 0x79, v1
	v_cmp_eq_u32_e32 vcc, 0, v1
	v_cndmask_b32_e64 v4, 0, v4, s[28:29]
	v_mov_b32_e32 v15, 0x78
	v_or_b32_e32 v14, 0x800000, v5
	v_cndmask_b32_e32 v4, v4, v15, vcc
	v_cndmask_b32_e32 v14, v14, v5, vcc
	v_add_u32_e32 v5, 20, v4
	v_lshlrev_b64 v[20:21], v5, -1
	v_mov_b32_e32 v15, v51
	v_add_u32_e32 v5, 19, v4
	v_bfi_b32 v20, v20, 0, v14
	v_lshlrev_b64 v[22:23], v5, 1
	v_lshrrev_b64 v[14:15], v4, v[14:15]
	v_bfi_b32 v21, v21, 0, 0
	v_cmp_eq_u64_e64 s[28:29], v[20:21], v[22:23]
	v_mov_b32_e32 v16, v15
	v_mov_b32_e32 v15, v14
	s_and_saveexec_b64 s[48:49], s[28:29]
; %bb.22121:                            ;   in Loop: Header=BB6_20564 Depth=3
	v_bfe_u32 v5, v14, 20, 1
	v_add_co_u32_e64 v5, s[28:29], v14, v5
	v_add_co_u32_e64 v15, s[28:29], -1, v5
; %bb.22122:                            ;   in Loop: Header=BB6_20564 Depth=3
	s_or_b64 exec, exec, s[48:49]
	v_add_u32_e32 v1, 0xffffff81, v1
	v_mov_b32_e32 v5, 0xffffff82
	v_cndmask_b32_e32 v1, v1, v5, vcc
	v_lshrrev_b32_e32 v5, 23, v14
	v_add3_u32 v5, v4, v1, v5
	v_add_u32_e32 v1, 6, v5
	v_and_b32_e32 v4, 0xfffff, v15
	v_add_u32_e32 v14, v4, v14
	v_mov_b32_e32 v15, v51
	v_cmp_ne_u32_e32 vcc, 0, v1
                                        ; implicit-def: $vgpr4
	s_and_saveexec_b64 s[28:29], vcc
	s_xor_b64 s[28:29], exec, s[28:29]
; %bb.22123:                            ;   in Loop: Header=BB6_20564 Depth=3
	v_cmp_lt_u64_e32 vcc, s[88:89], v[14:15]
	v_add_u32_e32 v4, 7, v5
	v_cndmask_b32_e32 v4, v1, v4, vcc
	v_cndmask_b32_e64 v1, 0, 1, vcc
	v_lshrrev_b64 v[14:15], v1, v[14:15]
; %bb.22124:                            ;   in Loop: Header=BB6_20564 Depth=3
	s_andn2_saveexec_b64 s[28:29], s[28:29]
; %bb.22125:                            ;   in Loop: Header=BB6_20564 Depth=3
	v_bfe_u32 v4, v14, 23, 1
; %bb.22126:                            ;   in Loop: Header=BB6_20564 Depth=3
	s_or_b64 exec, exec, s[28:29]
	v_lshrrev_b64 v[14:15], 20, v[14:15]
	v_cmp_gt_i32_e32 vcc, 16, v4
	v_cndmask_b32_e32 v15, 0, v15, vcc
	v_cndmask_b32_e32 v14, 7, v14, vcc
	v_cmp_ne_u64_e32 vcc, 0, v[14:15]
	v_cmp_ne_u32_e64 s[28:29], 0, v4
	s_or_b64 s[28:29], s[28:29], vcc
                                        ; implicit-def: $vgpr1
	s_and_saveexec_b64 vcc, s[28:29]
	s_xor_b64 s[28:29], exec, vcc
; %bb.22127:                            ;   in Loop: Header=BB6_20564 Depth=3
	v_min_i32_e32 v1, 15, v4
	v_lshl_or_b32 v1, v1, 3, v3
	v_and_or_b32 v1, v14, 7, v1
                                        ; implicit-def: $vgpr3
; %bb.22128:                            ;   in Loop: Header=BB6_20564 Depth=3
	s_andn2_saveexec_b64 s[28:29], s[28:29]
; %bb.22129:                            ;   in Loop: Header=BB6_20564 Depth=3
	v_mov_b32_e32 v1, v3
; %bb.22130:                            ;   in Loop: Header=BB6_20564 Depth=3
	s_or_b64 exec, exec, s[28:29]
.LBB6_22131:                            ;   in Loop: Header=BB6_20564 Depth=3
	s_or_b64 exec, exec, s[38:39]
                                        ; implicit-def: $vgpr3
.LBB6_22132:                            ;   in Loop: Header=BB6_20564 Depth=3
	s_andn2_saveexec_b64 s[28:29], s[36:37]
; %bb.22133:                            ;   in Loop: Header=BB6_20564 Depth=3
	v_or_b32_e32 v1, 0x7e, v3
; %bb.22134:                            ;   in Loop: Header=BB6_20564 Depth=3
	s_or_b64 exec, exec, s[28:29]
                                        ; implicit-def: $vgpr4
.LBB6_22135:                            ;   in Loop: Header=BB6_20564 Depth=3
	s_andn2_saveexec_b64 s[28:29], s[34:35]
; %bb.22136:                            ;   in Loop: Header=BB6_20564 Depth=3
	v_or_b32_sdwa v1, v4, s86 dst_sel:DWORD dst_unused:UNUSED_PAD src0_sel:BYTE_3 src1_sel:DWORD
; %bb.22137:                            ;   in Loop: Header=BB6_20564 Depth=3
	s_or_b64 exec, exec, s[28:29]
	buffer_load_dword v3, off, s[0:3], s33 offset:124 ; 4-byte Folded Reload
	v_mov_b32_e32 v4, 0
	s_waitcnt vmcnt(0)
	v_and_b32_e32 v14, 0xff, v3
	v_cmp_ne_u16_e32 vcc, 0, v14
	v_mov_b32_e32 v3, 0
	s_and_saveexec_b64 s[28:29], vcc
	s_cbranch_execz .LBB6_22143
; %bb.22138:                            ;   in Loop: Header=BB6_20564 Depth=3
	v_cmp_ne_u16_e32 vcc, s96, v14
	v_bfrev_b32_e32 v4, 1
	s_and_saveexec_b64 s[34:35], vcc
	s_cbranch_execz .LBB6_22142
; %bb.22139:                            ;   in Loop: Header=BB6_20564 Depth=3
	buffer_load_dword v21, off, s[0:3], s33 offset:124 ; 4-byte Folded Reload
	v_mov_b32_e32 v4, 0x7f800001
	s_waitcnt vmcnt(0)
	v_and_b32_e32 v5, 0x7f, v21
	v_cmp_ne_u32_e32 vcc, s86, v5
	s_and_saveexec_b64 s[36:37], vcc
	s_cbranch_execz .LBB6_22141
; %bb.22140:                            ;   in Loop: Header=BB6_20564 Depth=3
	v_and_b32_e32 v15, 7, v14
	v_ffbh_u32_e32 v4, v15
	v_min_u32_e32 v20, 32, v4
	v_subrev_u32_e32 v4, 28, v20
	v_lshrrev_b32_e32 v16, 3, v5
	v_cmp_gt_u32_e32 vcc, 8, v5
	v_lshlrev_b64 v[4:5], v4, v[14:15]
	v_sub_u32_e32 v5, 29, v20
	v_and_b32_e32 v4, 7, v4
	v_cndmask_b32_e32 v5, v16, v5, vcc
	v_cndmask_b32_e32 v4, v15, v4, vcc
	v_lshlrev_b32_e32 v14, 24, v21
	v_bfrev_b32_e32 v15, 60
	v_lshlrev_b32_e32 v4, 20, v4
	v_and_b32_e32 v14, 0x80000000, v14
	v_lshl_add_u32 v5, v5, 23, v15
	v_or3_b32 v4, v14, v5, v4
.LBB6_22141:                            ;   in Loop: Header=BB6_20564 Depth=3
	s_or_b64 exec, exec, s[36:37]
.LBB6_22142:                            ;   in Loop: Header=BB6_20564 Depth=3
	s_or_b64 exec, exec, s[34:35]
.LBB6_22143:                            ;   in Loop: Header=BB6_20564 Depth=3
	s_or_b64 exec, exec, s[28:29]
	v_and_b32_e32 v14, 0xff, v56
	v_cmp_ne_u16_e32 vcc, 0, v14
	s_and_saveexec_b64 s[28:29], vcc
	s_cbranch_execz .LBB6_22149
; %bb.22144:                            ;   in Loop: Header=BB6_20564 Depth=3
	v_cmp_ne_u16_e32 vcc, s96, v14
	v_bfrev_b32_e32 v3, 1
	s_and_saveexec_b64 s[34:35], vcc
	s_cbranch_execz .LBB6_22148
; %bb.22145:                            ;   in Loop: Header=BB6_20564 Depth=3
	v_and_b32_e32 v5, 0x7f, v56
	v_cmp_ne_u32_e32 vcc, s86, v5
	v_mov_b32_e32 v3, 0x7f800001
	s_and_saveexec_b64 s[36:37], vcc
	s_cbranch_execz .LBB6_22147
; %bb.22146:                            ;   in Loop: Header=BB6_20564 Depth=3
	v_and_b32_e32 v3, 7, v14
	v_lshrrev_b32_e32 v16, 3, v5
	v_cmp_gt_u32_e32 vcc, 8, v5
	v_ffbh_u32_e32 v5, v3
	v_min_u32_e32 v5, 32, v5
	v_subrev_u32_e32 v15, 28, v5
	v_lshlrev_b64 v[14:15], v15, v[14:15]
	v_sub_u32_e32 v5, 29, v5
	v_and_b32_e32 v14, 7, v14
	v_cndmask_b32_e32 v5, v16, v5, vcc
	v_cndmask_b32_e32 v3, v3, v14, vcc
	v_lshlrev_b32_e32 v14, 24, v56
	v_bfrev_b32_e32 v15, 60
	v_lshlrev_b32_e32 v3, 20, v3
	v_and_b32_e32 v14, 0x80000000, v14
	v_lshl_add_u32 v5, v5, 23, v15
	v_or3_b32 v3, v14, v5, v3
.LBB6_22147:                            ;   in Loop: Header=BB6_20564 Depth=3
	s_or_b64 exec, exec, s[36:37]
.LBB6_22148:                            ;   in Loop: Header=BB6_20564 Depth=3
	s_or_b64 exec, exec, s[34:35]
.LBB6_22149:                            ;   in Loop: Header=BB6_20564 Depth=3
	s_or_b64 exec, exec, s[28:29]
	v_add_f32_e32 v5, v4, v3
	v_and_b32_e32 v3, 0x7f800000, v5
	v_mov_b32_e32 v4, v51
	v_cmp_ne_u64_e32 vcc, s[76:77], v[3:4]
                                        ; implicit-def: $vgpr3
	s_and_saveexec_b64 s[28:29], vcc
	s_xor_b64 s[34:35], exec, s[28:29]
	s_cbranch_execz .LBB6_22167
; %bb.22150:                            ;   in Loop: Header=BB6_20564 Depth=3
	v_and_b32_e32 v3, 0x7fffffff, v5
	v_mov_b32_e32 v4, v51
	v_cmp_gt_u64_e32 vcc, s[78:79], v[3:4]
	v_and_b32_sdwa v4, v5, s96 dst_sel:DWORD dst_unused:UNUSED_PAD src0_sel:BYTE_3 src1_sel:DWORD
                                        ; implicit-def: $vgpr3
	s_and_saveexec_b64 s[28:29], vcc
	s_xor_b64 s[36:37], exec, s[28:29]
	s_cbranch_execz .LBB6_22164
; %bb.22151:                            ;   in Loop: Header=BB6_20564 Depth=3
	v_cmp_ne_u32_e32 vcc, 0, v5
	v_mov_b32_e32 v3, 0
	s_and_saveexec_b64 s[38:39], vcc
	s_cbranch_execz .LBB6_22163
; %bb.22152:                            ;   in Loop: Header=BB6_20564 Depth=3
	v_bfe_u32 v3, v5, 23, 8
	v_and_b32_e32 v14, 0x7fffff, v5
	v_cmp_gt_u32_e64 s[28:29], s97, v3
	v_sub_u32_e32 v5, 0x79, v3
	v_cmp_eq_u32_e32 vcc, 0, v3
	v_cndmask_b32_e64 v5, 0, v5, s[28:29]
	v_mov_b32_e32 v16, 0x78
	v_cndmask_b32_e32 v5, v5, v16, vcc
	v_add_u32_e32 v16, 20, v5
	v_or_b32_e32 v15, 0x800000, v14
	v_lshlrev_b64 v[20:21], v16, -1
	v_cndmask_b32_e32 v14, v15, v14, vcc
	v_mov_b32_e32 v15, v51
	v_add_u32_e32 v16, 19, v5
	v_bfi_b32 v20, v20, 0, v14
	v_lshlrev_b64 v[22:23], v16, 1
	v_lshrrev_b64 v[14:15], v5, v[14:15]
	v_bfi_b32 v21, v21, 0, 0
	v_cmp_eq_u64_e64 s[28:29], v[20:21], v[22:23]
	v_mov_b32_e32 v16, v15
	v_mov_b32_e32 v15, v14
	s_and_saveexec_b64 s[48:49], s[28:29]
; %bb.22153:                            ;   in Loop: Header=BB6_20564 Depth=3
	v_bfe_u32 v15, v14, 20, 1
	v_add_co_u32_e64 v15, s[28:29], v14, v15
	v_add_co_u32_e64 v15, s[28:29], -1, v15
; %bb.22154:                            ;   in Loop: Header=BB6_20564 Depth=3
	s_or_b64 exec, exec, s[48:49]
	v_add_u32_e32 v3, 0xffffff81, v3
	v_mov_b32_e32 v16, 0xffffff82
	v_cndmask_b32_e32 v3, v3, v16, vcc
	v_lshrrev_b32_e32 v16, 23, v14
	v_add3_u32 v16, v5, v3, v16
	v_add_u32_e32 v3, 6, v16
	v_and_b32_e32 v5, 0xfffff, v15
	v_add_u32_e32 v14, v5, v14
	v_mov_b32_e32 v15, v51
	v_cmp_ne_u32_e32 vcc, 0, v3
                                        ; implicit-def: $vgpr5
	s_and_saveexec_b64 s[28:29], vcc
	s_xor_b64 s[28:29], exec, s[28:29]
; %bb.22155:                            ;   in Loop: Header=BB6_20564 Depth=3
	v_cmp_lt_u64_e32 vcc, s[88:89], v[14:15]
	v_add_u32_e32 v5, 7, v16
	v_cndmask_b32_e32 v5, v3, v5, vcc
	v_cndmask_b32_e64 v3, 0, 1, vcc
	v_lshrrev_b64 v[14:15], v3, v[14:15]
; %bb.22156:                            ;   in Loop: Header=BB6_20564 Depth=3
	s_andn2_saveexec_b64 s[28:29], s[28:29]
; %bb.22157:                            ;   in Loop: Header=BB6_20564 Depth=3
	v_bfe_u32 v5, v14, 23, 1
; %bb.22158:                            ;   in Loop: Header=BB6_20564 Depth=3
	s_or_b64 exec, exec, s[28:29]
	v_lshrrev_b64 v[14:15], 20, v[14:15]
	v_cmp_gt_i32_e32 vcc, 16, v5
	v_cndmask_b32_e32 v15, 0, v15, vcc
	v_cndmask_b32_e32 v14, 7, v14, vcc
	v_cmp_ne_u64_e32 vcc, 0, v[14:15]
	v_cmp_ne_u32_e64 s[28:29], 0, v5
	s_or_b64 s[28:29], s[28:29], vcc
                                        ; implicit-def: $vgpr3
	s_and_saveexec_b64 vcc, s[28:29]
	s_xor_b64 s[28:29], exec, vcc
; %bb.22159:                            ;   in Loop: Header=BB6_20564 Depth=3
	v_min_i32_e32 v3, 15, v5
	v_lshl_or_b32 v3, v3, 3, v4
	v_and_or_b32 v3, v14, 7, v3
                                        ; implicit-def: $vgpr4
; %bb.22160:                            ;   in Loop: Header=BB6_20564 Depth=3
	s_andn2_saveexec_b64 s[28:29], s[28:29]
; %bb.22161:                            ;   in Loop: Header=BB6_20564 Depth=3
	v_mov_b32_e32 v3, v4
; %bb.22162:                            ;   in Loop: Header=BB6_20564 Depth=3
	s_or_b64 exec, exec, s[28:29]
.LBB6_22163:                            ;   in Loop: Header=BB6_20564 Depth=3
	s_or_b64 exec, exec, s[38:39]
                                        ; implicit-def: $vgpr4
.LBB6_22164:                            ;   in Loop: Header=BB6_20564 Depth=3
	s_andn2_saveexec_b64 s[28:29], s[36:37]
; %bb.22165:                            ;   in Loop: Header=BB6_20564 Depth=3
	v_or_b32_e32 v3, 0x7e, v4
; %bb.22166:                            ;   in Loop: Header=BB6_20564 Depth=3
	s_or_b64 exec, exec, s[28:29]
                                        ; implicit-def: $vgpr5
.LBB6_22167:                            ;   in Loop: Header=BB6_20564 Depth=3
	s_andn2_saveexec_b64 s[28:29], s[34:35]
; %bb.22168:                            ;   in Loop: Header=BB6_20564 Depth=3
	v_or_b32_sdwa v3, v5, s86 dst_sel:DWORD dst_unused:UNUSED_PAD src0_sel:BYTE_3 src1_sel:DWORD
; %bb.22169:                            ;   in Loop: Header=BB6_20564 Depth=3
	s_or_b64 exec, exec, s[28:29]
	buffer_load_dword v4, off, s[0:3], s33 offset:120 ; 4-byte Folded Reload
	v_mov_b32_e32 v5, 0
	s_waitcnt vmcnt(0)
	v_and_b32_e32 v14, 0xff, v4
	v_cmp_ne_u16_e32 vcc, 0, v14
	v_mov_b32_e32 v4, 0
	s_and_saveexec_b64 s[28:29], vcc
	s_cbranch_execz .LBB6_22175
; %bb.22170:                            ;   in Loop: Header=BB6_20564 Depth=3
	v_cmp_ne_u16_e32 vcc, s96, v14
	v_bfrev_b32_e32 v5, 1
	s_and_saveexec_b64 s[34:35], vcc
	s_cbranch_execz .LBB6_22174
; %bb.22171:                            ;   in Loop: Header=BB6_20564 Depth=3
	buffer_load_dword v21, off, s[0:3], s33 offset:120 ; 4-byte Folded Reload
	v_mov_b32_e32 v5, 0x7f800001
	s_waitcnt vmcnt(0)
	v_and_b32_e32 v15, 0x7f, v21
	v_cmp_ne_u32_e32 vcc, s86, v15
	s_and_saveexec_b64 s[36:37], vcc
	s_cbranch_execz .LBB6_22173
; %bb.22172:                            ;   in Loop: Header=BB6_20564 Depth=3
	v_and_b32_e32 v5, 7, v14
	v_lshrrev_b32_e32 v16, 3, v15
	v_cmp_gt_u32_e32 vcc, 8, v15
	v_ffbh_u32_e32 v15, v5
	v_min_u32_e32 v20, 32, v15
	v_subrev_u32_e32 v15, 28, v20
	v_lshlrev_b64 v[14:15], v15, v[14:15]
	v_sub_u32_e32 v15, 29, v20
	v_and_b32_e32 v14, 7, v14
	v_cndmask_b32_e32 v15, v16, v15, vcc
	v_cndmask_b32_e32 v5, v5, v14, vcc
	v_lshlrev_b32_e32 v14, 24, v21
	v_bfrev_b32_e32 v16, 60
	v_lshlrev_b32_e32 v5, 20, v5
	v_and_b32_e32 v14, 0x80000000, v14
	v_lshl_add_u32 v15, v15, 23, v16
	v_or3_b32 v5, v14, v15, v5
.LBB6_22173:                            ;   in Loop: Header=BB6_20564 Depth=3
	s_or_b64 exec, exec, s[36:37]
.LBB6_22174:                            ;   in Loop: Header=BB6_20564 Depth=3
	s_or_b64 exec, exec, s[34:35]
.LBB6_22175:                            ;   in Loop: Header=BB6_20564 Depth=3
	s_or_b64 exec, exec, s[28:29]
	v_and_b32_e32 v14, 0xff, v47
	v_cmp_ne_u16_e32 vcc, 0, v14
	s_and_saveexec_b64 s[28:29], vcc
	s_cbranch_execz .LBB6_22181
; %bb.22176:                            ;   in Loop: Header=BB6_20564 Depth=3
	v_cmp_ne_u16_e32 vcc, s96, v14
	v_bfrev_b32_e32 v4, 1
	s_and_saveexec_b64 s[34:35], vcc
	s_cbranch_execz .LBB6_22180
; %bb.22177:                            ;   in Loop: Header=BB6_20564 Depth=3
	v_and_b32_e32 v15, 0x7f, v47
	v_cmp_ne_u32_e32 vcc, s86, v15
	v_mov_b32_e32 v4, 0x7f800001
	s_and_saveexec_b64 s[36:37], vcc
	s_cbranch_execz .LBB6_22179
; %bb.22178:                            ;   in Loop: Header=BB6_20564 Depth=3
	v_and_b32_e32 v4, 7, v14
	v_lshrrev_b32_e32 v16, 3, v15
	v_cmp_gt_u32_e32 vcc, 8, v15
	v_ffbh_u32_e32 v15, v4
	v_min_u32_e32 v20, 32, v15
	v_subrev_u32_e32 v15, 28, v20
	v_lshlrev_b64 v[14:15], v15, v[14:15]
	v_sub_u32_e32 v15, 29, v20
	v_and_b32_e32 v14, 7, v14
	v_cndmask_b32_e32 v15, v16, v15, vcc
	v_cndmask_b32_e32 v4, v4, v14, vcc
	v_lshlrev_b32_e32 v14, 24, v47
	v_bfrev_b32_e32 v16, 60
	v_lshlrev_b32_e32 v4, 20, v4
	v_and_b32_e32 v14, 0x80000000, v14
	v_lshl_add_u32 v15, v15, 23, v16
	v_or3_b32 v4, v14, v15, v4
.LBB6_22179:                            ;   in Loop: Header=BB6_20564 Depth=3
	s_or_b64 exec, exec, s[36:37]
.LBB6_22180:                            ;   in Loop: Header=BB6_20564 Depth=3
	s_or_b64 exec, exec, s[34:35]
.LBB6_22181:                            ;   in Loop: Header=BB6_20564 Depth=3
	s_or_b64 exec, exec, s[28:29]
	v_add_f32_e32 v5, v5, v4
	v_and_b32_e32 v14, 0x7f800000, v5
	v_mov_b32_e32 v15, v51
	v_cmp_ne_u64_e32 vcc, s[76:77], v[14:15]
                                        ; implicit-def: $vgpr24
	s_and_saveexec_b64 s[28:29], vcc
	s_xor_b64 s[34:35], exec, s[28:29]
	s_cbranch_execz .LBB6_22199
; %bb.22182:                            ;   in Loop: Header=BB6_20564 Depth=3
	v_and_b32_e32 v14, 0x7fffffff, v5
	v_mov_b32_e32 v15, v51
	v_cmp_gt_u64_e32 vcc, s[78:79], v[14:15]
	v_and_b32_sdwa v4, v5, s96 dst_sel:DWORD dst_unused:UNUSED_PAD src0_sel:BYTE_3 src1_sel:DWORD
                                        ; implicit-def: $vgpr24
	s_and_saveexec_b64 s[28:29], vcc
	s_xor_b64 s[36:37], exec, s[28:29]
	s_cbranch_execz .LBB6_22196
; %bb.22183:                            ;   in Loop: Header=BB6_20564 Depth=3
	v_cmp_ne_u32_e32 vcc, 0, v5
	v_mov_b32_e32 v24, 0
	s_and_saveexec_b64 s[38:39], vcc
	s_cbranch_execz .LBB6_22195
; %bb.22184:                            ;   in Loop: Header=BB6_20564 Depth=3
	v_and_b32_e32 v14, 0x7fffff, v5
	v_bfe_u32 v5, v5, 23, 8
	v_cmp_gt_u32_e64 s[28:29], s97, v5
	v_sub_u32_e32 v15, 0x79, v5
	v_cmp_eq_u32_e32 vcc, 0, v5
	v_cndmask_b32_e64 v15, 0, v15, s[28:29]
	v_mov_b32_e32 v20, 0x78
	v_or_b32_e32 v16, 0x800000, v14
	v_cndmask_b32_e32 v20, v15, v20, vcc
	v_cndmask_b32_e32 v14, v16, v14, vcc
	v_add_u32_e32 v16, 20, v20
	v_lshlrev_b64 v[21:22], v16, -1
	v_mov_b32_e32 v15, v51
	v_add_u32_e32 v16, 19, v20
	v_bfi_b32 v21, v21, 0, v14
	v_lshlrev_b64 v[23:24], v16, 1
	v_lshrrev_b64 v[14:15], v20, v[14:15]
	v_bfi_b32 v22, v22, 0, 0
	v_cmp_eq_u64_e64 s[28:29], v[21:22], v[23:24]
	v_mov_b32_e32 v16, v15
	v_mov_b32_e32 v15, v14
	s_and_saveexec_b64 s[48:49], s[28:29]
; %bb.22185:                            ;   in Loop: Header=BB6_20564 Depth=3
	v_bfe_u32 v15, v14, 20, 1
	v_add_co_u32_e64 v15, s[28:29], v14, v15
	v_add_co_u32_e64 v15, s[28:29], -1, v15
; %bb.22186:                            ;   in Loop: Header=BB6_20564 Depth=3
	s_or_b64 exec, exec, s[48:49]
	v_add_u32_e32 v5, 0xffffff81, v5
	v_mov_b32_e32 v16, 0xffffff82
	v_cndmask_b32_e32 v5, v5, v16, vcc
	v_lshrrev_b32_e32 v16, 23, v14
	v_add3_u32 v20, v20, v5, v16
	v_add_u32_e32 v16, 6, v20
	v_and_b32_e32 v5, 0xfffff, v15
	v_add_u32_e32 v14, v5, v14
	v_mov_b32_e32 v15, v51
	v_cmp_ne_u32_e32 vcc, 0, v16
                                        ; implicit-def: $vgpr5
	s_and_saveexec_b64 s[28:29], vcc
	s_xor_b64 s[28:29], exec, s[28:29]
; %bb.22187:                            ;   in Loop: Header=BB6_20564 Depth=3
	v_cmp_lt_u64_e32 vcc, s[88:89], v[14:15]
	v_add_u32_e32 v5, 7, v20
	v_cndmask_b32_e32 v5, v16, v5, vcc
	v_cndmask_b32_e64 v16, 0, 1, vcc
	v_lshrrev_b64 v[14:15], v16, v[14:15]
; %bb.22188:                            ;   in Loop: Header=BB6_20564 Depth=3
	s_andn2_saveexec_b64 s[28:29], s[28:29]
; %bb.22189:                            ;   in Loop: Header=BB6_20564 Depth=3
	v_bfe_u32 v5, v14, 23, 1
; %bb.22190:                            ;   in Loop: Header=BB6_20564 Depth=3
	s_or_b64 exec, exec, s[28:29]
	v_lshrrev_b64 v[14:15], 20, v[14:15]
	v_cmp_gt_i32_e32 vcc, 16, v5
	v_cndmask_b32_e32 v15, 0, v15, vcc
	v_cndmask_b32_e32 v14, 7, v14, vcc
	v_cmp_ne_u64_e32 vcc, 0, v[14:15]
	v_cmp_ne_u32_e64 s[28:29], 0, v5
	s_or_b64 s[28:29], s[28:29], vcc
                                        ; implicit-def: $vgpr24
	s_and_saveexec_b64 vcc, s[28:29]
	s_xor_b64 s[28:29], exec, vcc
; %bb.22191:                            ;   in Loop: Header=BB6_20564 Depth=3
	v_min_i32_e32 v5, 15, v5
	v_lshl_or_b32 v4, v5, 3, v4
	v_and_or_b32 v24, v14, 7, v4
                                        ; implicit-def: $vgpr4
; %bb.22192:                            ;   in Loop: Header=BB6_20564 Depth=3
	s_andn2_saveexec_b64 s[28:29], s[28:29]
; %bb.22193:                            ;   in Loop: Header=BB6_20564 Depth=3
	v_mov_b32_e32 v24, v4
; %bb.22194:                            ;   in Loop: Header=BB6_20564 Depth=3
	s_or_b64 exec, exec, s[28:29]
.LBB6_22195:                            ;   in Loop: Header=BB6_20564 Depth=3
	s_or_b64 exec, exec, s[38:39]
                                        ; implicit-def: $vgpr4
.LBB6_22196:                            ;   in Loop: Header=BB6_20564 Depth=3
	s_andn2_saveexec_b64 s[28:29], s[36:37]
; %bb.22197:                            ;   in Loop: Header=BB6_20564 Depth=3
	v_or_b32_e32 v24, 0x7e, v4
; %bb.22198:                            ;   in Loop: Header=BB6_20564 Depth=3
	s_or_b64 exec, exec, s[28:29]
                                        ; implicit-def: $vgpr5
.LBB6_22199:                            ;   in Loop: Header=BB6_20564 Depth=3
	s_andn2_saveexec_b64 s[28:29], s[34:35]
; %bb.22200:                            ;   in Loop: Header=BB6_20564 Depth=3
	v_or_b32_sdwa v24, v5, s86 dst_sel:DWORD dst_unused:UNUSED_PAD src0_sel:BYTE_3 src1_sel:DWORD
; %bb.22201:                            ;   in Loop: Header=BB6_20564 Depth=3
	s_or_b64 exec, exec, s[28:29]
	buffer_load_dword v4, off, s[0:3], s33 offset:116 ; 4-byte Folded Reload
	v_mov_b32_e32 v5, 0
	s_waitcnt vmcnt(0)
	v_and_b32_e32 v14, 0xff, v4
	v_cmp_ne_u16_e32 vcc, 0, v14
	v_mov_b32_e32 v4, 0
	s_and_saveexec_b64 s[28:29], vcc
	s_cbranch_execz .LBB6_22207
; %bb.22202:                            ;   in Loop: Header=BB6_20564 Depth=3
	v_cmp_ne_u16_e32 vcc, s96, v14
	v_bfrev_b32_e32 v5, 1
	s_and_saveexec_b64 s[34:35], vcc
	s_cbranch_execz .LBB6_22206
; %bb.22203:                            ;   in Loop: Header=BB6_20564 Depth=3
	buffer_load_dword v21, off, s[0:3], s33 offset:116 ; 4-byte Folded Reload
	v_mov_b32_e32 v5, 0x7f800001
	s_waitcnt vmcnt(0)
	v_and_b32_e32 v15, 0x7f, v21
	v_cmp_ne_u32_e32 vcc, s86, v15
	s_and_saveexec_b64 s[36:37], vcc
	s_cbranch_execz .LBB6_22205
; %bb.22204:                            ;   in Loop: Header=BB6_20564 Depth=3
	v_and_b32_e32 v5, 7, v14
	v_lshrrev_b32_e32 v16, 3, v15
	v_cmp_gt_u32_e32 vcc, 8, v15
	v_ffbh_u32_e32 v15, v5
	v_min_u32_e32 v20, 32, v15
	v_subrev_u32_e32 v15, 28, v20
	v_lshlrev_b64 v[14:15], v15, v[14:15]
	v_sub_u32_e32 v15, 29, v20
	v_and_b32_e32 v14, 7, v14
	v_cndmask_b32_e32 v15, v16, v15, vcc
	v_cndmask_b32_e32 v5, v5, v14, vcc
	v_lshlrev_b32_e32 v14, 24, v21
	v_bfrev_b32_e32 v16, 60
	v_lshlrev_b32_e32 v5, 20, v5
	v_and_b32_e32 v14, 0x80000000, v14
	v_lshl_add_u32 v15, v15, 23, v16
	v_or3_b32 v5, v14, v15, v5
.LBB6_22205:                            ;   in Loop: Header=BB6_20564 Depth=3
	s_or_b64 exec, exec, s[36:37]
.LBB6_22206:                            ;   in Loop: Header=BB6_20564 Depth=3
	s_or_b64 exec, exec, s[34:35]
.LBB6_22207:                            ;   in Loop: Header=BB6_20564 Depth=3
	s_or_b64 exec, exec, s[28:29]
	v_and_b32_e32 v14, 0xff, v46
	v_cmp_ne_u16_e32 vcc, 0, v14
	s_and_saveexec_b64 s[28:29], vcc
	s_cbranch_execz .LBB6_22213
; %bb.22208:                            ;   in Loop: Header=BB6_20564 Depth=3
	v_cmp_ne_u16_e32 vcc, s96, v14
	v_bfrev_b32_e32 v4, 1
	s_and_saveexec_b64 s[34:35], vcc
	s_cbranch_execz .LBB6_22212
; %bb.22209:                            ;   in Loop: Header=BB6_20564 Depth=3
	v_and_b32_e32 v15, 0x7f, v46
	v_cmp_ne_u32_e32 vcc, s86, v15
	v_mov_b32_e32 v4, 0x7f800001
	s_and_saveexec_b64 s[36:37], vcc
	s_cbranch_execz .LBB6_22211
; %bb.22210:                            ;   in Loop: Header=BB6_20564 Depth=3
	v_and_b32_e32 v4, 7, v14
	v_lshrrev_b32_e32 v16, 3, v15
	v_cmp_gt_u32_e32 vcc, 8, v15
	v_ffbh_u32_e32 v15, v4
	v_min_u32_e32 v20, 32, v15
	v_subrev_u32_e32 v15, 28, v20
	v_lshlrev_b64 v[14:15], v15, v[14:15]
	v_sub_u32_e32 v15, 29, v20
	v_and_b32_e32 v14, 7, v14
	v_cndmask_b32_e32 v15, v16, v15, vcc
	v_cndmask_b32_e32 v4, v4, v14, vcc
	v_lshlrev_b32_e32 v14, 24, v46
	v_bfrev_b32_e32 v16, 60
	v_lshlrev_b32_e32 v4, 20, v4
	v_and_b32_e32 v14, 0x80000000, v14
	v_lshl_add_u32 v15, v15, 23, v16
	v_or3_b32 v4, v14, v15, v4
.LBB6_22211:                            ;   in Loop: Header=BB6_20564 Depth=3
	s_or_b64 exec, exec, s[36:37]
.LBB6_22212:                            ;   in Loop: Header=BB6_20564 Depth=3
	s_or_b64 exec, exec, s[34:35]
.LBB6_22213:                            ;   in Loop: Header=BB6_20564 Depth=3
	s_or_b64 exec, exec, s[28:29]
	v_add_f32_e32 v14, v5, v4
	v_and_b32_e32 v4, 0x7f800000, v14
	v_mov_b32_e32 v5, v51
	v_cmp_ne_u64_e32 vcc, s[76:77], v[4:5]
                                        ; implicit-def: $vgpr5
	s_and_saveexec_b64 s[28:29], vcc
	s_xor_b64 s[34:35], exec, s[28:29]
	s_cbranch_execz .LBB6_22231
; %bb.22214:                            ;   in Loop: Header=BB6_20564 Depth=3
	v_and_b32_e32 v4, 0x7fffffff, v14
	v_mov_b32_e32 v5, v51
	v_cmp_gt_u64_e32 vcc, s[78:79], v[4:5]
	v_and_b32_sdwa v4, v14, s96 dst_sel:DWORD dst_unused:UNUSED_PAD src0_sel:BYTE_3 src1_sel:DWORD
                                        ; implicit-def: $vgpr5
	s_and_saveexec_b64 s[28:29], vcc
	s_xor_b64 s[36:37], exec, s[28:29]
	s_cbranch_execz .LBB6_22228
; %bb.22215:                            ;   in Loop: Header=BB6_20564 Depth=3
	v_cmp_ne_u32_e32 vcc, 0, v14
	v_mov_b32_e32 v5, 0
	s_and_saveexec_b64 s[38:39], vcc
	s_cbranch_execz .LBB6_22227
; %bb.22216:                            ;   in Loop: Header=BB6_20564 Depth=3
	v_bfe_u32 v5, v14, 23, 8
	v_and_b32_e32 v15, 0x7fffff, v14
	v_cmp_gt_u32_e64 s[28:29], s97, v5
	v_sub_u32_e32 v14, 0x79, v5
	v_cmp_eq_u32_e32 vcc, 0, v5
	v_cndmask_b32_e64 v14, 0, v14, s[28:29]
	v_mov_b32_e32 v20, 0x78
	v_or_b32_e32 v16, 0x800000, v15
	v_cndmask_b32_e32 v20, v14, v20, vcc
	v_cndmask_b32_e32 v14, v16, v15, vcc
	v_add_u32_e32 v16, 20, v20
	v_lshlrev_b64 v[21:22], v16, -1
	v_mov_b32_e32 v15, v51
	v_add_u32_e32 v16, 19, v20
	v_bfi_b32 v21, v21, 0, v14
	v_lshlrev_b64 v[27:28], v16, 1
	v_lshrrev_b64 v[14:15], v20, v[14:15]
	v_bfi_b32 v22, v22, 0, 0
	v_cmp_eq_u64_e64 s[28:29], v[21:22], v[27:28]
	v_mov_b32_e32 v16, v15
	v_mov_b32_e32 v15, v14
	s_and_saveexec_b64 s[48:49], s[28:29]
; %bb.22217:                            ;   in Loop: Header=BB6_20564 Depth=3
	v_bfe_u32 v15, v14, 20, 1
	v_add_co_u32_e64 v15, s[28:29], v14, v15
	v_add_co_u32_e64 v15, s[28:29], -1, v15
; %bb.22218:                            ;   in Loop: Header=BB6_20564 Depth=3
	s_or_b64 exec, exec, s[48:49]
	v_add_u32_e32 v5, 0xffffff81, v5
	v_mov_b32_e32 v16, 0xffffff82
	v_cndmask_b32_e32 v5, v5, v16, vcc
	v_lshrrev_b32_e32 v16, 23, v14
	v_add3_u32 v20, v20, v5, v16
	v_add_u32_e32 v5, 6, v20
	v_and_b32_e32 v15, 0xfffff, v15
	v_add_u32_e32 v14, v15, v14
	v_mov_b32_e32 v15, v51
	v_cmp_ne_u32_e32 vcc, 0, v5
                                        ; implicit-def: $vgpr16
	s_and_saveexec_b64 s[28:29], vcc
	s_xor_b64 s[28:29], exec, s[28:29]
; %bb.22219:                            ;   in Loop: Header=BB6_20564 Depth=3
	v_cmp_lt_u64_e32 vcc, s[88:89], v[14:15]
	v_add_u32_e32 v16, 7, v20
	v_cndmask_b32_e32 v16, v5, v16, vcc
	v_cndmask_b32_e64 v5, 0, 1, vcc
	v_lshrrev_b64 v[14:15], v5, v[14:15]
; %bb.22220:                            ;   in Loop: Header=BB6_20564 Depth=3
	s_andn2_saveexec_b64 s[28:29], s[28:29]
; %bb.22221:                            ;   in Loop: Header=BB6_20564 Depth=3
	v_bfe_u32 v16, v14, 23, 1
; %bb.22222:                            ;   in Loop: Header=BB6_20564 Depth=3
	s_or_b64 exec, exec, s[28:29]
	v_lshrrev_b64 v[14:15], 20, v[14:15]
	v_cmp_gt_i32_e32 vcc, 16, v16
	v_cndmask_b32_e32 v15, 0, v15, vcc
	v_cndmask_b32_e32 v14, 7, v14, vcc
	v_cmp_ne_u64_e32 vcc, 0, v[14:15]
	v_cmp_ne_u32_e64 s[28:29], 0, v16
	s_or_b64 s[28:29], s[28:29], vcc
                                        ; implicit-def: $vgpr5
	s_and_saveexec_b64 vcc, s[28:29]
	s_xor_b64 s[28:29], exec, vcc
; %bb.22223:                            ;   in Loop: Header=BB6_20564 Depth=3
	v_min_i32_e32 v5, 15, v16
	v_lshl_or_b32 v4, v5, 3, v4
	v_and_or_b32 v5, v14, 7, v4
                                        ; implicit-def: $vgpr4
; %bb.22224:                            ;   in Loop: Header=BB6_20564 Depth=3
	s_andn2_saveexec_b64 s[28:29], s[28:29]
; %bb.22225:                            ;   in Loop: Header=BB6_20564 Depth=3
	v_mov_b32_e32 v5, v4
; %bb.22226:                            ;   in Loop: Header=BB6_20564 Depth=3
	s_or_b64 exec, exec, s[28:29]
.LBB6_22227:                            ;   in Loop: Header=BB6_20564 Depth=3
	s_or_b64 exec, exec, s[38:39]
                                        ; implicit-def: $vgpr4
.LBB6_22228:                            ;   in Loop: Header=BB6_20564 Depth=3
	s_andn2_saveexec_b64 s[28:29], s[36:37]
; %bb.22229:                            ;   in Loop: Header=BB6_20564 Depth=3
	v_or_b32_e32 v5, 0x7e, v4
; %bb.22230:                            ;   in Loop: Header=BB6_20564 Depth=3
	s_or_b64 exec, exec, s[28:29]
                                        ; implicit-def: $vgpr14
.LBB6_22231:                            ;   in Loop: Header=BB6_20564 Depth=3
	s_andn2_saveexec_b64 s[28:29], s[34:35]
; %bb.22232:                            ;   in Loop: Header=BB6_20564 Depth=3
	v_or_b32_sdwa v5, v14, s86 dst_sel:DWORD dst_unused:UNUSED_PAD src0_sel:BYTE_3 src1_sel:DWORD
; %bb.22233:                            ;   in Loop: Header=BB6_20564 Depth=3
	s_or_b64 exec, exec, s[28:29]
	buffer_load_dword v4, off, s[0:3], s33 offset:112 ; 4-byte Folded Reload
	v_mov_b32_e32 v15, 0
	s_waitcnt vmcnt(0)
	v_and_b32_e32 v14, 0xff, v4
	v_cmp_ne_u16_e32 vcc, 0, v14
	v_mov_b32_e32 v4, 0
	s_and_saveexec_b64 s[28:29], vcc
	s_cbranch_execz .LBB6_22239
; %bb.22234:                            ;   in Loop: Header=BB6_20564 Depth=3
	v_cmp_ne_u16_e32 vcc, s96, v14
	v_bfrev_b32_e32 v15, 1
	s_and_saveexec_b64 s[34:35], vcc
	s_cbranch_execz .LBB6_22238
; %bb.22235:                            ;   in Loop: Header=BB6_20564 Depth=3
	buffer_load_dword v22, off, s[0:3], s33 offset:112 ; 4-byte Folded Reload
	v_mov_b32_e32 v15, 0x7f800001
	s_waitcnt vmcnt(0)
	v_and_b32_e32 v16, 0x7f, v22
	v_cmp_ne_u32_e32 vcc, s86, v16
	s_and_saveexec_b64 s[36:37], vcc
	s_cbranch_execz .LBB6_22237
; %bb.22236:                            ;   in Loop: Header=BB6_20564 Depth=3
	v_and_b32_e32 v20, 7, v14
	v_ffbh_u32_e32 v15, v20
	v_lshrrev_b32_e32 v21, 3, v16
	v_cmp_gt_u32_e32 vcc, 8, v16
	v_min_u32_e32 v16, 32, v15
	v_subrev_u32_e32 v15, 28, v16
	v_lshlrev_b64 v[14:15], v15, v[14:15]
	v_sub_u32_e32 v15, 29, v16
	v_and_b32_e32 v14, 7, v14
	v_cndmask_b32_e32 v15, v21, v15, vcc
	v_cndmask_b32_e32 v14, v20, v14, vcc
	v_lshlrev_b32_e32 v16, 24, v22
	v_bfrev_b32_e32 v20, 60
	v_lshlrev_b32_e32 v14, 20, v14
	v_and_b32_e32 v16, 0x80000000, v16
	v_lshl_add_u32 v15, v15, 23, v20
	v_or3_b32 v15, v16, v15, v14
.LBB6_22237:                            ;   in Loop: Header=BB6_20564 Depth=3
	s_or_b64 exec, exec, s[36:37]
.LBB6_22238:                            ;   in Loop: Header=BB6_20564 Depth=3
	s_or_b64 exec, exec, s[34:35]
.LBB6_22239:                            ;   in Loop: Header=BB6_20564 Depth=3
	s_or_b64 exec, exec, s[28:29]
	v_and_b32_e32 v14, 0xff, v45
	v_cmp_ne_u16_e32 vcc, 0, v14
	s_and_saveexec_b64 s[28:29], vcc
	s_cbranch_execz .LBB6_22245
; %bb.22240:                            ;   in Loop: Header=BB6_20564 Depth=3
	v_cmp_ne_u16_e32 vcc, s96, v14
	v_bfrev_b32_e32 v4, 1
	s_and_saveexec_b64 s[34:35], vcc
	s_cbranch_execz .LBB6_22244
; %bb.22241:                            ;   in Loop: Header=BB6_20564 Depth=3
	v_and_b32_e32 v16, 0x7f, v45
	v_cmp_ne_u32_e32 vcc, s86, v16
	v_mov_b32_e32 v4, 0x7f800001
	s_and_saveexec_b64 s[36:37], vcc
	s_cbranch_execz .LBB6_22243
; %bb.22242:                            ;   in Loop: Header=BB6_20564 Depth=3
	v_and_b32_e32 v4, 7, v14
	v_lshrrev_b32_e32 v22, 3, v16
	v_cmp_gt_u32_e32 vcc, 8, v16
	v_ffbh_u32_e32 v16, v4
	v_min_u32_e32 v16, 32, v16
	v_subrev_u32_e32 v20, 28, v16
	v_lshlrev_b64 v[20:21], v20, v[14:15]
	v_sub_u32_e32 v14, 29, v16
	v_and_b32_e32 v16, 7, v20
	v_cndmask_b32_e32 v14, v22, v14, vcc
	v_cndmask_b32_e32 v4, v4, v16, vcc
	v_lshlrev_b32_e32 v16, 24, v45
	v_bfrev_b32_e32 v20, 60
	v_lshlrev_b32_e32 v4, 20, v4
	v_and_b32_e32 v16, 0x80000000, v16
	v_lshl_add_u32 v14, v14, 23, v20
	v_or3_b32 v4, v16, v14, v4
.LBB6_22243:                            ;   in Loop: Header=BB6_20564 Depth=3
	s_or_b64 exec, exec, s[36:37]
.LBB6_22244:                            ;   in Loop: Header=BB6_20564 Depth=3
	s_or_b64 exec, exec, s[34:35]
.LBB6_22245:                            ;   in Loop: Header=BB6_20564 Depth=3
	s_or_b64 exec, exec, s[28:29]
	v_add_f32_e32 v14, v15, v4
	v_and_b32_e32 v15, 0x7f800000, v14
	v_mov_b32_e32 v16, v51
	v_cmp_ne_u64_e32 vcc, s[76:77], v[15:16]
                                        ; implicit-def: $vgpr20
	s_and_saveexec_b64 s[28:29], vcc
	s_xor_b64 s[34:35], exec, s[28:29]
	s_cbranch_execz .LBB6_22263
; %bb.22246:                            ;   in Loop: Header=BB6_20564 Depth=3
	v_and_b32_e32 v15, 0x7fffffff, v14
	v_mov_b32_e32 v16, v51
	v_cmp_gt_u64_e32 vcc, s[78:79], v[15:16]
	v_and_b32_sdwa v4, v14, s96 dst_sel:DWORD dst_unused:UNUSED_PAD src0_sel:BYTE_3 src1_sel:DWORD
                                        ; implicit-def: $vgpr20
	s_and_saveexec_b64 s[28:29], vcc
	s_xor_b64 s[36:37], exec, s[28:29]
	s_cbranch_execz .LBB6_22260
; %bb.22247:                            ;   in Loop: Header=BB6_20564 Depth=3
	v_cmp_ne_u32_e32 vcc, 0, v14
	v_mov_b32_e32 v20, 0
	s_and_saveexec_b64 s[38:39], vcc
	s_cbranch_execz .LBB6_22259
; %bb.22248:                            ;   in Loop: Header=BB6_20564 Depth=3
	v_bfe_u32 v20, v14, 23, 8
	v_and_b32_e32 v15, 0x7fffff, v14
	v_cmp_gt_u32_e64 s[28:29], s97, v20
	v_sub_u32_e32 v14, 0x79, v20
	v_cmp_eq_u32_e32 vcc, 0, v20
	v_cndmask_b32_e64 v14, 0, v14, s[28:29]
	v_mov_b32_e32 v21, 0x78
	v_or_b32_e32 v16, 0x800000, v15
	v_cndmask_b32_e32 v21, v14, v21, vcc
	v_cndmask_b32_e32 v14, v16, v15, vcc
	v_add_u32_e32 v16, 20, v21
	v_lshlrev_b64 v[22:23], v16, -1
	v_mov_b32_e32 v15, v51
	v_add_u32_e32 v16, 19, v21
	v_bfi_b32 v22, v22, 0, v14
	v_lshlrev_b64 v[27:28], v16, 1
	v_lshrrev_b64 v[14:15], v21, v[14:15]
	v_bfi_b32 v23, v23, 0, 0
	v_cmp_eq_u64_e64 s[28:29], v[22:23], v[27:28]
	v_mov_b32_e32 v16, v15
	v_mov_b32_e32 v15, v14
	s_and_saveexec_b64 s[48:49], s[28:29]
; %bb.22249:                            ;   in Loop: Header=BB6_20564 Depth=3
	v_bfe_u32 v15, v14, 20, 1
	v_add_co_u32_e64 v15, s[28:29], v14, v15
	v_add_co_u32_e64 v15, s[28:29], -1, v15
; %bb.22250:                            ;   in Loop: Header=BB6_20564 Depth=3
	s_or_b64 exec, exec, s[48:49]
	v_add_u32_e32 v16, 0xffffff81, v20
	v_mov_b32_e32 v20, 0xffffff82
	v_cndmask_b32_e32 v16, v16, v20, vcc
	v_lshrrev_b32_e32 v20, 23, v14
	v_add3_u32 v21, v21, v16, v20
	v_add_u32_e32 v20, 6, v21
	v_and_b32_e32 v15, 0xfffff, v15
	v_add_u32_e32 v14, v15, v14
	v_mov_b32_e32 v15, v51
	v_cmp_ne_u32_e32 vcc, 0, v20
                                        ; implicit-def: $vgpr16
	s_and_saveexec_b64 s[28:29], vcc
	s_xor_b64 s[28:29], exec, s[28:29]
; %bb.22251:                            ;   in Loop: Header=BB6_20564 Depth=3
	v_cmp_lt_u64_e32 vcc, s[88:89], v[14:15]
	v_add_u32_e32 v16, 7, v21
	v_cndmask_b32_e32 v16, v20, v16, vcc
	v_cndmask_b32_e64 v20, 0, 1, vcc
	v_lshrrev_b64 v[14:15], v20, v[14:15]
; %bb.22252:                            ;   in Loop: Header=BB6_20564 Depth=3
	s_andn2_saveexec_b64 s[28:29], s[28:29]
; %bb.22253:                            ;   in Loop: Header=BB6_20564 Depth=3
	v_bfe_u32 v16, v14, 23, 1
; %bb.22254:                            ;   in Loop: Header=BB6_20564 Depth=3
	s_or_b64 exec, exec, s[28:29]
	v_lshrrev_b64 v[14:15], 20, v[14:15]
	v_cmp_gt_i32_e32 vcc, 16, v16
	v_cndmask_b32_e32 v15, 0, v15, vcc
	v_cndmask_b32_e32 v14, 7, v14, vcc
	v_cmp_ne_u64_e32 vcc, 0, v[14:15]
	v_cmp_ne_u32_e64 s[28:29], 0, v16
	s_or_b64 s[28:29], s[28:29], vcc
                                        ; implicit-def: $vgpr20
	s_and_saveexec_b64 vcc, s[28:29]
	s_xor_b64 s[28:29], exec, vcc
; %bb.22255:                            ;   in Loop: Header=BB6_20564 Depth=3
	v_min_i32_e32 v15, 15, v16
	v_lshl_or_b32 v4, v15, 3, v4
	v_and_or_b32 v20, v14, 7, v4
                                        ; implicit-def: $vgpr4
; %bb.22256:                            ;   in Loop: Header=BB6_20564 Depth=3
	s_andn2_saveexec_b64 s[28:29], s[28:29]
; %bb.22257:                            ;   in Loop: Header=BB6_20564 Depth=3
	v_mov_b32_e32 v20, v4
; %bb.22258:                            ;   in Loop: Header=BB6_20564 Depth=3
	s_or_b64 exec, exec, s[28:29]
.LBB6_22259:                            ;   in Loop: Header=BB6_20564 Depth=3
	s_or_b64 exec, exec, s[38:39]
                                        ; implicit-def: $vgpr4
.LBB6_22260:                            ;   in Loop: Header=BB6_20564 Depth=3
	s_andn2_saveexec_b64 s[28:29], s[36:37]
; %bb.22261:                            ;   in Loop: Header=BB6_20564 Depth=3
	v_or_b32_e32 v20, 0x7e, v4
; %bb.22262:                            ;   in Loop: Header=BB6_20564 Depth=3
	s_or_b64 exec, exec, s[28:29]
                                        ; implicit-def: $vgpr14
.LBB6_22263:                            ;   in Loop: Header=BB6_20564 Depth=3
	s_andn2_saveexec_b64 s[28:29], s[34:35]
; %bb.22264:                            ;   in Loop: Header=BB6_20564 Depth=3
	v_or_b32_sdwa v20, v14, s86 dst_sel:DWORD dst_unused:UNUSED_PAD src0_sel:BYTE_3 src1_sel:DWORD
; %bb.22265:                            ;   in Loop: Header=BB6_20564 Depth=3
	s_or_b64 exec, exec, s[28:29]
	buffer_load_dword v4, off, s[0:3], s33 offset:108 ; 4-byte Folded Reload
	v_mov_b32_e32 v15, 0
	s_waitcnt vmcnt(0)
	v_and_b32_e32 v14, 0xff, v4
	v_cmp_ne_u16_e32 vcc, 0, v14
	v_mov_b32_e32 v4, 0
	s_and_saveexec_b64 s[28:29], vcc
	s_cbranch_execz .LBB6_22271
; %bb.22266:                            ;   in Loop: Header=BB6_20564 Depth=3
	v_cmp_ne_u16_e32 vcc, s96, v14
	v_bfrev_b32_e32 v15, 1
	s_and_saveexec_b64 s[34:35], vcc
	s_cbranch_execz .LBB6_22270
; %bb.22267:                            ;   in Loop: Header=BB6_20564 Depth=3
	buffer_load_dword v23, off, s[0:3], s33 offset:108 ; 4-byte Folded Reload
	v_mov_b32_e32 v15, 0x7f800001
	s_waitcnt vmcnt(0)
	v_and_b32_e32 v16, 0x7f, v23
	v_cmp_ne_u32_e32 vcc, s86, v16
	s_and_saveexec_b64 s[36:37], vcc
	s_cbranch_execz .LBB6_22269
; %bb.22268:                            ;   in Loop: Header=BB6_20564 Depth=3
	v_and_b32_e32 v21, 7, v14
	v_ffbh_u32_e32 v15, v21
	v_lshrrev_b32_e32 v22, 3, v16
	v_cmp_gt_u32_e32 vcc, 8, v16
	v_min_u32_e32 v16, 32, v15
	v_subrev_u32_e32 v15, 28, v16
	v_lshlrev_b64 v[14:15], v15, v[14:15]
	v_sub_u32_e32 v15, 29, v16
	v_and_b32_e32 v14, 7, v14
	v_cndmask_b32_e32 v15, v22, v15, vcc
	v_cndmask_b32_e32 v14, v21, v14, vcc
	v_lshlrev_b32_e32 v16, 24, v23
	v_bfrev_b32_e32 v21, 60
	v_lshlrev_b32_e32 v14, 20, v14
	v_and_b32_e32 v16, 0x80000000, v16
	v_lshl_add_u32 v15, v15, 23, v21
	v_or3_b32 v15, v16, v15, v14
.LBB6_22269:                            ;   in Loop: Header=BB6_20564 Depth=3
	s_or_b64 exec, exec, s[36:37]
.LBB6_22270:                            ;   in Loop: Header=BB6_20564 Depth=3
	s_or_b64 exec, exec, s[34:35]
.LBB6_22271:                            ;   in Loop: Header=BB6_20564 Depth=3
	s_or_b64 exec, exec, s[28:29]
	buffer_load_dword v14, off, s[0:3], s33 offset:164 ; 4-byte Folded Reload
	s_waitcnt vmcnt(0)
	v_and_b32_e32 v14, 0xff, v14
	v_cmp_ne_u16_e32 vcc, 0, v14
	s_and_saveexec_b64 s[28:29], vcc
	s_cbranch_execz .LBB6_22277
; %bb.22272:                            ;   in Loop: Header=BB6_20564 Depth=3
	v_cmp_ne_u16_e32 vcc, s96, v14
	v_bfrev_b32_e32 v4, 1
	s_and_saveexec_b64 s[34:35], vcc
	s_cbranch_execz .LBB6_22276
; %bb.22273:                            ;   in Loop: Header=BB6_20564 Depth=3
	buffer_load_dword v25, off, s[0:3], s33 offset:164 ; 4-byte Folded Reload
	v_mov_b32_e32 v4, 0x7f800001
	s_waitcnt vmcnt(0)
	v_and_b32_e32 v16, 0x7f, v25
	v_cmp_ne_u32_e32 vcc, s86, v16
	s_and_saveexec_b64 s[36:37], vcc
	s_cbranch_execz .LBB6_22275
; %bb.22274:                            ;   in Loop: Header=BB6_20564 Depth=3
	v_and_b32_e32 v4, 7, v14
	v_lshrrev_b32_e32 v23, 3, v16
	v_cmp_gt_u32_e32 vcc, 8, v16
	v_ffbh_u32_e32 v16, v4
	v_min_u32_e32 v16, 32, v16
	v_subrev_u32_e32 v21, 28, v16
	v_lshlrev_b64 v[21:22], v21, v[14:15]
	v_sub_u32_e32 v14, 29, v16
	v_and_b32_e32 v16, 7, v21
	v_cndmask_b32_e32 v14, v23, v14, vcc
	v_cndmask_b32_e32 v4, v4, v16, vcc
	v_lshlrev_b32_e32 v16, 24, v25
	v_bfrev_b32_e32 v21, 60
	v_lshlrev_b32_e32 v4, 20, v4
	v_and_b32_e32 v16, 0x80000000, v16
	v_lshl_add_u32 v14, v14, 23, v21
	v_or3_b32 v4, v16, v14, v4
.LBB6_22275:                            ;   in Loop: Header=BB6_20564 Depth=3
	s_or_b64 exec, exec, s[36:37]
.LBB6_22276:                            ;   in Loop: Header=BB6_20564 Depth=3
	s_or_b64 exec, exec, s[34:35]
.LBB6_22277:                            ;   in Loop: Header=BB6_20564 Depth=3
	s_or_b64 exec, exec, s[28:29]
	v_add_f32_e32 v14, v15, v4
	v_and_b32_e32 v15, 0x7f800000, v14
	v_mov_b32_e32 v16, v51
	v_cmp_ne_u64_e32 vcc, s[76:77], v[15:16]
                                        ; implicit-def: $vgpr21
	s_and_saveexec_b64 s[28:29], vcc
	s_xor_b64 s[34:35], exec, s[28:29]
	s_cbranch_execz .LBB6_22295
; %bb.22278:                            ;   in Loop: Header=BB6_20564 Depth=3
	v_and_b32_e32 v15, 0x7fffffff, v14
	v_mov_b32_e32 v16, v51
	v_cmp_gt_u64_e32 vcc, s[78:79], v[15:16]
	v_and_b32_sdwa v4, v14, s96 dst_sel:DWORD dst_unused:UNUSED_PAD src0_sel:BYTE_3 src1_sel:DWORD
                                        ; implicit-def: $vgpr21
	s_and_saveexec_b64 s[28:29], vcc
	s_xor_b64 s[36:37], exec, s[28:29]
	s_cbranch_execz .LBB6_22292
; %bb.22279:                            ;   in Loop: Header=BB6_20564 Depth=3
	v_cmp_ne_u32_e32 vcc, 0, v14
	v_mov_b32_e32 v21, 0
	s_and_saveexec_b64 s[38:39], vcc
	s_cbranch_execz .LBB6_22291
; %bb.22280:                            ;   in Loop: Header=BB6_20564 Depth=3
	v_bfe_u32 v21, v14, 23, 8
	v_and_b32_e32 v15, 0x7fffff, v14
	v_cmp_gt_u32_e64 s[28:29], s97, v21
	v_sub_u32_e32 v14, 0x79, v21
	v_cmp_eq_u32_e32 vcc, 0, v21
	v_cndmask_b32_e64 v14, 0, v14, s[28:29]
	v_mov_b32_e32 v22, 0x78
	v_or_b32_e32 v16, 0x800000, v15
	v_cndmask_b32_e32 v22, v14, v22, vcc
	v_cndmask_b32_e32 v14, v16, v15, vcc
	v_add_u32_e32 v16, 20, v22
	v_lshlrev_b64 v[27:28], v16, -1
	v_mov_b32_e32 v15, v51
	v_add_u32_e32 v16, 19, v22
	v_bfi_b32 v27, v27, 0, v14
	v_lshlrev_b64 v[29:30], v16, 1
	v_lshrrev_b64 v[14:15], v22, v[14:15]
	v_bfi_b32 v28, v28, 0, 0
	v_cmp_eq_u64_e64 s[28:29], v[27:28], v[29:30]
	v_mov_b32_e32 v16, v15
	v_mov_b32_e32 v15, v14
	s_and_saveexec_b64 s[48:49], s[28:29]
; %bb.22281:                            ;   in Loop: Header=BB6_20564 Depth=3
	v_bfe_u32 v15, v14, 20, 1
	v_add_co_u32_e64 v15, s[28:29], v14, v15
	v_add_co_u32_e64 v15, s[28:29], -1, v15
; %bb.22282:                            ;   in Loop: Header=BB6_20564 Depth=3
	s_or_b64 exec, exec, s[48:49]
	v_add_u32_e32 v16, 0xffffff81, v21
	v_mov_b32_e32 v21, 0xffffff82
	v_cndmask_b32_e32 v16, v16, v21, vcc
	v_lshrrev_b32_e32 v21, 23, v14
	v_add3_u32 v22, v22, v16, v21
	v_add_u32_e32 v21, 6, v22
	v_and_b32_e32 v15, 0xfffff, v15
	v_add_u32_e32 v14, v15, v14
	v_mov_b32_e32 v15, v51
	v_cmp_ne_u32_e32 vcc, 0, v21
                                        ; implicit-def: $vgpr16
	s_and_saveexec_b64 s[28:29], vcc
	s_xor_b64 s[28:29], exec, s[28:29]
; %bb.22283:                            ;   in Loop: Header=BB6_20564 Depth=3
	v_cmp_lt_u64_e32 vcc, s[88:89], v[14:15]
	v_add_u32_e32 v16, 7, v22
	v_cndmask_b32_e32 v16, v21, v16, vcc
	v_cndmask_b32_e64 v21, 0, 1, vcc
	v_lshrrev_b64 v[14:15], v21, v[14:15]
; %bb.22284:                            ;   in Loop: Header=BB6_20564 Depth=3
	s_andn2_saveexec_b64 s[28:29], s[28:29]
; %bb.22285:                            ;   in Loop: Header=BB6_20564 Depth=3
	v_bfe_u32 v16, v14, 23, 1
; %bb.22286:                            ;   in Loop: Header=BB6_20564 Depth=3
	s_or_b64 exec, exec, s[28:29]
	v_lshrrev_b64 v[14:15], 20, v[14:15]
	v_cmp_gt_i32_e32 vcc, 16, v16
	v_cndmask_b32_e32 v15, 0, v15, vcc
	v_cndmask_b32_e32 v14, 7, v14, vcc
	v_cmp_ne_u64_e32 vcc, 0, v[14:15]
	v_cmp_ne_u32_e64 s[28:29], 0, v16
	s_or_b64 s[28:29], s[28:29], vcc
                                        ; implicit-def: $vgpr21
	s_and_saveexec_b64 vcc, s[28:29]
	s_xor_b64 s[28:29], exec, vcc
; %bb.22287:                            ;   in Loop: Header=BB6_20564 Depth=3
	v_min_i32_e32 v15, 15, v16
	v_lshl_or_b32 v4, v15, 3, v4
	v_and_or_b32 v21, v14, 7, v4
                                        ; implicit-def: $vgpr4
; %bb.22288:                            ;   in Loop: Header=BB6_20564 Depth=3
	s_andn2_saveexec_b64 s[28:29], s[28:29]
; %bb.22289:                            ;   in Loop: Header=BB6_20564 Depth=3
	v_mov_b32_e32 v21, v4
; %bb.22290:                            ;   in Loop: Header=BB6_20564 Depth=3
	s_or_b64 exec, exec, s[28:29]
.LBB6_22291:                            ;   in Loop: Header=BB6_20564 Depth=3
	s_or_b64 exec, exec, s[38:39]
                                        ; implicit-def: $vgpr4
.LBB6_22292:                            ;   in Loop: Header=BB6_20564 Depth=3
	s_andn2_saveexec_b64 s[28:29], s[36:37]
; %bb.22293:                            ;   in Loop: Header=BB6_20564 Depth=3
	v_or_b32_e32 v21, 0x7e, v4
; %bb.22294:                            ;   in Loop: Header=BB6_20564 Depth=3
	s_or_b64 exec, exec, s[28:29]
                                        ; implicit-def: $vgpr14
.LBB6_22295:                            ;   in Loop: Header=BB6_20564 Depth=3
	s_andn2_saveexec_b64 s[28:29], s[34:35]
; %bb.22296:                            ;   in Loop: Header=BB6_20564 Depth=3
	v_or_b32_sdwa v21, v14, s86 dst_sel:DWORD dst_unused:UNUSED_PAD src0_sel:BYTE_3 src1_sel:DWORD
; %bb.22297:                            ;   in Loop: Header=BB6_20564 Depth=3
	s_or_b64 exec, exec, s[28:29]
	buffer_load_dword v4, off, s[0:3], s33 offset:104 ; 4-byte Folded Reload
	v_mov_b32_e32 v15, 0
	s_waitcnt vmcnt(0)
	v_and_b32_e32 v14, 0xff, v4
	v_cmp_ne_u16_e32 vcc, 0, v14
	v_mov_b32_e32 v4, 0
	s_and_saveexec_b64 s[28:29], vcc
	s_cbranch_execz .LBB6_22303
; %bb.22298:                            ;   in Loop: Header=BB6_20564 Depth=3
	v_cmp_ne_u16_e32 vcc, s96, v14
	v_bfrev_b32_e32 v15, 1
	s_and_saveexec_b64 s[34:35], vcc
	s_cbranch_execz .LBB6_22302
; %bb.22299:                            ;   in Loop: Header=BB6_20564 Depth=3
	buffer_load_dword v25, off, s[0:3], s33 offset:104 ; 4-byte Folded Reload
	v_mov_b32_e32 v15, 0x7f800001
	s_waitcnt vmcnt(0)
	v_and_b32_e32 v16, 0x7f, v25
	v_cmp_ne_u32_e32 vcc, s86, v16
	s_and_saveexec_b64 s[36:37], vcc
	s_cbranch_execz .LBB6_22301
; %bb.22300:                            ;   in Loop: Header=BB6_20564 Depth=3
	v_and_b32_e32 v22, 7, v14
	v_ffbh_u32_e32 v15, v22
	v_lshrrev_b32_e32 v23, 3, v16
	v_cmp_gt_u32_e32 vcc, 8, v16
	v_min_u32_e32 v16, 32, v15
	v_subrev_u32_e32 v15, 28, v16
	v_lshlrev_b64 v[14:15], v15, v[14:15]
	v_sub_u32_e32 v15, 29, v16
	v_and_b32_e32 v14, 7, v14
	v_cndmask_b32_e32 v15, v23, v15, vcc
	v_cndmask_b32_e32 v14, v22, v14, vcc
	v_lshlrev_b32_e32 v16, 24, v25
	v_bfrev_b32_e32 v22, 60
	v_lshlrev_b32_e32 v14, 20, v14
	v_and_b32_e32 v16, 0x80000000, v16
	v_lshl_add_u32 v15, v15, 23, v22
	v_or3_b32 v15, v16, v15, v14
.LBB6_22301:                            ;   in Loop: Header=BB6_20564 Depth=3
	s_or_b64 exec, exec, s[36:37]
.LBB6_22302:                            ;   in Loop: Header=BB6_20564 Depth=3
	s_or_b64 exec, exec, s[34:35]
.LBB6_22303:                            ;   in Loop: Header=BB6_20564 Depth=3
	s_or_b64 exec, exec, s[28:29]
	buffer_load_dword v14, off, s[0:3], s33 offset:160 ; 4-byte Folded Reload
	s_waitcnt vmcnt(0)
	v_and_b32_e32 v14, 0xff, v14
	v_cmp_ne_u16_e32 vcc, 0, v14
	s_and_saveexec_b64 s[28:29], vcc
	s_cbranch_execz .LBB6_22309
; %bb.22304:                            ;   in Loop: Header=BB6_20564 Depth=3
	v_cmp_ne_u16_e32 vcc, s96, v14
	v_bfrev_b32_e32 v4, 1
	s_and_saveexec_b64 s[34:35], vcc
	s_cbranch_execz .LBB6_22308
; %bb.22305:                            ;   in Loop: Header=BB6_20564 Depth=3
	buffer_load_dword v27, off, s[0:3], s33 offset:160 ; 4-byte Folded Reload
	v_mov_b32_e32 v4, 0x7f800001
	s_waitcnt vmcnt(0)
	v_and_b32_e32 v16, 0x7f, v27
	v_cmp_ne_u32_e32 vcc, s86, v16
	s_and_saveexec_b64 s[36:37], vcc
	s_cbranch_execz .LBB6_22307
; %bb.22306:                            ;   in Loop: Header=BB6_20564 Depth=3
	v_and_b32_e32 v4, 7, v14
	v_lshrrev_b32_e32 v25, 3, v16
	v_cmp_gt_u32_e32 vcc, 8, v16
	v_ffbh_u32_e32 v16, v4
	v_min_u32_e32 v16, 32, v16
	v_subrev_u32_e32 v22, 28, v16
	v_lshlrev_b64 v[22:23], v22, v[14:15]
	v_sub_u32_e32 v14, 29, v16
	v_and_b32_e32 v16, 7, v22
	v_cndmask_b32_e32 v14, v25, v14, vcc
	v_cndmask_b32_e32 v4, v4, v16, vcc
	v_lshlrev_b32_e32 v16, 24, v27
	v_bfrev_b32_e32 v22, 60
	v_lshlrev_b32_e32 v4, 20, v4
	v_and_b32_e32 v16, 0x80000000, v16
	v_lshl_add_u32 v14, v14, 23, v22
	v_or3_b32 v4, v16, v14, v4
.LBB6_22307:                            ;   in Loop: Header=BB6_20564 Depth=3
	s_or_b64 exec, exec, s[36:37]
.LBB6_22308:                            ;   in Loop: Header=BB6_20564 Depth=3
	s_or_b64 exec, exec, s[34:35]
.LBB6_22309:                            ;   in Loop: Header=BB6_20564 Depth=3
	s_or_b64 exec, exec, s[28:29]
	v_add_f32_e32 v14, v15, v4
	v_and_b32_e32 v15, 0x7f800000, v14
	v_mov_b32_e32 v16, v51
	v_cmp_ne_u64_e32 vcc, s[76:77], v[15:16]
                                        ; implicit-def: $vgpr22
	s_and_saveexec_b64 s[28:29], vcc
	s_xor_b64 s[34:35], exec, s[28:29]
	s_cbranch_execz .LBB6_22327
; %bb.22310:                            ;   in Loop: Header=BB6_20564 Depth=3
	v_and_b32_e32 v15, 0x7fffffff, v14
	v_mov_b32_e32 v16, v51
	v_cmp_gt_u64_e32 vcc, s[78:79], v[15:16]
	v_and_b32_sdwa v4, v14, s96 dst_sel:DWORD dst_unused:UNUSED_PAD src0_sel:BYTE_3 src1_sel:DWORD
                                        ; implicit-def: $vgpr22
	s_and_saveexec_b64 s[28:29], vcc
	s_xor_b64 s[36:37], exec, s[28:29]
	s_cbranch_execz .LBB6_22324
; %bb.22311:                            ;   in Loop: Header=BB6_20564 Depth=3
	v_cmp_ne_u32_e32 vcc, 0, v14
	v_mov_b32_e32 v22, 0
	s_and_saveexec_b64 s[38:39], vcc
	s_cbranch_execz .LBB6_22323
; %bb.22312:                            ;   in Loop: Header=BB6_20564 Depth=3
	v_bfe_u32 v22, v14, 23, 8
	v_and_b32_e32 v15, 0x7fffff, v14
	v_cmp_gt_u32_e64 s[28:29], s97, v22
	v_sub_u32_e32 v14, 0x79, v22
	v_cmp_eq_u32_e32 vcc, 0, v22
	v_cndmask_b32_e64 v14, 0, v14, s[28:29]
	v_mov_b32_e32 v23, 0x78
	v_or_b32_e32 v16, 0x800000, v15
	v_cndmask_b32_e32 v23, v14, v23, vcc
	v_cndmask_b32_e32 v14, v16, v15, vcc
	v_add_u32_e32 v16, 20, v23
	v_lshlrev_b64 v[27:28], v16, -1
	v_mov_b32_e32 v15, v51
	v_add_u32_e32 v16, 19, v23
	v_bfi_b32 v27, v27, 0, v14
	v_lshlrev_b64 v[29:30], v16, 1
	v_lshrrev_b64 v[14:15], v23, v[14:15]
	v_bfi_b32 v28, v28, 0, 0
	v_cmp_eq_u64_e64 s[28:29], v[27:28], v[29:30]
	v_mov_b32_e32 v16, v15
	v_mov_b32_e32 v15, v14
	s_and_saveexec_b64 s[48:49], s[28:29]
; %bb.22313:                            ;   in Loop: Header=BB6_20564 Depth=3
	v_bfe_u32 v15, v14, 20, 1
	v_add_co_u32_e64 v15, s[28:29], v14, v15
	v_add_co_u32_e64 v15, s[28:29], -1, v15
; %bb.22314:                            ;   in Loop: Header=BB6_20564 Depth=3
	s_or_b64 exec, exec, s[48:49]
	v_add_u32_e32 v16, 0xffffff81, v22
	v_mov_b32_e32 v22, 0xffffff82
	v_cndmask_b32_e32 v16, v16, v22, vcc
	v_lshrrev_b32_e32 v22, 23, v14
	v_add3_u32 v23, v23, v16, v22
	v_add_u32_e32 v22, 6, v23
	v_and_b32_e32 v15, 0xfffff, v15
	v_add_u32_e32 v14, v15, v14
	v_mov_b32_e32 v15, v51
	v_cmp_ne_u32_e32 vcc, 0, v22
                                        ; implicit-def: $vgpr16
	s_and_saveexec_b64 s[28:29], vcc
	s_xor_b64 s[28:29], exec, s[28:29]
; %bb.22315:                            ;   in Loop: Header=BB6_20564 Depth=3
	v_cmp_lt_u64_e32 vcc, s[88:89], v[14:15]
	v_add_u32_e32 v16, 7, v23
	v_cndmask_b32_e32 v16, v22, v16, vcc
	v_cndmask_b32_e64 v22, 0, 1, vcc
	v_lshrrev_b64 v[14:15], v22, v[14:15]
; %bb.22316:                            ;   in Loop: Header=BB6_20564 Depth=3
	s_andn2_saveexec_b64 s[28:29], s[28:29]
; %bb.22317:                            ;   in Loop: Header=BB6_20564 Depth=3
	v_bfe_u32 v16, v14, 23, 1
; %bb.22318:                            ;   in Loop: Header=BB6_20564 Depth=3
	s_or_b64 exec, exec, s[28:29]
	v_lshrrev_b64 v[14:15], 20, v[14:15]
	v_cmp_gt_i32_e32 vcc, 16, v16
	v_cndmask_b32_e32 v15, 0, v15, vcc
	v_cndmask_b32_e32 v14, 7, v14, vcc
	v_cmp_ne_u64_e32 vcc, 0, v[14:15]
	v_cmp_ne_u32_e64 s[28:29], 0, v16
	s_or_b64 s[28:29], s[28:29], vcc
                                        ; implicit-def: $vgpr22
	s_and_saveexec_b64 vcc, s[28:29]
	s_xor_b64 s[28:29], exec, vcc
; %bb.22319:                            ;   in Loop: Header=BB6_20564 Depth=3
	v_min_i32_e32 v15, 15, v16
	v_lshl_or_b32 v4, v15, 3, v4
	v_and_or_b32 v22, v14, 7, v4
                                        ; implicit-def: $vgpr4
; %bb.22320:                            ;   in Loop: Header=BB6_20564 Depth=3
	s_andn2_saveexec_b64 s[28:29], s[28:29]
; %bb.22321:                            ;   in Loop: Header=BB6_20564 Depth=3
	v_mov_b32_e32 v22, v4
; %bb.22322:                            ;   in Loop: Header=BB6_20564 Depth=3
	s_or_b64 exec, exec, s[28:29]
.LBB6_22323:                            ;   in Loop: Header=BB6_20564 Depth=3
	s_or_b64 exec, exec, s[38:39]
                                        ; implicit-def: $vgpr4
.LBB6_22324:                            ;   in Loop: Header=BB6_20564 Depth=3
	s_andn2_saveexec_b64 s[28:29], s[36:37]
; %bb.22325:                            ;   in Loop: Header=BB6_20564 Depth=3
	v_or_b32_e32 v22, 0x7e, v4
; %bb.22326:                            ;   in Loop: Header=BB6_20564 Depth=3
	s_or_b64 exec, exec, s[28:29]
                                        ; implicit-def: $vgpr14
.LBB6_22327:                            ;   in Loop: Header=BB6_20564 Depth=3
	s_andn2_saveexec_b64 s[28:29], s[34:35]
; %bb.22328:                            ;   in Loop: Header=BB6_20564 Depth=3
	v_or_b32_sdwa v22, v14, s86 dst_sel:DWORD dst_unused:UNUSED_PAD src0_sel:BYTE_3 src1_sel:DWORD
; %bb.22329:                            ;   in Loop: Header=BB6_20564 Depth=3
	s_or_b64 exec, exec, s[28:29]
	buffer_load_dword v4, off, s[0:3], s33 offset:100 ; 4-byte Folded Reload
	v_mov_b32_e32 v15, 0
	s_waitcnt vmcnt(0)
	v_and_b32_e32 v14, 0xff, v4
	v_cmp_ne_u16_e32 vcc, 0, v14
	v_mov_b32_e32 v4, 0
	s_and_saveexec_b64 s[28:29], vcc
	s_cbranch_execz .LBB6_22335
; %bb.22330:                            ;   in Loop: Header=BB6_20564 Depth=3
	v_cmp_ne_u16_e32 vcc, s96, v14
	v_bfrev_b32_e32 v15, 1
	s_and_saveexec_b64 s[34:35], vcc
	s_cbranch_execz .LBB6_22334
; %bb.22331:                            ;   in Loop: Header=BB6_20564 Depth=3
	buffer_load_dword v27, off, s[0:3], s33 offset:100 ; 4-byte Folded Reload
	v_mov_b32_e32 v15, 0x7f800001
	s_waitcnt vmcnt(0)
	v_and_b32_e32 v16, 0x7f, v27
	v_cmp_ne_u32_e32 vcc, s86, v16
	s_and_saveexec_b64 s[36:37], vcc
	s_cbranch_execz .LBB6_22333
; %bb.22332:                            ;   in Loop: Header=BB6_20564 Depth=3
	v_and_b32_e32 v23, 7, v14
	v_ffbh_u32_e32 v15, v23
	v_lshrrev_b32_e32 v25, 3, v16
	v_cmp_gt_u32_e32 vcc, 8, v16
	v_min_u32_e32 v16, 32, v15
	v_subrev_u32_e32 v15, 28, v16
	v_lshlrev_b64 v[14:15], v15, v[14:15]
	v_sub_u32_e32 v15, 29, v16
	v_and_b32_e32 v14, 7, v14
	v_cndmask_b32_e32 v15, v25, v15, vcc
	v_cndmask_b32_e32 v14, v23, v14, vcc
	v_lshlrev_b32_e32 v16, 24, v27
	v_bfrev_b32_e32 v23, 60
	v_lshlrev_b32_e32 v14, 20, v14
	v_and_b32_e32 v16, 0x80000000, v16
	v_lshl_add_u32 v15, v15, 23, v23
	v_or3_b32 v15, v16, v15, v14
.LBB6_22333:                            ;   in Loop: Header=BB6_20564 Depth=3
	s_or_b64 exec, exec, s[36:37]
.LBB6_22334:                            ;   in Loop: Header=BB6_20564 Depth=3
	s_or_b64 exec, exec, s[34:35]
.LBB6_22335:                            ;   in Loop: Header=BB6_20564 Depth=3
	s_or_b64 exec, exec, s[28:29]
	buffer_load_dword v14, off, s[0:3], s33 offset:156 ; 4-byte Folded Reload
	s_waitcnt vmcnt(0)
	v_and_b32_e32 v14, 0xff, v14
	v_cmp_ne_u16_e32 vcc, 0, v14
	s_and_saveexec_b64 s[28:29], vcc
	s_cbranch_execz .LBB6_22341
; %bb.22336:                            ;   in Loop: Header=BB6_20564 Depth=3
	v_cmp_ne_u16_e32 vcc, s96, v14
	v_bfrev_b32_e32 v4, 1
	s_and_saveexec_b64 s[34:35], vcc
	s_cbranch_execz .LBB6_22340
; %bb.22337:                            ;   in Loop: Header=BB6_20564 Depth=3
	buffer_load_dword v29, off, s[0:3], s33 offset:156 ; 4-byte Folded Reload
	v_mov_b32_e32 v4, 0x7f800001
	s_waitcnt vmcnt(0)
	v_and_b32_e32 v16, 0x7f, v29
	v_cmp_ne_u32_e32 vcc, s86, v16
	s_and_saveexec_b64 s[36:37], vcc
	s_cbranch_execz .LBB6_22339
; %bb.22338:                            ;   in Loop: Header=BB6_20564 Depth=3
	v_and_b32_e32 v4, 7, v14
	v_lshrrev_b32_e32 v23, 3, v16
	v_cmp_gt_u32_e32 vcc, 8, v16
	v_ffbh_u32_e32 v16, v4
	v_min_u32_e32 v16, 32, v16
	v_subrev_u32_e32 v25, 28, v16
	v_lshlrev_b64 v[27:28], v25, v[14:15]
	v_sub_u32_e32 v14, 29, v16
	v_and_b32_e32 v16, 7, v27
	v_cndmask_b32_e32 v14, v23, v14, vcc
	v_cndmask_b32_e32 v4, v4, v16, vcc
	v_lshlrev_b32_e32 v16, 24, v29
	v_bfrev_b32_e32 v23, 60
	v_lshlrev_b32_e32 v4, 20, v4
	v_and_b32_e32 v16, 0x80000000, v16
	v_lshl_add_u32 v14, v14, 23, v23
	v_or3_b32 v4, v16, v14, v4
.LBB6_22339:                            ;   in Loop: Header=BB6_20564 Depth=3
	s_or_b64 exec, exec, s[36:37]
.LBB6_22340:                            ;   in Loop: Header=BB6_20564 Depth=3
	s_or_b64 exec, exec, s[34:35]
.LBB6_22341:                            ;   in Loop: Header=BB6_20564 Depth=3
	s_or_b64 exec, exec, s[28:29]
	v_add_f32_e32 v14, v15, v4
	v_and_b32_e32 v15, 0x7f800000, v14
	v_mov_b32_e32 v16, v51
	v_cmp_ne_u64_e32 vcc, s[76:77], v[15:16]
                                        ; implicit-def: $vgpr23
	s_and_saveexec_b64 s[28:29], vcc
	s_xor_b64 s[34:35], exec, s[28:29]
	s_cbranch_execz .LBB6_22359
; %bb.22342:                            ;   in Loop: Header=BB6_20564 Depth=3
	v_and_b32_e32 v15, 0x7fffffff, v14
	v_mov_b32_e32 v16, v51
	v_cmp_gt_u64_e32 vcc, s[78:79], v[15:16]
	v_and_b32_sdwa v4, v14, s96 dst_sel:DWORD dst_unused:UNUSED_PAD src0_sel:BYTE_3 src1_sel:DWORD
                                        ; implicit-def: $vgpr23
	s_and_saveexec_b64 s[28:29], vcc
	s_xor_b64 s[36:37], exec, s[28:29]
	s_cbranch_execz .LBB6_22356
; %bb.22343:                            ;   in Loop: Header=BB6_20564 Depth=3
	v_cmp_ne_u32_e32 vcc, 0, v14
	v_mov_b32_e32 v23, 0
	s_and_saveexec_b64 s[38:39], vcc
	s_cbranch_execz .LBB6_22355
; %bb.22344:                            ;   in Loop: Header=BB6_20564 Depth=3
	v_bfe_u32 v23, v14, 23, 8
	v_and_b32_e32 v15, 0x7fffff, v14
	v_cmp_gt_u32_e64 s[28:29], s97, v23
	v_sub_u32_e32 v14, 0x79, v23
	v_cmp_eq_u32_e32 vcc, 0, v23
	v_cndmask_b32_e64 v14, 0, v14, s[28:29]
	v_mov_b32_e32 v25, 0x78
	v_or_b32_e32 v16, 0x800000, v15
	v_cndmask_b32_e32 v25, v14, v25, vcc
	v_cndmask_b32_e32 v14, v16, v15, vcc
	v_add_u32_e32 v16, 20, v25
	v_lshlrev_b64 v[27:28], v16, -1
	v_mov_b32_e32 v15, v51
	v_add_u32_e32 v16, 19, v25
	v_bfi_b32 v27, v27, 0, v14
	v_lshlrev_b64 v[29:30], v16, 1
	v_lshrrev_b64 v[14:15], v25, v[14:15]
	v_bfi_b32 v28, v28, 0, 0
	v_cmp_eq_u64_e64 s[28:29], v[27:28], v[29:30]
	v_mov_b32_e32 v16, v15
	v_mov_b32_e32 v15, v14
	s_and_saveexec_b64 s[48:49], s[28:29]
; %bb.22345:                            ;   in Loop: Header=BB6_20564 Depth=3
	v_bfe_u32 v15, v14, 20, 1
	v_add_co_u32_e64 v15, s[28:29], v14, v15
	v_add_co_u32_e64 v15, s[28:29], -1, v15
; %bb.22346:                            ;   in Loop: Header=BB6_20564 Depth=3
	s_or_b64 exec, exec, s[48:49]
	v_add_u32_e32 v16, 0xffffff81, v23
	v_mov_b32_e32 v23, 0xffffff82
	v_cndmask_b32_e32 v16, v16, v23, vcc
	v_lshrrev_b32_e32 v23, 23, v14
	v_add3_u32 v25, v25, v16, v23
	v_add_u32_e32 v23, 6, v25
	v_and_b32_e32 v15, 0xfffff, v15
	v_add_u32_e32 v14, v15, v14
	v_mov_b32_e32 v15, v51
	v_cmp_ne_u32_e32 vcc, 0, v23
                                        ; implicit-def: $vgpr16
	s_and_saveexec_b64 s[28:29], vcc
	s_xor_b64 s[28:29], exec, s[28:29]
; %bb.22347:                            ;   in Loop: Header=BB6_20564 Depth=3
	v_cmp_lt_u64_e32 vcc, s[88:89], v[14:15]
	v_add_u32_e32 v16, 7, v25
	v_cndmask_b32_e32 v16, v23, v16, vcc
	v_cndmask_b32_e64 v23, 0, 1, vcc
	v_lshrrev_b64 v[14:15], v23, v[14:15]
; %bb.22348:                            ;   in Loop: Header=BB6_20564 Depth=3
	s_andn2_saveexec_b64 s[28:29], s[28:29]
; %bb.22349:                            ;   in Loop: Header=BB6_20564 Depth=3
	v_bfe_u32 v16, v14, 23, 1
; %bb.22350:                            ;   in Loop: Header=BB6_20564 Depth=3
	s_or_b64 exec, exec, s[28:29]
	v_lshrrev_b64 v[14:15], 20, v[14:15]
	v_cmp_gt_i32_e32 vcc, 16, v16
	v_cndmask_b32_e32 v15, 0, v15, vcc
	v_cndmask_b32_e32 v14, 7, v14, vcc
	v_cmp_ne_u64_e32 vcc, 0, v[14:15]
	v_cmp_ne_u32_e64 s[28:29], 0, v16
	s_or_b64 s[28:29], s[28:29], vcc
                                        ; implicit-def: $vgpr23
	s_and_saveexec_b64 vcc, s[28:29]
	s_xor_b64 s[28:29], exec, vcc
; %bb.22351:                            ;   in Loop: Header=BB6_20564 Depth=3
	v_min_i32_e32 v15, 15, v16
	v_lshl_or_b32 v4, v15, 3, v4
	v_and_or_b32 v23, v14, 7, v4
                                        ; implicit-def: $vgpr4
; %bb.22352:                            ;   in Loop: Header=BB6_20564 Depth=3
	s_andn2_saveexec_b64 s[28:29], s[28:29]
; %bb.22353:                            ;   in Loop: Header=BB6_20564 Depth=3
	v_mov_b32_e32 v23, v4
; %bb.22354:                            ;   in Loop: Header=BB6_20564 Depth=3
	s_or_b64 exec, exec, s[28:29]
.LBB6_22355:                            ;   in Loop: Header=BB6_20564 Depth=3
	s_or_b64 exec, exec, s[38:39]
                                        ; implicit-def: $vgpr4
.LBB6_22356:                            ;   in Loop: Header=BB6_20564 Depth=3
	s_andn2_saveexec_b64 s[28:29], s[36:37]
; %bb.22357:                            ;   in Loop: Header=BB6_20564 Depth=3
	v_or_b32_e32 v23, 0x7e, v4
; %bb.22358:                            ;   in Loop: Header=BB6_20564 Depth=3
	s_or_b64 exec, exec, s[28:29]
                                        ; implicit-def: $vgpr14
.LBB6_22359:                            ;   in Loop: Header=BB6_20564 Depth=3
	s_andn2_saveexec_b64 s[28:29], s[34:35]
; %bb.22360:                            ;   in Loop: Header=BB6_20564 Depth=3
	v_or_b32_sdwa v23, v14, s86 dst_sel:DWORD dst_unused:UNUSED_PAD src0_sel:BYTE_3 src1_sel:DWORD
; %bb.22361:                            ;   in Loop: Header=BB6_20564 Depth=3
	s_or_b64 exec, exec, s[28:29]
	buffer_load_dword v4, off, s[0:3], s33 offset:96 ; 4-byte Folded Reload
	v_mov_b32_e32 v15, 0
	s_waitcnt vmcnt(0)
	v_and_b32_e32 v14, 0xff, v4
	v_cmp_ne_u16_e32 vcc, 0, v14
	v_mov_b32_e32 v4, 0
	s_and_saveexec_b64 s[28:29], vcc
	s_cbranch_execz .LBB6_22367
; %bb.22362:                            ;   in Loop: Header=BB6_20564 Depth=3
	v_cmp_ne_u16_e32 vcc, s96, v14
	v_bfrev_b32_e32 v15, 1
	s_and_saveexec_b64 s[34:35], vcc
	s_cbranch_execz .LBB6_22366
; %bb.22363:                            ;   in Loop: Header=BB6_20564 Depth=3
	buffer_load_dword v28, off, s[0:3], s33 offset:96 ; 4-byte Folded Reload
	v_mov_b32_e32 v15, 0x7f800001
	s_waitcnt vmcnt(0)
	v_and_b32_e32 v16, 0x7f, v28
	v_cmp_ne_u32_e32 vcc, s86, v16
	s_and_saveexec_b64 s[36:37], vcc
	s_cbranch_execz .LBB6_22365
; %bb.22364:                            ;   in Loop: Header=BB6_20564 Depth=3
	v_and_b32_e32 v25, 7, v14
	v_ffbh_u32_e32 v15, v25
	v_lshrrev_b32_e32 v27, 3, v16
	v_cmp_gt_u32_e32 vcc, 8, v16
	v_min_u32_e32 v16, 32, v15
	v_subrev_u32_e32 v15, 28, v16
	v_lshlrev_b64 v[14:15], v15, v[14:15]
	v_sub_u32_e32 v15, 29, v16
	v_and_b32_e32 v14, 7, v14
	v_cndmask_b32_e32 v15, v27, v15, vcc
	v_cndmask_b32_e32 v14, v25, v14, vcc
	v_lshlrev_b32_e32 v16, 24, v28
	v_bfrev_b32_e32 v25, 60
	v_lshlrev_b32_e32 v14, 20, v14
	v_and_b32_e32 v16, 0x80000000, v16
	v_lshl_add_u32 v15, v15, 23, v25
	v_or3_b32 v15, v16, v15, v14
.LBB6_22365:                            ;   in Loop: Header=BB6_20564 Depth=3
	s_or_b64 exec, exec, s[36:37]
.LBB6_22366:                            ;   in Loop: Header=BB6_20564 Depth=3
	s_or_b64 exec, exec, s[34:35]
.LBB6_22367:                            ;   in Loop: Header=BB6_20564 Depth=3
	s_or_b64 exec, exec, s[28:29]
	buffer_load_dword v14, off, s[0:3], s33 offset:152 ; 4-byte Folded Reload
	s_waitcnt vmcnt(0)
	v_and_b32_e32 v14, 0xff, v14
	v_cmp_ne_u16_e32 vcc, 0, v14
	s_and_saveexec_b64 s[28:29], vcc
	s_cbranch_execz .LBB6_22373
; %bb.22368:                            ;   in Loop: Header=BB6_20564 Depth=3
	v_cmp_ne_u16_e32 vcc, s96, v14
	v_bfrev_b32_e32 v4, 1
	s_and_saveexec_b64 s[34:35], vcc
	s_cbranch_execz .LBB6_22372
; %bb.22369:                            ;   in Loop: Header=BB6_20564 Depth=3
	buffer_load_dword v29, off, s[0:3], s33 offset:152 ; 4-byte Folded Reload
	v_mov_b32_e32 v4, 0x7f800001
	s_waitcnt vmcnt(0)
	v_and_b32_e32 v16, 0x7f, v29
	v_cmp_ne_u32_e32 vcc, s86, v16
	s_and_saveexec_b64 s[36:37], vcc
	s_cbranch_execz .LBB6_22371
; %bb.22370:                            ;   in Loop: Header=BB6_20564 Depth=3
	v_and_b32_e32 v4, 7, v14
	v_lshrrev_b32_e32 v25, 3, v16
	v_cmp_gt_u32_e32 vcc, 8, v16
	v_ffbh_u32_e32 v16, v4
	v_min_u32_e32 v16, 32, v16
	v_subrev_u32_e32 v27, 28, v16
	v_lshlrev_b64 v[27:28], v27, v[14:15]
	v_sub_u32_e32 v14, 29, v16
	v_and_b32_e32 v16, 7, v27
	v_cndmask_b32_e32 v14, v25, v14, vcc
	v_cndmask_b32_e32 v4, v4, v16, vcc
	v_lshlrev_b32_e32 v16, 24, v29
	v_bfrev_b32_e32 v25, 60
	v_lshlrev_b32_e32 v4, 20, v4
	v_and_b32_e32 v16, 0x80000000, v16
	v_lshl_add_u32 v14, v14, 23, v25
	v_or3_b32 v4, v16, v14, v4
.LBB6_22371:                            ;   in Loop: Header=BB6_20564 Depth=3
	s_or_b64 exec, exec, s[36:37]
.LBB6_22372:                            ;   in Loop: Header=BB6_20564 Depth=3
	s_or_b64 exec, exec, s[34:35]
.LBB6_22373:                            ;   in Loop: Header=BB6_20564 Depth=3
	s_or_b64 exec, exec, s[28:29]
	v_add_f32_e32 v14, v15, v4
	v_and_b32_e32 v15, 0x7f800000, v14
	v_mov_b32_e32 v16, v51
	v_cmp_ne_u64_e32 vcc, s[76:77], v[15:16]
                                        ; implicit-def: $vgpr25
	s_and_saveexec_b64 s[28:29], vcc
	s_xor_b64 s[34:35], exec, s[28:29]
	s_cbranch_execz .LBB6_22391
; %bb.22374:                            ;   in Loop: Header=BB6_20564 Depth=3
	v_and_b32_e32 v15, 0x7fffffff, v14
	v_mov_b32_e32 v16, v51
	v_cmp_gt_u64_e32 vcc, s[78:79], v[15:16]
	v_and_b32_sdwa v4, v14, s96 dst_sel:DWORD dst_unused:UNUSED_PAD src0_sel:BYTE_3 src1_sel:DWORD
                                        ; implicit-def: $vgpr25
	s_and_saveexec_b64 s[28:29], vcc
	s_xor_b64 s[36:37], exec, s[28:29]
	s_cbranch_execz .LBB6_22388
; %bb.22375:                            ;   in Loop: Header=BB6_20564 Depth=3
	v_cmp_ne_u32_e32 vcc, 0, v14
	v_mov_b32_e32 v25, 0
	s_and_saveexec_b64 s[38:39], vcc
	s_cbranch_execz .LBB6_22387
; %bb.22376:                            ;   in Loop: Header=BB6_20564 Depth=3
	v_bfe_u32 v25, v14, 23, 8
	v_and_b32_e32 v15, 0x7fffff, v14
	v_cmp_gt_u32_e64 s[28:29], s97, v25
	v_sub_u32_e32 v14, 0x79, v25
	v_cmp_eq_u32_e32 vcc, 0, v25
	v_cndmask_b32_e64 v14, 0, v14, s[28:29]
	v_mov_b32_e32 v27, 0x78
	v_or_b32_e32 v16, 0x800000, v15
	v_cndmask_b32_e32 v27, v14, v27, vcc
	v_cndmask_b32_e32 v14, v16, v15, vcc
	v_add_u32_e32 v16, 20, v27
	v_lshlrev_b64 v[28:29], v16, -1
	v_mov_b32_e32 v15, v51
	v_add_u32_e32 v16, 19, v27
	v_bfi_b32 v28, v28, 0, v14
	v_lshlrev_b64 v[30:31], v16, 1
	v_lshrrev_b64 v[14:15], v27, v[14:15]
	v_bfi_b32 v29, v29, 0, 0
	v_cmp_eq_u64_e64 s[28:29], v[28:29], v[30:31]
	v_mov_b32_e32 v16, v15
	v_mov_b32_e32 v15, v14
	s_and_saveexec_b64 s[48:49], s[28:29]
; %bb.22377:                            ;   in Loop: Header=BB6_20564 Depth=3
	v_bfe_u32 v15, v14, 20, 1
	v_add_co_u32_e64 v15, s[28:29], v14, v15
	v_add_co_u32_e64 v15, s[28:29], -1, v15
; %bb.22378:                            ;   in Loop: Header=BB6_20564 Depth=3
	s_or_b64 exec, exec, s[48:49]
	v_add_u32_e32 v16, 0xffffff81, v25
	v_mov_b32_e32 v25, 0xffffff82
	v_cndmask_b32_e32 v16, v16, v25, vcc
	v_lshrrev_b32_e32 v25, 23, v14
	v_add3_u32 v27, v27, v16, v25
	v_add_u32_e32 v25, 6, v27
	v_and_b32_e32 v15, 0xfffff, v15
	v_add_u32_e32 v14, v15, v14
	v_mov_b32_e32 v15, v51
	v_cmp_ne_u32_e32 vcc, 0, v25
                                        ; implicit-def: $vgpr16
	s_and_saveexec_b64 s[28:29], vcc
	s_xor_b64 s[28:29], exec, s[28:29]
; %bb.22379:                            ;   in Loop: Header=BB6_20564 Depth=3
	v_cmp_lt_u64_e32 vcc, s[88:89], v[14:15]
	v_add_u32_e32 v16, 7, v27
	v_cndmask_b32_e32 v16, v25, v16, vcc
	v_cndmask_b32_e64 v25, 0, 1, vcc
	v_lshrrev_b64 v[14:15], v25, v[14:15]
; %bb.22380:                            ;   in Loop: Header=BB6_20564 Depth=3
	s_andn2_saveexec_b64 s[28:29], s[28:29]
; %bb.22381:                            ;   in Loop: Header=BB6_20564 Depth=3
	v_bfe_u32 v16, v14, 23, 1
; %bb.22382:                            ;   in Loop: Header=BB6_20564 Depth=3
	s_or_b64 exec, exec, s[28:29]
	v_lshrrev_b64 v[14:15], 20, v[14:15]
	v_cmp_gt_i32_e32 vcc, 16, v16
	v_cndmask_b32_e32 v15, 0, v15, vcc
	v_cndmask_b32_e32 v14, 7, v14, vcc
	v_cmp_ne_u64_e32 vcc, 0, v[14:15]
	v_cmp_ne_u32_e64 s[28:29], 0, v16
	s_or_b64 s[28:29], s[28:29], vcc
                                        ; implicit-def: $vgpr25
	s_and_saveexec_b64 vcc, s[28:29]
	s_xor_b64 s[28:29], exec, vcc
; %bb.22383:                            ;   in Loop: Header=BB6_20564 Depth=3
	v_min_i32_e32 v15, 15, v16
	v_lshl_or_b32 v4, v15, 3, v4
	v_and_or_b32 v25, v14, 7, v4
                                        ; implicit-def: $vgpr4
; %bb.22384:                            ;   in Loop: Header=BB6_20564 Depth=3
	s_andn2_saveexec_b64 s[28:29], s[28:29]
; %bb.22385:                            ;   in Loop: Header=BB6_20564 Depth=3
	v_mov_b32_e32 v25, v4
; %bb.22386:                            ;   in Loop: Header=BB6_20564 Depth=3
	s_or_b64 exec, exec, s[28:29]
.LBB6_22387:                            ;   in Loop: Header=BB6_20564 Depth=3
	s_or_b64 exec, exec, s[38:39]
                                        ; implicit-def: $vgpr4
.LBB6_22388:                            ;   in Loop: Header=BB6_20564 Depth=3
	s_andn2_saveexec_b64 s[28:29], s[36:37]
; %bb.22389:                            ;   in Loop: Header=BB6_20564 Depth=3
	v_or_b32_e32 v25, 0x7e, v4
; %bb.22390:                            ;   in Loop: Header=BB6_20564 Depth=3
	s_or_b64 exec, exec, s[28:29]
                                        ; implicit-def: $vgpr14
.LBB6_22391:                            ;   in Loop: Header=BB6_20564 Depth=3
	s_andn2_saveexec_b64 s[28:29], s[34:35]
; %bb.22392:                            ;   in Loop: Header=BB6_20564 Depth=3
	v_or_b32_sdwa v25, v14, s86 dst_sel:DWORD dst_unused:UNUSED_PAD src0_sel:BYTE_3 src1_sel:DWORD
; %bb.22393:                            ;   in Loop: Header=BB6_20564 Depth=3
	s_or_b64 exec, exec, s[28:29]
	v_and_b32_e32 v14, 0xff, v35
	v_cmp_ne_u16_e32 vcc, 0, v14
	v_mov_b32_e32 v4, 0
	v_mov_b32_e32 v15, 0
	s_and_saveexec_b64 s[28:29], vcc
	s_cbranch_execz .LBB6_22399
; %bb.22394:                            ;   in Loop: Header=BB6_20564 Depth=3
	v_cmp_ne_u16_e32 vcc, s96, v14
	v_bfrev_b32_e32 v15, 1
	s_and_saveexec_b64 s[34:35], vcc
	s_cbranch_execz .LBB6_22398
; %bb.22395:                            ;   in Loop: Header=BB6_20564 Depth=3
	v_and_b32_e32 v16, 0x7f, v35
	v_cmp_ne_u32_e32 vcc, s86, v16
	v_mov_b32_e32 v15, 0x7f800001
	s_and_saveexec_b64 s[36:37], vcc
	s_cbranch_execz .LBB6_22397
; %bb.22396:                            ;   in Loop: Header=BB6_20564 Depth=3
	v_and_b32_e32 v27, 7, v14
	v_ffbh_u32_e32 v15, v27
	v_lshrrev_b32_e32 v28, 3, v16
	v_cmp_gt_u32_e32 vcc, 8, v16
	v_min_u32_e32 v16, 32, v15
	v_subrev_u32_e32 v15, 28, v16
	v_lshlrev_b64 v[14:15], v15, v[14:15]
	v_sub_u32_e32 v15, 29, v16
	v_and_b32_e32 v14, 7, v14
	v_cndmask_b32_e32 v15, v28, v15, vcc
	v_cndmask_b32_e32 v14, v27, v14, vcc
	v_lshlrev_b32_e32 v16, 24, v35
	v_bfrev_b32_e32 v27, 60
	v_lshlrev_b32_e32 v14, 20, v14
	v_and_b32_e32 v16, 0x80000000, v16
	v_lshl_add_u32 v15, v15, 23, v27
	v_or3_b32 v15, v16, v15, v14
.LBB6_22397:                            ;   in Loop: Header=BB6_20564 Depth=3
	s_or_b64 exec, exec, s[36:37]
.LBB6_22398:                            ;   in Loop: Header=BB6_20564 Depth=3
	s_or_b64 exec, exec, s[34:35]
.LBB6_22399:                            ;   in Loop: Header=BB6_20564 Depth=3
	s_or_b64 exec, exec, s[28:29]
	v_and_b32_e32 v14, 0xff, v42
	v_cmp_ne_u16_e32 vcc, 0, v14
	s_and_saveexec_b64 s[28:29], vcc
	s_cbranch_execz .LBB6_22405
; %bb.22400:                            ;   in Loop: Header=BB6_20564 Depth=3
	v_cmp_ne_u16_e32 vcc, s96, v14
	v_bfrev_b32_e32 v4, 1
	s_and_saveexec_b64 s[34:35], vcc
	s_cbranch_execz .LBB6_22404
; %bb.22401:                            ;   in Loop: Header=BB6_20564 Depth=3
	v_and_b32_e32 v16, 0x7f, v42
	v_cmp_ne_u32_e32 vcc, s86, v16
	v_mov_b32_e32 v4, 0x7f800001
	s_and_saveexec_b64 s[36:37], vcc
	s_cbranch_execz .LBB6_22403
; %bb.22402:                            ;   in Loop: Header=BB6_20564 Depth=3
	v_and_b32_e32 v4, 7, v14
	v_lshrrev_b32_e32 v29, 3, v16
	v_cmp_gt_u32_e32 vcc, 8, v16
	v_ffbh_u32_e32 v16, v4
	v_min_u32_e32 v16, 32, v16
	v_subrev_u32_e32 v27, 28, v16
	v_lshlrev_b64 v[27:28], v27, v[14:15]
	v_sub_u32_e32 v14, 29, v16
	v_and_b32_e32 v16, 7, v27
	v_cndmask_b32_e32 v14, v29, v14, vcc
	v_cndmask_b32_e32 v4, v4, v16, vcc
	v_lshlrev_b32_e32 v16, 24, v42
	v_bfrev_b32_e32 v27, 60
	v_lshlrev_b32_e32 v4, 20, v4
	v_and_b32_e32 v16, 0x80000000, v16
	v_lshl_add_u32 v14, v14, 23, v27
	v_or3_b32 v4, v16, v14, v4
.LBB6_22403:                            ;   in Loop: Header=BB6_20564 Depth=3
	s_or_b64 exec, exec, s[36:37]
.LBB6_22404:                            ;   in Loop: Header=BB6_20564 Depth=3
	s_or_b64 exec, exec, s[34:35]
.LBB6_22405:                            ;   in Loop: Header=BB6_20564 Depth=3
	s_or_b64 exec, exec, s[28:29]
	v_add_f32_e32 v14, v15, v4
	v_and_b32_e32 v15, 0x7f800000, v14
	v_mov_b32_e32 v16, v51
	v_cmp_ne_u64_e32 vcc, s[76:77], v[15:16]
                                        ; implicit-def: $vgpr15
	s_and_saveexec_b64 s[28:29], vcc
	s_xor_b64 s[34:35], exec, s[28:29]
	s_cbranch_execz .LBB6_22423
; %bb.22406:                            ;   in Loop: Header=BB6_20564 Depth=3
	v_and_b32_e32 v15, 0x7fffffff, v14
	v_mov_b32_e32 v16, v51
	v_cmp_gt_u64_e32 vcc, s[78:79], v[15:16]
	v_and_b32_sdwa v4, v14, s96 dst_sel:DWORD dst_unused:UNUSED_PAD src0_sel:BYTE_3 src1_sel:DWORD
                                        ; implicit-def: $vgpr15
	s_and_saveexec_b64 s[28:29], vcc
	s_xor_b64 s[36:37], exec, s[28:29]
	s_cbranch_execz .LBB6_22420
; %bb.22407:                            ;   in Loop: Header=BB6_20564 Depth=3
	v_cmp_ne_u32_e32 vcc, 0, v14
	v_mov_b32_e32 v15, 0
	s_and_saveexec_b64 s[38:39], vcc
	s_cbranch_execz .LBB6_22419
; %bb.22408:                            ;   in Loop: Header=BB6_20564 Depth=3
	v_bfe_u32 v27, v14, 23, 8
	v_and_b32_e32 v15, 0x7fffff, v14
	v_cmp_gt_u32_e64 s[28:29], s97, v27
	v_sub_u32_e32 v14, 0x79, v27
	v_cmp_eq_u32_e32 vcc, 0, v27
	v_cndmask_b32_e64 v14, 0, v14, s[28:29]
	v_mov_b32_e32 v28, 0x78
	v_or_b32_e32 v16, 0x800000, v15
	v_cndmask_b32_e32 v28, v14, v28, vcc
	v_cndmask_b32_e32 v14, v16, v15, vcc
	v_add_u32_e32 v16, 20, v28
	v_lshlrev_b64 v[29:30], v16, -1
	v_mov_b32_e32 v15, v51
	v_add_u32_e32 v16, 19, v28
	v_bfi_b32 v29, v29, 0, v14
	v_lshlrev_b64 v[31:32], v16, 1
	v_lshrrev_b64 v[14:15], v28, v[14:15]
	v_bfi_b32 v30, v30, 0, 0
	v_cmp_eq_u64_e64 s[28:29], v[29:30], v[31:32]
	v_mov_b32_e32 v16, v15
	v_mov_b32_e32 v15, v14
	s_and_saveexec_b64 s[48:49], s[28:29]
; %bb.22409:                            ;   in Loop: Header=BB6_20564 Depth=3
	v_bfe_u32 v15, v14, 20, 1
	v_add_co_u32_e64 v15, s[28:29], v14, v15
	v_add_co_u32_e64 v15, s[28:29], -1, v15
; %bb.22410:                            ;   in Loop: Header=BB6_20564 Depth=3
	s_or_b64 exec, exec, s[48:49]
	v_add_u32_e32 v16, 0xffffff81, v27
	v_mov_b32_e32 v27, 0xffffff82
	v_cndmask_b32_e32 v16, v16, v27, vcc
	v_lshrrev_b32_e32 v27, 23, v14
	v_add3_u32 v28, v28, v16, v27
	v_add_u32_e32 v27, 6, v28
	v_and_b32_e32 v15, 0xfffff, v15
	v_add_u32_e32 v14, v15, v14
	v_mov_b32_e32 v15, v51
	v_cmp_ne_u32_e32 vcc, 0, v27
                                        ; implicit-def: $vgpr16
	s_and_saveexec_b64 s[28:29], vcc
	s_xor_b64 s[28:29], exec, s[28:29]
; %bb.22411:                            ;   in Loop: Header=BB6_20564 Depth=3
	v_cmp_lt_u64_e32 vcc, s[88:89], v[14:15]
	v_add_u32_e32 v16, 7, v28
	v_cndmask_b32_e32 v16, v27, v16, vcc
	v_cndmask_b32_e64 v27, 0, 1, vcc
	v_lshrrev_b64 v[14:15], v27, v[14:15]
; %bb.22412:                            ;   in Loop: Header=BB6_20564 Depth=3
	s_andn2_saveexec_b64 s[28:29], s[28:29]
; %bb.22413:                            ;   in Loop: Header=BB6_20564 Depth=3
	v_bfe_u32 v16, v14, 23, 1
; %bb.22414:                            ;   in Loop: Header=BB6_20564 Depth=3
	s_or_b64 exec, exec, s[28:29]
	v_lshrrev_b64 v[14:15], 20, v[14:15]
	v_cmp_gt_i32_e32 vcc, 16, v16
	v_cndmask_b32_e32 v15, 0, v15, vcc
	v_cndmask_b32_e32 v14, 7, v14, vcc
	v_cmp_ne_u64_e32 vcc, 0, v[14:15]
	v_cmp_ne_u32_e64 s[28:29], 0, v16
	s_or_b64 s[28:29], s[28:29], vcc
                                        ; implicit-def: $vgpr15
	s_and_saveexec_b64 vcc, s[28:29]
	s_xor_b64 s[28:29], exec, vcc
; %bb.22415:                            ;   in Loop: Header=BB6_20564 Depth=3
	v_min_i32_e32 v15, 15, v16
	v_lshl_or_b32 v4, v15, 3, v4
	v_and_or_b32 v15, v14, 7, v4
                                        ; implicit-def: $vgpr4
; %bb.22416:                            ;   in Loop: Header=BB6_20564 Depth=3
	s_andn2_saveexec_b64 s[28:29], s[28:29]
; %bb.22417:                            ;   in Loop: Header=BB6_20564 Depth=3
	v_mov_b32_e32 v15, v4
; %bb.22418:                            ;   in Loop: Header=BB6_20564 Depth=3
	s_or_b64 exec, exec, s[28:29]
.LBB6_22419:                            ;   in Loop: Header=BB6_20564 Depth=3
	s_or_b64 exec, exec, s[38:39]
                                        ; implicit-def: $vgpr4
.LBB6_22420:                            ;   in Loop: Header=BB6_20564 Depth=3
	s_andn2_saveexec_b64 s[28:29], s[36:37]
; %bb.22421:                            ;   in Loop: Header=BB6_20564 Depth=3
	v_or_b32_e32 v15, 0x7e, v4
; %bb.22422:                            ;   in Loop: Header=BB6_20564 Depth=3
	s_or_b64 exec, exec, s[28:29]
                                        ; implicit-def: $vgpr14
.LBB6_22423:                            ;   in Loop: Header=BB6_20564 Depth=3
	s_andn2_saveexec_b64 s[28:29], s[34:35]
	s_cbranch_execz .LBB6_20563
; %bb.22424:                            ;   in Loop: Header=BB6_20564 Depth=3
	v_or_b32_sdwa v15, v14, s86 dst_sel:DWORD dst_unused:UNUSED_PAD src0_sel:BYTE_3 src1_sel:DWORD
	s_branch .LBB6_20563
.LBB6_22425:                            ;   in Loop: Header=BB6_10483 Depth=2
	s_or_b64 exec, exec, s[30:31]
	buffer_load_dword v6, off, s[0:3], s33 offset:168 ; 4-byte Folded Reload
	buffer_load_dword v3, off, s[0:3], s33 offset:176 ; 4-byte Folded Reload
	;; [unrolled: 1-line block ×5, first 2 shown]
.LBB6_22426:                            ;   in Loop: Header=BB6_10483 Depth=2
	s_or_b64 exec, exec, s[42:43]
	s_waitcnt vmcnt(0)
	v_lshlrev_b32_e32 v0, 11, v1
	v_cmp_ne_u32_e32 vcc, v3, v0
	s_and_b64 exec, exec, vcc
	s_cbranch_execz .LBB6_22493
; %bb.22427:                            ;   in Loop: Header=BB6_10483 Depth=2
	v_lshlrev_b32_e32 v1, 6, v4
	v_sub_u32_e32 v1, v2, v1
	v_lshlrev_b32_e32 v2, 6, v18
	v_sub_u32_e32 v1, v1, v2
	v_add_u32_e32 v1, v0, v1
	v_sub_u32_e32 v0, v3, v1
	v_cmp_lt_i32_e32 vcc, 0, v0
	s_and_b64 exec, exec, vcc
	s_cbranch_execz .LBB6_22493
; %bb.22428:                            ;   in Loop: Header=BB6_10483 Depth=2
	v_add_u32_e32 v5, v1, v6
	s_trap 2
	ds_read_b128 v[1:4], v0
	v_ashrrev_i32_e32 v6, 31, v5
	s_mov_b64 s[42:43], 0
	s_waitcnt lgkmcnt(0)
	v_add_co_u32_e32 v8, vcc, v1, v5
	v_addc_co_u32_e32 v9, vcc, v2, v6, vcc
	ds_read_b64 v[1:2], v0
	v_add_co_u32_e32 v10, vcc, v3, v5
	v_addc_co_u32_e32 v11, vcc, v4, v6, vcc
	s_waitcnt lgkmcnt(0)
	v_add_co_u32_e32 v12, vcc, v1, v5
	v_addc_co_u32_e32 v13, vcc, v2, v6, vcc
	s_branch .LBB6_22430
.LBB6_22429:                            ;   in Loop: Header=BB6_22430 Depth=3
	s_or_b64 exec, exec, s[28:29]
	buffer_load_dword v1, off, s[0:3], s33 offset:316 ; 4-byte Folded Reload
	s_waitcnt vmcnt(0)
	v_add_co_u32_e32 v8, vcc, v8, v1
	v_addc_co_u32_e32 v9, vcc, 0, v9, vcc
	v_add_co_u32_e32 v10, vcc, v10, v1
	v_addc_co_u32_e32 v11, vcc, 0, v11, vcc
	v_sub_u32_e32 v0, v0, v1
	v_cmp_gt_i32_e32 vcc, 1, v0
	flat_store_byte v[12:13], v2 glc slc
	s_or_b64 s[42:43], vcc, s[42:43]
	v_add_co_u32_e32 v12, vcc, v12, v1
	v_addc_co_u32_e32 v13, vcc, 0, v13, vcc
	s_andn2_b64 exec, exec, s[42:43]
	s_cbranch_execz .LBB6_22493
.LBB6_22430:                            ;   Parent Loop BB6_47 Depth=1
                                        ;     Parent Loop BB6_10483 Depth=2
                                        ; =>    This Inner Loop Header: Depth=3
	s_trap 2
	ds_read_b64 v[4:5], v0
	s_waitcnt lgkmcnt(0)
	v_cmp_eq_u32_sdwa vcc, v4, v51 src0_sel:BYTE_0 src1_sel:DWORD
	v_readfirstlane_b32 s28, v4
	v_readfirstlane_b32 s29, v5
	s_and_b64 vcc, exec, vcc
	s_cbranch_vccnz .LBB6_22434
; %bb.22431:                            ;   in Loop: Header=BB6_22430 Depth=3
	v_cmp_eq_u32_sdwa vcc, v4, s96 src0_sel:BYTE_0 src1_sel:DWORD
	s_brev_b32 s9, 1
	s_and_b64 vcc, exec, vcc
	s_cbranch_vccnz .LBB6_22435
; %bb.22432:                            ;   in Loop: Header=BB6_22430 Depth=3
	s_and_b32 vcc_lo, s28, 0x7f
	s_cmpk_eq_i32 vcc_lo, 0x7f
	s_mov_b32 s9, 0x7f800001
	s_cbranch_scc1 .LBB6_22435
; %bb.22433:                            ;   in Loop: Header=BB6_22430 Depth=3
	s_and_b32 s9, s28, 7
	s_flbit_i32_b32 s9, s9
	s_min_u32 s9, s9, 32
	s_lshr_b32 vcc_hi, vcc_lo, 3
	s_sub_i32 s30, s9, 28
	s_sub_i32 s9, 29, s9
	s_cmp_lt_u32 vcc_lo, 8
	s_cselect_b32 s9, s9, vcc_hi
	s_cselect_b32 vcc_lo, s30, 0
	s_lshl_b64 vcc, s[28:29], vcc_lo
	s_lshl_b32 s28, s28, 24
	s_lshl_b32 s9, s9, 23
	s_lshl_b32 s29, vcc_lo, 20
	s_and_b32 s28, s28, 0x80000000
	s_add_i32 s9, s9, 0x3c000000
	s_and_b32 s29, s29, 0x700000
	s_or_b32 s9, s28, s9
	s_or_b32 s9, s9, s29
	s_branch .LBB6_22435
.LBB6_22434:                            ;   in Loop: Header=BB6_22430 Depth=3
	s_mov_b32 s9, 0
.LBB6_22435:                            ;   in Loop: Header=BB6_22430 Depth=3
	flat_load_ubyte v1, v[8:9] glc slc
	v_mov_b32_e32 v2, 0
	s_waitcnt vmcnt(0) lgkmcnt(0)
	v_cmp_ne_u16_e32 vcc, 0, v1
	s_and_saveexec_b64 s[28:29], vcc
	s_cbranch_execz .LBB6_22441
; %bb.22436:                            ;   in Loop: Header=BB6_22430 Depth=3
	v_cmp_ne_u16_e32 vcc, s96, v1
	v_bfrev_b32_e32 v2, 1
	s_and_saveexec_b64 s[30:31], vcc
	s_cbranch_execz .LBB6_22440
; %bb.22437:                            ;   in Loop: Header=BB6_22430 Depth=3
	v_and_b32_e32 v14, 0xffff, v1
	v_and_b32_e32 v3, 0x7f, v14
	v_cmp_ne_u32_e32 vcc, s86, v3
	v_mov_b32_e32 v2, 0x7f800001
	s_and_saveexec_b64 s[34:35], vcc
	s_cbranch_execz .LBB6_22439
; %bb.22438:                            ;   in Loop: Header=BB6_22430 Depth=3
	v_and_b32_e32 v4, 7, v14
	v_ffbh_u32_e32 v2, v4
	v_min_u32_e32 v6, 32, v2
	v_subrev_u32_e32 v2, 28, v6
	v_lshrrev_b32_e32 v5, 3, v3
	v_cmp_gt_u32_e32 vcc, 8, v3
	v_lshlrev_b64 v[2:3], v2, v[14:15]
	v_sub_u32_e32 v3, 29, v6
	v_and_b32_e32 v2, 7, v2
	v_cndmask_b32_e32 v3, v5, v3, vcc
	v_cndmask_b32_e32 v2, v4, v2, vcc
	v_lshlrev_b32_e32 v1, 24, v1
	v_bfrev_b32_e32 v4, 60
	v_lshlrev_b32_e32 v2, 20, v2
	v_and_b32_e32 v1, 0x80000000, v1
	v_lshl_add_u32 v3, v3, 23, v4
	v_or3_b32 v2, v1, v3, v2
.LBB6_22439:                            ;   in Loop: Header=BB6_22430 Depth=3
	s_or_b64 exec, exec, s[34:35]
.LBB6_22440:                            ;   in Loop: Header=BB6_22430 Depth=3
	s_or_b64 exec, exec, s[30:31]
.LBB6_22441:                            ;   in Loop: Header=BB6_22430 Depth=3
	s_or_b64 exec, exec, s[28:29]
	v_mul_f32_e32 v3, s9, v2
	v_and_b32_e32 v1, 0x7f800000, v3
	v_mov_b32_e32 v2, v51
	v_cmp_ne_u64_e32 vcc, s[76:77], v[1:2]
                                        ; implicit-def: $vgpr2
	s_and_saveexec_b64 s[28:29], vcc
	s_xor_b64 s[30:31], exec, s[28:29]
	s_cbranch_execz .LBB6_22459
; %bb.22442:                            ;   in Loop: Header=BB6_22430 Depth=3
	v_and_b32_e32 v1, 0x7fffffff, v3
	v_mov_b32_e32 v2, v51
	v_cmp_gt_u64_e32 vcc, s[78:79], v[1:2]
	v_and_b32_sdwa v1, v3, s96 dst_sel:DWORD dst_unused:UNUSED_PAD src0_sel:BYTE_3 src1_sel:DWORD
                                        ; implicit-def: $vgpr2
	s_and_saveexec_b64 s[28:29], vcc
	s_xor_b64 s[34:35], exec, s[28:29]
	s_cbranch_execz .LBB6_22456
; %bb.22443:                            ;   in Loop: Header=BB6_22430 Depth=3
	v_cmp_ne_u32_e32 vcc, 0, v3
	v_mov_b32_e32 v2, 0
	s_and_saveexec_b64 s[36:37], vcc
	s_cbranch_execz .LBB6_22455
; %bb.22444:                            ;   in Loop: Header=BB6_22430 Depth=3
	v_bfe_u32 v2, v3, 23, 8
	v_and_b32_e32 v4, 0x7fffff, v3
	v_cmp_gt_u32_e64 s[28:29], s97, v2
	v_sub_u32_e32 v3, 0x79, v2
	v_cmp_eq_u32_e32 vcc, 0, v2
	v_cndmask_b32_e64 v3, 0, v3, s[28:29]
	v_mov_b32_e32 v6, 0x78
	v_cndmask_b32_e32 v3, v3, v6, vcc
	v_add_u32_e32 v6, 20, v3
	v_or_b32_e32 v5, 0x800000, v4
	v_lshlrev_b64 v[6:7], v6, -1
	v_add_u32_e32 v14, 19, v3
	v_cndmask_b32_e32 v4, v5, v4, vcc
	v_lshlrev_b64 v[14:15], v14, 1
	v_mov_b32_e32 v5, v51
	v_bfi_b32 v7, v7, 0, 0
	v_bfi_b32 v6, v6, 0, v4
	v_cmp_eq_u64_e64 s[28:29], v[6:7], v[14:15]
	v_lshrrev_b64 v[14:15], v3, v[4:5]
	v_mov_b32_e32 v16, v15
	v_mov_b32_e32 v15, v14
	s_and_saveexec_b64 s[38:39], s[28:29]
; %bb.22445:                            ;   in Loop: Header=BB6_22430 Depth=3
	v_bfe_u32 v4, v14, 20, 1
	v_add_co_u32_e64 v4, s[28:29], v14, v4
	v_add_co_u32_e64 v15, s[28:29], -1, v4
; %bb.22446:                            ;   in Loop: Header=BB6_22430 Depth=3
	s_or_b64 exec, exec, s[38:39]
	v_add_u32_e32 v2, 0xffffff81, v2
	v_mov_b32_e32 v4, 0xffffff82
	v_cndmask_b32_e32 v2, v2, v4, vcc
	v_lshrrev_b32_e32 v4, 23, v14
	v_add3_u32 v4, v3, v2, v4
	v_add_u32_e32 v2, 6, v4
	v_and_b32_e32 v3, 0xfffff, v15
	v_add_u32_e32 v14, v3, v14
	v_mov_b32_e32 v15, v51
	v_cmp_ne_u32_e32 vcc, 0, v2
                                        ; implicit-def: $vgpr3
	s_and_saveexec_b64 s[28:29], vcc
	s_xor_b64 s[28:29], exec, s[28:29]
; %bb.22447:                            ;   in Loop: Header=BB6_22430 Depth=3
	v_cmp_lt_u64_e32 vcc, s[88:89], v[14:15]
	v_add_u32_e32 v3, 7, v4
	v_cndmask_b32_e32 v3, v2, v3, vcc
	v_cndmask_b32_e64 v2, 0, 1, vcc
	v_lshrrev_b64 v[14:15], v2, v[14:15]
; %bb.22448:                            ;   in Loop: Header=BB6_22430 Depth=3
	s_andn2_saveexec_b64 s[28:29], s[28:29]
; %bb.22449:                            ;   in Loop: Header=BB6_22430 Depth=3
	v_bfe_u32 v3, v14, 23, 1
; %bb.22450:                            ;   in Loop: Header=BB6_22430 Depth=3
	s_or_b64 exec, exec, s[28:29]
	v_lshrrev_b64 v[4:5], 20, v[14:15]
	v_cmp_gt_i32_e32 vcc, 16, v3
	v_cndmask_b32_e32 v15, 0, v5, vcc
	v_cndmask_b32_e32 v14, 7, v4, vcc
	v_cmp_ne_u64_e32 vcc, 0, v[14:15]
	v_cmp_ne_u32_e64 s[28:29], 0, v3
	s_or_b64 s[28:29], s[28:29], vcc
                                        ; implicit-def: $vgpr2
	s_and_saveexec_b64 vcc, s[28:29]
	s_xor_b64 s[28:29], exec, vcc
; %bb.22451:                            ;   in Loop: Header=BB6_22430 Depth=3
	v_min_i32_e32 v2, 15, v3
	v_lshl_or_b32 v1, v2, 3, v1
	v_and_or_b32 v2, v14, 7, v1
                                        ; implicit-def: $vgpr1
; %bb.22452:                            ;   in Loop: Header=BB6_22430 Depth=3
	s_andn2_saveexec_b64 s[28:29], s[28:29]
; %bb.22453:                            ;   in Loop: Header=BB6_22430 Depth=3
	v_mov_b32_e32 v2, v1
; %bb.22454:                            ;   in Loop: Header=BB6_22430 Depth=3
	s_or_b64 exec, exec, s[28:29]
.LBB6_22455:                            ;   in Loop: Header=BB6_22430 Depth=3
	s_or_b64 exec, exec, s[36:37]
                                        ; implicit-def: $vgpr1
.LBB6_22456:                            ;   in Loop: Header=BB6_22430 Depth=3
	s_andn2_saveexec_b64 s[28:29], s[34:35]
; %bb.22457:                            ;   in Loop: Header=BB6_22430 Depth=3
	v_or_b32_e32 v2, 0x7e, v1
; %bb.22458:                            ;   in Loop: Header=BB6_22430 Depth=3
	s_or_b64 exec, exec, s[28:29]
                                        ; implicit-def: $vgpr3
.LBB6_22459:                            ;   in Loop: Header=BB6_22430 Depth=3
	s_andn2_saveexec_b64 s[28:29], s[30:31]
; %bb.22460:                            ;   in Loop: Header=BB6_22430 Depth=3
	v_or_b32_sdwa v2, v3, s86 dst_sel:DWORD dst_unused:UNUSED_PAD src0_sel:BYTE_3 src1_sel:DWORD
; %bb.22461:                            ;   in Loop: Header=BB6_22430 Depth=3
	s_or_b64 exec, exec, s[28:29]
	flat_load_ubyte v3, v[10:11] glc slc
	v_and_b32_e32 v14, 0xff, v2
	v_cmp_ne_u16_e32 vcc, 0, v14
	v_mov_b32_e32 v1, 0
	v_mov_b32_e32 v4, 0
	s_and_saveexec_b64 s[28:29], vcc
	s_cbranch_execz .LBB6_22467
; %bb.22462:                            ;   in Loop: Header=BB6_22430 Depth=3
	v_cmp_ne_u16_e32 vcc, s96, v14
	v_bfrev_b32_e32 v4, 1
	s_and_saveexec_b64 s[30:31], vcc
	s_cbranch_execz .LBB6_22466
; %bb.22463:                            ;   in Loop: Header=BB6_22430 Depth=3
	v_and_b32_e32 v5, 0x7f, v2
	v_cmp_ne_u32_e32 vcc, s86, v5
	v_mov_b32_e32 v4, 0x7f800001
	s_and_saveexec_b64 s[34:35], vcc
	s_cbranch_execz .LBB6_22465
; %bb.22464:                            ;   in Loop: Header=BB6_22430 Depth=3
	v_and_b32_e32 v6, 7, v14
	v_ffbh_u32_e32 v4, v6
	v_min_u32_e32 v15, 32, v4
	v_subrev_u32_e32 v4, 28, v15
	v_lshrrev_b32_e32 v7, 3, v5
	v_cmp_gt_u32_e32 vcc, 8, v5
	v_lshlrev_b64 v[4:5], v4, v[14:15]
	v_sub_u32_e32 v5, 29, v15
	v_and_b32_e32 v4, 7, v4
	v_cndmask_b32_e32 v5, v7, v5, vcc
	v_cndmask_b32_e32 v4, v6, v4, vcc
	v_lshlrev_b32_e32 v2, 24, v2
	v_bfrev_b32_e32 v6, 60
	v_lshlrev_b32_e32 v4, 20, v4
	v_and_b32_e32 v2, 0x80000000, v2
	v_lshl_add_u32 v5, v5, 23, v6
	v_or3_b32 v4, v2, v5, v4
.LBB6_22465:                            ;   in Loop: Header=BB6_22430 Depth=3
	s_or_b64 exec, exec, s[34:35]
.LBB6_22466:                            ;   in Loop: Header=BB6_22430 Depth=3
	s_or_b64 exec, exec, s[30:31]
.LBB6_22467:                            ;   in Loop: Header=BB6_22430 Depth=3
	s_or_b64 exec, exec, s[28:29]
	s_waitcnt vmcnt(0) lgkmcnt(0)
	v_and_b32_e32 v14, 0xff, v3
	v_cmp_ne_u16_e32 vcc, 0, v14
	s_and_saveexec_b64 s[28:29], vcc
	s_cbranch_execz .LBB6_22473
; %bb.22468:                            ;   in Loop: Header=BB6_22430 Depth=3
	v_cmp_ne_u16_e32 vcc, s96, v14
	v_bfrev_b32_e32 v1, 1
	s_and_saveexec_b64 s[30:31], vcc
	s_cbranch_execz .LBB6_22472
; %bb.22469:                            ;   in Loop: Header=BB6_22430 Depth=3
	v_and_b32_e32 v2, 0x7f, v3
	v_cmp_ne_u32_e32 vcc, s86, v2
	v_mov_b32_e32 v1, 0x7f800001
	s_and_saveexec_b64 s[34:35], vcc
	s_cbranch_execz .LBB6_22471
; %bb.22470:                            ;   in Loop: Header=BB6_22430 Depth=3
	v_and_b32_e32 v5, 7, v14
	v_lshlrev_b32_e32 v1, 24, v3
	v_and_b32_e32 v3, 0x80000000, v1
	v_ffbh_u32_e32 v1, v5
	v_min_u32_e32 v7, 32, v1
	v_subrev_u32_e32 v1, 28, v7
	v_lshrrev_b32_e32 v6, 3, v2
	v_cmp_gt_u32_e32 vcc, 8, v2
	v_lshlrev_b64 v[1:2], v1, v[14:15]
	v_sub_u32_e32 v2, 29, v7
	v_and_b32_e32 v1, 7, v1
	v_cndmask_b32_e32 v2, v6, v2, vcc
	v_cndmask_b32_e32 v1, v5, v1, vcc
	v_bfrev_b32_e32 v5, 60
	v_lshlrev_b32_e32 v1, 20, v1
	v_lshl_add_u32 v2, v2, 23, v5
	v_or3_b32 v1, v3, v2, v1
.LBB6_22471:                            ;   in Loop: Header=BB6_22430 Depth=3
	s_or_b64 exec, exec, s[34:35]
.LBB6_22472:                            ;   in Loop: Header=BB6_22430 Depth=3
	s_or_b64 exec, exec, s[30:31]
.LBB6_22473:                            ;   in Loop: Header=BB6_22430 Depth=3
	s_or_b64 exec, exec, s[28:29]
	v_add_f32_e32 v3, v4, v1
	v_and_b32_e32 v1, 0x7f800000, v3
	v_mov_b32_e32 v2, v51
	v_cmp_ne_u64_e32 vcc, s[76:77], v[1:2]
                                        ; implicit-def: $vgpr2
	s_and_saveexec_b64 s[28:29], vcc
	s_xor_b64 s[30:31], exec, s[28:29]
	s_cbranch_execz .LBB6_22491
; %bb.22474:                            ;   in Loop: Header=BB6_22430 Depth=3
	v_and_b32_e32 v1, 0x7fffffff, v3
	v_mov_b32_e32 v2, v51
	v_cmp_gt_u64_e32 vcc, s[78:79], v[1:2]
	v_and_b32_sdwa v1, v3, s96 dst_sel:DWORD dst_unused:UNUSED_PAD src0_sel:BYTE_3 src1_sel:DWORD
                                        ; implicit-def: $vgpr2
	s_and_saveexec_b64 s[28:29], vcc
	s_xor_b64 s[34:35], exec, s[28:29]
	s_cbranch_execz .LBB6_22488
; %bb.22475:                            ;   in Loop: Header=BB6_22430 Depth=3
	v_cmp_ne_u32_e32 vcc, 0, v3
	v_mov_b32_e32 v2, 0
	s_and_saveexec_b64 s[36:37], vcc
	s_cbranch_execz .LBB6_22487
; %bb.22476:                            ;   in Loop: Header=BB6_22430 Depth=3
	v_bfe_u32 v2, v3, 23, 8
	v_and_b32_e32 v4, 0x7fffff, v3
	v_cmp_gt_u32_e64 s[28:29], s97, v2
	v_sub_u32_e32 v3, 0x79, v2
	v_cmp_eq_u32_e32 vcc, 0, v2
	v_cndmask_b32_e64 v3, 0, v3, s[28:29]
	v_mov_b32_e32 v6, 0x78
	v_cndmask_b32_e32 v3, v3, v6, vcc
	v_add_u32_e32 v6, 20, v3
	v_or_b32_e32 v5, 0x800000, v4
	v_lshlrev_b64 v[6:7], v6, -1
	v_add_u32_e32 v14, 19, v3
	v_cndmask_b32_e32 v4, v5, v4, vcc
	v_lshlrev_b64 v[14:15], v14, 1
	v_mov_b32_e32 v5, v51
	v_bfi_b32 v7, v7, 0, 0
	v_bfi_b32 v6, v6, 0, v4
	v_cmp_eq_u64_e64 s[28:29], v[6:7], v[14:15]
	v_lshrrev_b64 v[14:15], v3, v[4:5]
	v_mov_b32_e32 v16, v15
	v_mov_b32_e32 v15, v14
	s_and_saveexec_b64 s[38:39], s[28:29]
; %bb.22477:                            ;   in Loop: Header=BB6_22430 Depth=3
	v_bfe_u32 v4, v14, 20, 1
	v_add_co_u32_e64 v4, s[28:29], v14, v4
	v_add_co_u32_e64 v15, s[28:29], -1, v4
; %bb.22478:                            ;   in Loop: Header=BB6_22430 Depth=3
	s_or_b64 exec, exec, s[38:39]
	v_add_u32_e32 v2, 0xffffff81, v2
	v_mov_b32_e32 v4, 0xffffff82
	v_cndmask_b32_e32 v2, v2, v4, vcc
	v_lshrrev_b32_e32 v4, 23, v14
	v_add3_u32 v4, v3, v2, v4
	v_add_u32_e32 v2, 6, v4
	v_and_b32_e32 v3, 0xfffff, v15
	v_add_u32_e32 v14, v3, v14
	v_mov_b32_e32 v15, v51
	v_cmp_ne_u32_e32 vcc, 0, v2
                                        ; implicit-def: $vgpr3
	s_and_saveexec_b64 s[28:29], vcc
	s_xor_b64 s[28:29], exec, s[28:29]
; %bb.22479:                            ;   in Loop: Header=BB6_22430 Depth=3
	v_cmp_lt_u64_e32 vcc, s[88:89], v[14:15]
	v_add_u32_e32 v3, 7, v4
	v_cndmask_b32_e32 v3, v2, v3, vcc
	v_cndmask_b32_e64 v2, 0, 1, vcc
	v_lshrrev_b64 v[14:15], v2, v[14:15]
; %bb.22480:                            ;   in Loop: Header=BB6_22430 Depth=3
	s_andn2_saveexec_b64 s[28:29], s[28:29]
; %bb.22481:                            ;   in Loop: Header=BB6_22430 Depth=3
	v_bfe_u32 v3, v14, 23, 1
; %bb.22482:                            ;   in Loop: Header=BB6_22430 Depth=3
	s_or_b64 exec, exec, s[28:29]
	v_lshrrev_b64 v[4:5], 20, v[14:15]
	v_cmp_gt_i32_e32 vcc, 16, v3
	v_cndmask_b32_e32 v15, 0, v5, vcc
	v_cndmask_b32_e32 v14, 7, v4, vcc
	v_cmp_ne_u64_e32 vcc, 0, v[14:15]
	v_cmp_ne_u32_e64 s[28:29], 0, v3
	s_or_b64 s[28:29], s[28:29], vcc
                                        ; implicit-def: $vgpr2
	s_and_saveexec_b64 vcc, s[28:29]
	s_xor_b64 s[28:29], exec, vcc
; %bb.22483:                            ;   in Loop: Header=BB6_22430 Depth=3
	v_min_i32_e32 v2, 15, v3
	v_lshl_or_b32 v1, v2, 3, v1
	v_and_or_b32 v2, v14, 7, v1
                                        ; implicit-def: $vgpr1
; %bb.22484:                            ;   in Loop: Header=BB6_22430 Depth=3
	s_andn2_saveexec_b64 s[28:29], s[28:29]
; %bb.22485:                            ;   in Loop: Header=BB6_22430 Depth=3
	v_mov_b32_e32 v2, v1
; %bb.22486:                            ;   in Loop: Header=BB6_22430 Depth=3
	s_or_b64 exec, exec, s[28:29]
.LBB6_22487:                            ;   in Loop: Header=BB6_22430 Depth=3
	s_or_b64 exec, exec, s[36:37]
                                        ; implicit-def: $vgpr1
.LBB6_22488:                            ;   in Loop: Header=BB6_22430 Depth=3
	s_andn2_saveexec_b64 s[28:29], s[34:35]
; %bb.22489:                            ;   in Loop: Header=BB6_22430 Depth=3
	v_or_b32_e32 v2, 0x7e, v1
; %bb.22490:                            ;   in Loop: Header=BB6_22430 Depth=3
	s_or_b64 exec, exec, s[28:29]
                                        ; implicit-def: $vgpr3
.LBB6_22491:                            ;   in Loop: Header=BB6_22430 Depth=3
	s_andn2_saveexec_b64 s[28:29], s[30:31]
	s_cbranch_execz .LBB6_22429
; %bb.22492:                            ;   in Loop: Header=BB6_22430 Depth=3
	v_or_b32_sdwa v2, v3, s86 dst_sel:DWORD dst_unused:UNUSED_PAD src0_sel:BYTE_3 src1_sel:DWORD
	s_branch .LBB6_22429
.LBB6_22493:                            ;   in Loop: Header=BB6_10483 Depth=2
	s_or_b64 exec, exec, s[40:41]
	buffer_load_dword v6, off, s[0:3], s33 offset:444 ; 4-byte Folded Reload
	buffer_load_dword v7, off, s[0:3], s33 offset:448 ; 4-byte Folded Reload
.LBB6_22494:                            ;   in Loop: Header=BB6_10483 Depth=2
	buffer_load_dword v0, off, s[0:3], s33 offset:364 ; 4-byte Folded Reload
	s_waitcnt vmcnt(0)
	v_cmp_lt_i32_e64 s[28:29], 0, v0
	s_and_saveexec_b64 s[40:41], s[12:13]
	s_cbranch_execnz .LBB6_22495
; %bb.23175:                            ;   in Loop: Header=BB6_10483 Depth=2
	s_getpc_b64 s[98:99]
.Lpost_getpc51:
	s_add_u32 s98, s98, (.LBB6_10559-.Lpost_getpc51)&4294967295
	s_addc_u32 s99, s99, (.LBB6_10559-.Lpost_getpc51)>>32
	s_setpc_b64 s[98:99]
.LBB6_22495:                            ;   in Loop: Header=BB6_10483 Depth=2
	s_and_saveexec_b64 s[42:43], s[58:59]
	s_xor_b64 s[42:43], exec, s[42:43]
	s_cbranch_execz .LBB6_22510
; %bb.22496:                            ;   in Loop: Header=BB6_10483 Depth=2
	s_and_saveexec_b64 s[30:31], s[6:7]
	s_cbranch_execz .LBB6_22509
; %bb.22497:                            ;   in Loop: Header=BB6_10483 Depth=2
	s_mov_b64 s[36:37], exec
	v_mbcnt_lo_u32_b32 v0, s36, 0
	v_mbcnt_hi_u32_b32 v0, s37, v0
	v_cmp_eq_u32_e32 vcc, 0, v0
	s_waitcnt vmcnt(0) lgkmcnt(0)
	buffer_wbinvl1_vol
	s_and_saveexec_b64 s[34:35], vcc
	s_cbranch_execz .LBB6_22499
; %bb.22498:                            ;   in Loop: Header=BB6_10483 Depth=2
	s_bcnt1_i32_b64 s9, s[36:37]
	v_mov_b32_e32 v0, s9
	v_mov_b32_e32 v1, v51
	ds_add_u64 v0, v[0:1]
	s_trap 2
.LBB6_22499:                            ;   in Loop: Header=BB6_10483 Depth=2
	s_or_b64 exec, exec, s[34:35]
	s_trap 2
	ds_read_b64 v[0:1], v0
	s_waitcnt lgkmcnt(0)
	buffer_load_dword v2, off, s[0:3], s33 offset:76 ; 4-byte Folded Reload
	buffer_load_dword v3, off, s[0:3], s33 offset:80 ; 4-byte Folded Reload
	;; [unrolled: 1-line block ×3, first 2 shown]
	s_waitcnt vmcnt(0)
	v_add_co_u32_e32 v2, vcc, v2, v4
	v_addc_co_u32_e32 v3, vcc, 0, v3, vcc
	buffer_store_dword v2, off, s[0:3], s33 offset:76 ; 4-byte Folded Spill
	s_nop 0
	buffer_store_dword v3, off, s[0:3], s33 offset:80 ; 4-byte Folded Spill
	v_cmp_lt_u64_e32 vcc, v[0:1], v[2:3]
	s_and_saveexec_b64 s[34:35], vcc
	s_cbranch_execz .LBB6_22508
; %bb.22500:                            ;   in Loop: Header=BB6_10483 Depth=2
	s_mov_b32 s9, 0
	s_mov_b64 s[36:37], 0
                                        ; implicit-def: $sgpr38_sgpr39
                                        ; implicit-def: $sgpr48_sgpr49
	s_branch .LBB6_22502
.LBB6_22501:                            ;   in Loop: Header=BB6_22502 Depth=3
	s_or_b64 exec, exec, s[52:53]
	s_and_b64 vcc, exec, vcc
	s_or_b64 s[36:37], vcc, s[36:37]
	s_andn2_b64 vcc, s[38:39], exec
	s_and_b64 s[38:39], s[48:49], exec
	s_or_b64 s[38:39], vcc, s[38:39]
	s_andn2_b64 exec, exec, s[36:37]
	s_cbranch_execz .LBB6_22506
.LBB6_22502:                            ;   Parent Loop BB6_47 Depth=1
                                        ;     Parent Loop BB6_10483 Depth=2
                                        ; =>    This Inner Loop Header: Depth=3
	s_add_i32 s9, s9, 1
	s_cmpk_lg_i32 s9, 0x2710
	s_cselect_b64 s[50:51], -1, 0
	s_and_b64 vcc, exec, s[50:51]
	s_cbranch_vccz .LBB6_22504
; %bb.22503:                            ;   in Loop: Header=BB6_22502 Depth=3
	s_mov_b64 vcc, -1
	s_or_b64 s[48:49], s[48:49], exec
	s_and_saveexec_b64 s[52:53], s[50:51]
	s_cbranch_execz .LBB6_22501
	s_branch .LBB6_22505
.LBB6_22504:                            ;   in Loop: Header=BB6_22502 Depth=3
	s_trap 2
	ds_read_b64 v[0:1], v0
	s_andn2_b64 s[50:51], s[50:51], exec
	s_mov_b32 s9, 0
	s_waitcnt vmcnt(0) lgkmcnt(0)
	flat_load_dword v0, v[0:1] glc
	s_waitcnt vmcnt(0) lgkmcnt(0)
	buffer_wbinvl1_vol
	v_cmp_eq_u32_e32 vcc, 0, v0
	s_and_b64 vcc, vcc, exec
	s_or_b64 s[50:51], s[50:51], vcc
	s_mov_b64 vcc, -1
	s_or_b64 s[48:49], s[48:49], exec
	s_and_saveexec_b64 s[52:53], s[50:51]
	s_cbranch_execz .LBB6_22501
.LBB6_22505:                            ;   in Loop: Header=BB6_22502 Depth=3
	s_sleep 1
	s_trap 2
	ds_read_b64 v[0:1], v0
	s_waitcnt lgkmcnt(0)
	buffer_load_dword v2, off, s[0:3], s33 offset:76 ; 4-byte Folded Reload
	buffer_load_dword v3, off, s[0:3], s33 offset:80 ; 4-byte Folded Reload
	s_andn2_b64 s[48:49], s[48:49], exec
	s_waitcnt vmcnt(0)
	v_cmp_ge_u64_e32 vcc, v[0:1], v[2:3]
	s_orn2_b64 vcc, vcc, exec
	s_branch .LBB6_22501
.LBB6_22506:                            ;   in Loop: Header=BB6_10483 Depth=2
	s_or_b64 exec, exec, s[36:37]
	s_and_saveexec_b64 vcc, s[38:39]
	s_xor_b64 vcc, exec, vcc
	s_cbranch_execz .LBB6_22508
; %bb.22507:                            ;   in Loop: Header=BB6_10483 Depth=2
	v_mov_b32_e32 v0, 1
	ds_write_b32 v0, v0
	s_trap 2
.LBB6_22508:                            ;   in Loop: Header=BB6_10483 Depth=2
	s_or_b64 exec, exec, s[34:35]
	;;#ASMSTART
	s_wakeup
	;;#ASMEND
.LBB6_22509:                            ;   in Loop: Header=BB6_10483 Depth=2
	s_or_b64 exec, exec, s[30:31]
.LBB6_22510:                            ;   in Loop: Header=BB6_10483 Depth=2
	s_andn2_saveexec_b64 s[42:43], s[42:43]
	s_cbranch_execz .LBB6_22512
; %bb.22511:                            ;   in Loop: Header=BB6_10483 Depth=2
	s_waitcnt vmcnt(0) lgkmcnt(0)
	buffer_wbinvl1_vol
	s_barrier
.LBB6_22512:                            ;   in Loop: Header=BB6_10483 Depth=2
	s_or_b64 exec, exec, s[42:43]
	s_or_b64 exec, exec, s[40:41]
                                        ; implicit-def: $vgpr0
	s_and_saveexec_b64 s[40:41], s[18:19]
	s_xor_b64 s[40:41], exec, s[40:41]
	s_cbranch_execz .LBB6_22513
; %bb.23177:                            ;   in Loop: Header=BB6_10483 Depth=2
	s_getpc_b64 s[98:99]
.Lpost_getpc52:
	s_add_u32 s98, s98, (.LBB6_10560-.Lpost_getpc52)&4294967295
	s_addc_u32 s99, s99, (.LBB6_10560-.Lpost_getpc52)>>32
	s_setpc_b64 s[98:99]
.LBB6_22513:                            ;   in Loop: Header=BB6_10483 Depth=2
	s_andn2_saveexec_b64 s[28:29], s[40:41]
	s_cbranch_execz .LBB6_22532
.LBB6_22514:                            ;   in Loop: Header=BB6_10483 Depth=2
	s_and_saveexec_b64 s[40:41], s[58:59]
	s_xor_b64 s[40:41], exec, s[40:41]
	s_cbranch_execz .LBB6_22529
; %bb.22515:                            ;   in Loop: Header=BB6_10483 Depth=2
	s_and_saveexec_b64 s[42:43], s[6:7]
	s_cbranch_execz .LBB6_22528
; %bb.22516:                            ;   in Loop: Header=BB6_10483 Depth=2
	s_mov_b64 s[34:35], exec
	v_mbcnt_lo_u32_b32 v0, s34, 0
	v_mbcnt_hi_u32_b32 v0, s35, v0
	v_cmp_eq_u32_e32 vcc, 0, v0
	;;#ASMSTART
	s_waitcnt lgkmcnt(0) vmcnt(0)
	;;#ASMEND
	s_and_saveexec_b64 s[30:31], vcc
	s_cbranch_execz .LBB6_22518
; %bb.22517:                            ;   in Loop: Header=BB6_10483 Depth=2
	s_bcnt1_i32_b64 s9, s[34:35]
	v_mov_b32_e32 v0, s9
	v_mov_b32_e32 v1, v51
	s_waitcnt lgkmcnt(0)
	ds_add_u64 v0, v[0:1]
	s_trap 2
.LBB6_22518:                            ;   in Loop: Header=BB6_10483 Depth=2
	s_or_b64 exec, exec, s[30:31]
	s_trap 2
	ds_read_b64 v[0:1], v0
	s_waitcnt lgkmcnt(0)
	buffer_load_dword v2, off, s[0:3], s33 offset:76 ; 4-byte Folded Reload
	buffer_load_dword v3, off, s[0:3], s33 offset:80 ; 4-byte Folded Reload
	;; [unrolled: 1-line block ×3, first 2 shown]
	s_waitcnt vmcnt(0)
	v_add_co_u32_e32 v2, vcc, v2, v4
	v_addc_co_u32_e32 v3, vcc, 0, v3, vcc
	buffer_store_dword v2, off, s[0:3], s33 offset:76 ; 4-byte Folded Spill
	s_nop 0
	buffer_store_dword v3, off, s[0:3], s33 offset:80 ; 4-byte Folded Spill
	v_cmp_lt_u64_e32 vcc, v[0:1], v[2:3]
	s_and_saveexec_b64 s[30:31], vcc
	s_cbranch_execz .LBB6_22527
; %bb.22519:                            ;   in Loop: Header=BB6_10483 Depth=2
	s_mov_b32 s9, 0
	s_mov_b64 s[34:35], 0
                                        ; implicit-def: $sgpr36_sgpr37
                                        ; implicit-def: $sgpr38_sgpr39
	s_branch .LBB6_22521
.LBB6_22520:                            ;   in Loop: Header=BB6_22521 Depth=3
	s_or_b64 exec, exec, s[50:51]
	s_and_b64 vcc, exec, vcc
	s_or_b64 s[34:35], vcc, s[34:35]
	s_andn2_b64 vcc, s[36:37], exec
	s_and_b64 s[36:37], s[38:39], exec
	s_or_b64 s[36:37], vcc, s[36:37]
	s_andn2_b64 exec, exec, s[34:35]
	s_cbranch_execz .LBB6_22525
.LBB6_22521:                            ;   Parent Loop BB6_47 Depth=1
                                        ;     Parent Loop BB6_10483 Depth=2
                                        ; =>    This Inner Loop Header: Depth=3
	s_add_i32 s9, s9, 1
	s_cmpk_lg_i32 s9, 0x2710
	s_cselect_b64 s[48:49], -1, 0
	s_and_b64 vcc, exec, s[48:49]
	s_cbranch_vccz .LBB6_22523
; %bb.22522:                            ;   in Loop: Header=BB6_22521 Depth=3
	s_mov_b64 vcc, -1
	s_or_b64 s[38:39], s[38:39], exec
	s_and_saveexec_b64 s[50:51], s[48:49]
	s_cbranch_execz .LBB6_22520
	s_branch .LBB6_22524
.LBB6_22523:                            ;   in Loop: Header=BB6_22521 Depth=3
	s_trap 2
	ds_read_b64 v[0:1], v0
	s_andn2_b64 s[48:49], s[48:49], exec
	s_mov_b32 s9, 0
	s_waitcnt vmcnt(0) lgkmcnt(0)
	flat_load_dword v0, v[0:1] glc
	s_waitcnt vmcnt(0) lgkmcnt(0)
	buffer_wbinvl1_vol
	v_cmp_eq_u32_e32 vcc, 0, v0
	s_and_b64 vcc, vcc, exec
	s_or_b64 s[48:49], s[48:49], vcc
	s_mov_b64 vcc, -1
	s_or_b64 s[38:39], s[38:39], exec
	s_and_saveexec_b64 s[50:51], s[48:49]
	s_cbranch_execz .LBB6_22520
.LBB6_22524:                            ;   in Loop: Header=BB6_22521 Depth=3
	s_sleep 1
	s_trap 2
	ds_read_b64 v[0:1], v0
	s_waitcnt lgkmcnt(0)
	buffer_load_dword v2, off, s[0:3], s33 offset:76 ; 4-byte Folded Reload
	buffer_load_dword v3, off, s[0:3], s33 offset:80 ; 4-byte Folded Reload
	s_andn2_b64 s[38:39], s[38:39], exec
	s_waitcnt vmcnt(0)
	v_cmp_ge_u64_e32 vcc, v[0:1], v[2:3]
	s_orn2_b64 vcc, vcc, exec
	s_branch .LBB6_22520
.LBB6_22525:                            ;   in Loop: Header=BB6_10483 Depth=2
	s_or_b64 exec, exec, s[34:35]
	s_and_saveexec_b64 vcc, s[36:37]
	s_xor_b64 vcc, exec, vcc
	s_cbranch_execz .LBB6_22527
; %bb.22526:                            ;   in Loop: Header=BB6_10483 Depth=2
	v_mov_b32_e32 v0, 1
	ds_write_b32 v0, v0
	s_trap 2
.LBB6_22527:                            ;   in Loop: Header=BB6_10483 Depth=2
	s_or_b64 exec, exec, s[30:31]
	;;#ASMSTART
	s_wakeup
	;;#ASMEND
.LBB6_22528:                            ;   in Loop: Header=BB6_10483 Depth=2
	s_or_b64 exec, exec, s[42:43]
.LBB6_22529:                            ;   in Loop: Header=BB6_10483 Depth=2
	s_andn2_saveexec_b64 s[40:41], s[40:41]
	s_cbranch_execz .LBB6_22531
; %bb.22530:                            ;   in Loop: Header=BB6_10483 Depth=2
	;;#ASMSTART
	s_waitcnt lgkmcnt(0) vmcnt(0)
	;;#ASMEND
	s_waitcnt vmcnt(0) lgkmcnt(0)
	s_barrier
.LBB6_22531:                            ;   in Loop: Header=BB6_10483 Depth=2
	s_or_b64 exec, exec, s[40:41]
	buffer_load_dword v0, off, s[0:3], s33 offset:72 ; 4-byte Folded Reload
	s_waitcnt vmcnt(0)
	v_and_b32_e32 v0, 16, v0
.LBB6_22532:                            ;   in Loop: Header=BB6_10483 Depth=2
	s_or_b64 exec, exec, s[28:29]
	v_cmp_ne_u32_e32 vcc, 0, v0
	s_xor_b64 s[28:29], s[20:21], -1
	s_and_b64 s[40:41], vcc, s[28:29]
	s_and_saveexec_b64 s[28:29], s[40:41]
	s_cbranch_execz .LBB6_22534
; %bb.22533:                            ;   in Loop: Header=BB6_10483 Depth=2
	buffer_load_dword v0, off, s[0:3], s33 offset:348 ; 4-byte Folded Reload
	buffer_load_dword v1, off, s[0:3], s33 offset:352 ; 4-byte Folded Reload
	v_mov_b32_e32 v2, 1
	s_waitcnt vmcnt(0)
	flat_store_dword v[0:1], v2
.LBB6_22534:                            ;   in Loop: Header=BB6_10483 Depth=2
	s_or_b64 exec, exec, s[28:29]
	buffer_load_dword v0, off, s[0:3], s33 offset:72 ; 4-byte Folded Reload
	s_waitcnt vmcnt(0)
	v_and_b32_e32 v0, 48, v0
	v_cmp_ne_u32_e32 vcc, 0, v0
	s_and_saveexec_b64 s[28:29], vcc
	s_cbranch_execnz .LBB6_22535
; %bb.23179:                            ;   in Loop: Header=BB6_10483 Depth=2
	s_getpc_b64 s[98:99]
.Lpost_getpc53:
	s_add_u32 s98, s98, (.LBB6_10482-.Lpost_getpc53)&4294967295
	s_addc_u32 s99, s99, (.LBB6_10482-.Lpost_getpc53)>>32
	s_setpc_b64 s[98:99]
.LBB6_22535:                            ;   in Loop: Header=BB6_10483 Depth=2
	buffer_load_dword v2, off, s[0:3], s33 offset:84 ; 4-byte Folded Reload
	buffer_load_dword v3, off, s[0:3], s33 offset:88 ; 4-byte Folded Reload
	;; [unrolled: 1-line block ×4, first 2 shown]
	s_waitcnt vmcnt(0)
	v_add_co_u32_e32 v2, vcc, 2, v2
	v_addc_co_u32_e32 v3, vcc, 0, v3, vcc
	buffer_store_dword v2, off, s[0:3], s33 offset:84 ; 4-byte Folded Spill
	s_nop 0
	buffer_store_dword v3, off, s[0:3], s33 offset:88 ; 4-byte Folded Spill
	flat_store_dwordx2 v[0:1], v[2:3]
; %bb.23129:                            ;   in Loop: Header=BB6_10483 Depth=2
	s_getpc_b64 s[98:99]
.Lpost_getpc28:
	s_add_u32 s98, s98, (.LBB6_10482-.Lpost_getpc28)&4294967295
	s_addc_u32 s99, s99, (.LBB6_10482-.Lpost_getpc28)>>32
	s_setpc_b64 s[98:99]
.LBB6_22536:                            ;   in Loop: Header=BB6_47 Depth=1
	s_or_b64 exec, exec, s[90:91]
	v_cmp_gt_i32_e32 vcc, 2, v0
	s_and_saveexec_b64 s[40:41], vcc
	s_cbranch_execz .LBB6_22612
.LBB6_22537:                            ;   in Loop: Header=BB6_47 Depth=1
	buffer_load_dword v1, off, s[0:3], s33 offset:172 ; 4-byte Folded Reload
	v_cmp_eq_u32_e64 s[90:91], 0, v0
	s_mov_b64 s[42:43], 0
	s_branch .LBB6_22539
.LBB6_22538:                            ;   in Loop: Header=BB6_22539 Depth=2
	s_or_b64 exec, exec, s[28:29]
	v_mov_b32_e32 v1, v14
	v_add_u32_e32 v1, v6, v1
	s_mov_b64 s[90:91], 0
	s_andn2_b64 exec, exec, s[42:43]
	s_cbranch_execz .LBB6_22613
.LBB6_22539:                            ;   Parent Loop BB6_47 Depth=1
                                        ; =>  This Loop Header: Depth=2
                                        ;       Child Loop BB6_22545 Depth 3
                                        ;       Child Loop BB6_22573 Depth 3
	;; [unrolled: 1-line block ×3, first 2 shown]
	buffer_load_dword v0, off, s[0:3], s33 offset:360 ; 4-byte Folded Reload
	s_waitcnt vmcnt(0)
	v_mov_b32_e32 v14, v1
	v_sub_u32_e32 v0, v0, v1
	v_min_i32_e32 v6, v6, v0
	buffer_load_dword v0, off, s[0:3], s33 offset:72 ; 4-byte Folded Reload
	s_waitcnt vmcnt(0)
	v_and_b32_e32 v0, 12, v0
	v_cmp_ne_u32_e32 vcc, 0, v0
	s_and_saveexec_b64 s[92:93], vcc
	s_cbranch_execz .LBB6_22565
; %bb.22540:                            ;   in Loop: Header=BB6_22539 Depth=2
	buffer_load_dword v0, off, s[0:3], s33 offset:72 ; 4-byte Folded Reload
	buffer_load_dword v1, off, s[0:3], s33 offset:56 ; 4-byte Folded Reload
	;; [unrolled: 1-line block ×5, first 2 shown]
	s_waitcnt vmcnt(0)
	v_and_b32_e32 v0, 8, v0
	v_add_co_u32_e32 v1, vcc, v1, v0
	v_addc_co_u32_e32 v2, vcc, 0, v2, vcc
	v_add_co_u32_e32 v8, vcc, 2, v3
	v_addc_co_u32_e32 v9, vcc, 0, v4, vcc
	v_cmp_lt_u64_e32 vcc, v[1:2], v[8:9]
	s_and_saveexec_b64 s[94:95], vcc
	s_cbranch_execz .LBB6_22552
; %bb.22541:                            ;   in Loop: Header=BB6_22539 Depth=2
	buffer_load_dword v1, off, s[0:3], s33 offset:72 ; 4-byte Folded Reload
	s_mov_b32 s9, 0
	s_mov_b64 s[30:31], 0
                                        ; implicit-def: $sgpr34_sgpr35
                                        ; implicit-def: $sgpr36_sgpr37
                                        ; implicit-def: $sgpr38_sgpr39
	s_waitcnt vmcnt(0)
	v_and_b32_e32 v1, 64, v1
	v_cmp_eq_u32_e32 vcc, 0, v1
	s_branch .LBB6_22545
.LBB6_22542:                            ;   in Loop: Header=BB6_22545 Depth=3
	buffer_load_dword v2, off, s[0:3], s33 offset:56 ; 4-byte Folded Reload
	buffer_load_dword v3, off, s[0:3], s33 offset:60 ; 4-byte Folded Reload
	s_or_b64 s[52:53], s[52:53], exec
	s_waitcnt vmcnt(1)
	v_add_co_u32_e64 v2, s[28:29], v2, v0
	s_waitcnt vmcnt(0)
	v_addc_co_u32_e64 v3, s[28:29], 0, v3, s[28:29]
	v_cmp_ge_u64_e64 s[28:29], v[2:3], v[8:9]
	s_orn2_b64 s[50:51], s[28:29], exec
.LBB6_22543:                            ;   in Loop: Header=BB6_22545 Depth=3
	s_or_b64 exec, exec, s[64:65]
	s_andn2_b64 s[28:29], s[38:39], exec
	s_and_b64 s[38:39], s[52:53], exec
	s_or_b64 s[38:39], s[28:29], s[38:39]
	s_andn2_b64 s[28:29], s[36:37], exec
	s_and_b64 s[36:37], s[50:51], exec
	s_or_b64 s[36:37], s[28:29], s[36:37]
.LBB6_22544:                            ;   in Loop: Header=BB6_22545 Depth=3
	s_or_b64 exec, exec, s[48:49]
	s_and_b64 s[28:29], exec, s[36:37]
	s_or_b64 s[30:31], s[28:29], s[30:31]
	s_andn2_b64 s[28:29], s[34:35], exec
	s_and_b64 s[34:35], s[38:39], exec
	s_or_b64 s[34:35], s[28:29], s[34:35]
	s_andn2_b64 exec, exec, s[30:31]
	s_cbranch_execz .LBB6_22549
.LBB6_22545:                            ;   Parent Loop BB6_47 Depth=1
                                        ;     Parent Loop BB6_22539 Depth=2
                                        ; =>    This Inner Loop Header: Depth=3
	s_sleep 1
	buffer_load_dword v1, off, s[0:3], s33 offset:64 ; 4-byte Folded Reload
	buffer_load_dword v2, off, s[0:3], s33 offset:68 ; 4-byte Folded Reload
	s_or_b64 s[38:39], s[38:39], exec
	s_or_b64 s[36:37], s[36:37], exec
	s_waitcnt vmcnt(0)
	flat_load_dwordx2 v[1:2], v[1:2] glc
	s_waitcnt vmcnt(0) lgkmcnt(0)
	buffer_store_dword v1, off, s[0:3], s33 offset:56 ; 4-byte Folded Spill
	s_nop 0
	buffer_store_dword v2, off, s[0:3], s33 offset:60 ; 4-byte Folded Spill
                                        ; implicit-def: $vgpr1
	s_and_saveexec_b64 s[48:49], vcc
	s_cbranch_execz .LBB6_22544
; %bb.22546:                            ;   in Loop: Header=BB6_22545 Depth=3
	s_cmpk_lt_i32 s9, 0x270f
	s_cselect_b64 s[54:55], -1, 0
	s_cmpk_gt_i32 s9, 0x270e
	s_mov_b64 s[50:51], -1
	s_cbranch_scc0 .LBB6_22548
; %bb.22547:                            ;   in Loop: Header=BB6_22545 Depth=3
	s_trap 2
	ds_read_b64 v[1:2], v0
	s_andn2_b64 s[54:55], s[54:55], exec
	s_mov_b32 s9, 0
	s_mov_b64 s[52:53], 0
	s_waitcnt vmcnt(0) lgkmcnt(0)
	flat_load_dword v1, v[1:2] glc
	s_waitcnt vmcnt(0) lgkmcnt(0)
	buffer_wbinvl1_vol
	v_cmp_eq_u32_e64 s[28:29], 0, v1
	s_and_b64 s[28:29], s[28:29], exec
	s_or_b64 s[54:55], s[54:55], s[28:29]
	s_and_saveexec_b64 s[64:65], s[54:55]
	s_cbranch_execz .LBB6_22543
	s_branch .LBB6_22542
.LBB6_22548:                            ;   in Loop: Header=BB6_22545 Depth=3
	s_add_i32 s9, s9, 1
	s_mov_b64 s[52:53], -1
                                        ; implicit-def: $vgpr1
	s_and_saveexec_b64 s[64:65], s[54:55]
	s_cbranch_execz .LBB6_22543
	s_branch .LBB6_22542
.LBB6_22549:                            ;   in Loop: Header=BB6_22539 Depth=2
	s_or_b64 exec, exec, s[30:31]
	s_xor_b64 s[28:29], s[34:35], -1
	s_and_saveexec_b64 vcc, s[28:29]
	s_xor_b64 s[28:29], exec, vcc
	s_cbranch_execz .LBB6_22551
; %bb.22550:                            ;   in Loop: Header=BB6_22539 Depth=2
	ds_write_b32 v0, v1
	s_trap 2
	buffer_load_dword v1, off, s[0:3], s33 offset:72 ; 4-byte Folded Reload
	s_waitcnt vmcnt(0)
	v_or_b32_e32 v1, 64, v1
	buffer_store_dword v1, off, s[0:3], s33 offset:72 ; 4-byte Folded Spill
.LBB6_22551:                            ;   in Loop: Header=BB6_22539 Depth=2
	s_or_b64 exec, exec, s[28:29]
.LBB6_22552:                            ;   in Loop: Header=BB6_22539 Depth=2
	s_or_b64 exec, exec, s[94:95]
	;;#ASMSTART
	s_wakeup
	;;#ASMEND
	buffer_load_dword v1, off, s[0:3], s33 offset:72 ; 4-byte Folded Reload
                                        ; implicit-def: $vgpr10_vgpr11
	s_waitcnt vmcnt(0)
	v_and_b32_e32 v1, 0x108, v1
	v_cmp_ne_u32_e32 vcc, s44, v1
	s_and_saveexec_b64 s[28:29], vcc
	s_xor_b64 s[28:29], exec, s[28:29]
	s_cbranch_execz .LBB6_22554
; %bb.22553:                            ;   in Loop: Header=BB6_22539 Depth=2
	buffer_load_dword v1, off, s[0:3], s33 offset:84 ; 4-byte Folded Reload
	buffer_load_dword v2, off, s[0:3], s33 offset:88 ; 4-byte Folded Reload
	v_mov_b32_e32 v11, v51
	s_waitcnt vmcnt(0)
	v_and_b32_e32 v10, 7, v1
                                        ; implicit-def: $vgpr1_vgpr2
                                        ; kill: killed $vgpr1_vgpr2
.LBB6_22554:                            ;   in Loop: Header=BB6_22539 Depth=2
	s_andn2_saveexec_b64 s[28:29], s[28:29]
	s_cbranch_execz .LBB6_22556
; %bb.22555:                            ;   in Loop: Header=BB6_22539 Depth=2
	buffer_load_dword v1, off, s[0:3], s33 offset:84 ; 4-byte Folded Reload
	buffer_load_dword v2, off, s[0:3], s33 offset:88 ; 4-byte Folded Reload
	v_mov_b32_e32 v11, v51
	v_ashrrev_i32_e32 v7, 31, v6
	s_waitcnt vmcnt(0)
	v_and_b32_e32 v10, 7, v1
	buffer_load_dword v1, off, s[0:3], s33 offset:332 ; 4-byte Folded Reload
	buffer_load_dword v2, off, s[0:3], s33 offset:336 ; 4-byte Folded Reload
	;; [unrolled: 1-line block ×4, first 2 shown]
	s_waitcnt vmcnt(0)
	v_mad_u64_u32 v[1:2], s[94:95], v10, 24, v[1:2]
	flat_store_dwordx2 v[1:2], v[6:7] offset:8
.LBB6_22556:                            ;   in Loop: Header=BB6_22539 Depth=2
	s_or_b64 exec, exec, s[28:29]
	buffer_load_dword v1, off, s[0:3], s33 offset:72 ; 4-byte Folded Reload
	s_mov_b64 s[28:29], -1
                                        ; implicit-def: $vgpr12_vgpr13
	s_waitcnt vmcnt(0)
	v_and_b32_e32 v1, 0x100, v1
	v_cmp_ne_u32_e32 vcc, 0, v1
	s_and_saveexec_b64 s[94:95], vcc
	s_cbranch_execz .LBB6_22560
; %bb.22557:                            ;   in Loop: Header=BB6_22539 Depth=2
	buffer_load_dword v1, off, s[0:3], s33 offset:332 ; 4-byte Folded Reload
	buffer_load_dword v2, off, s[0:3], s33 offset:336 ; 4-byte Folded Reload
	buffer_load_dword v3, off, s[0:3], s33 offset:340 ; 4-byte Folded Reload
	buffer_load_dword v4, off, s[0:3], s33 offset:344 ; 4-byte Folded Reload
                                        ; implicit-def: $vgpr12_vgpr13
	s_waitcnt vmcnt(0)
	v_mad_u64_u32 v[4:5], s[28:29], v10, 24, v[1:2]
	v_mov_b32_e32 v1, v5
	v_mad_u64_u32 v[1:2], s[28:29], v11, 24, v[1:2]
	v_mov_b32_e32 v5, v1
	flat_load_dword v1, v[4:5]
	s_waitcnt vmcnt(0) lgkmcnt(0)
	v_cmp_ne_u32_e32 vcc, 1, v1
	v_cmp_eq_u32_e64 s[28:29], 1, v1
	s_and_saveexec_b64 s[30:31], s[28:29]
	s_cbranch_execz .LBB6_22559
; %bb.22558:                            ;   in Loop: Header=BB6_22539 Depth=2
	flat_load_dword v12, v[4:5] offset:4 glc
	s_waitcnt vmcnt(0) lgkmcnt(0)
	v_ashrrev_i32_e32 v13, 31, v12
.LBB6_22559:                            ;   in Loop: Header=BB6_22539 Depth=2
	s_or_b64 exec, exec, s[30:31]
	s_orn2_b64 s[28:29], vcc, exec
.LBB6_22560:                            ;   in Loop: Header=BB6_22539 Depth=2
	s_or_b64 exec, exec, s[94:95]
	s_and_saveexec_b64 s[94:95], s[28:29]
	s_cbranch_execz .LBB6_22562
; %bb.22561:                            ;   in Loop: Header=BB6_22539 Depth=2
	buffer_load_dword v3, off, s[0:3], s33 offset:368 ; 4-byte Folded Reload
	buffer_load_dword v2, off, s[0:3], s33 offset:388 ; 4-byte Folded Reload
	s_waitcnt vmcnt(0)
	v_mul_lo_u32 v1, v11, v3
	v_mul_lo_u32 v2, v10, v2
	v_mad_u64_u32 v[12:13], s[28:29], v10, v3, 0
	v_add3_u32 v13, v13, v2, v1
.LBB6_22562:                            ;   in Loop: Header=BB6_22539 Depth=2
	s_or_b64 exec, exec, s[94:95]
	v_cmp_eq_u32_e32 vcc, 0, v0
	v_mov_b32_e32 v0, 0x90
	v_mov_b32_e32 v1, 0xd0
	v_cndmask_b32_e32 v2, v1, v0, vcc
	buffer_load_dword v0, off, s[0:3], s33 offset:324 ; 4-byte Folded Reload
	buffer_load_dword v1, off, s[0:3], s33 offset:328 ; 4-byte Folded Reload
	s_waitcnt vmcnt(0)
	v_add_co_u32_e32 v0, vcc, v0, v12
	v_addc_co_u32_e32 v1, vcc, v1, v13, vcc
	v_add_u32_e32 v2, v0, v2
	ds_write_b64 v2, v[0:1] offset:584
	buffer_load_dword v0, off, s[0:3], s33 offset:72 ; 4-byte Folded Reload
	s_waitcnt vmcnt(0)
	v_and_b32_e32 v0, 0x2000, v0
	v_cmp_ne_u32_e32 vcc, 0, v0
	s_and_saveexec_b64 s[28:29], vcc
	s_cbranch_execz .LBB6_22564
; %bb.22563:                            ;   in Loop: Header=BB6_22539 Depth=2
	ds_read_b64 v[0:1], v0 offset:872
	s_waitcnt lgkmcnt(0)
	v_add_co_u32_e32 v0, vcc, 1, v0
	v_addc_co_u32_e32 v1, vcc, 0, v1, vcc
	ds_write_b64 v0, v[0:1] offset:872
.LBB6_22564:                            ;   in Loop: Header=BB6_22539 Depth=2
	s_or_b64 exec, exec, s[28:29]
	buffer_store_dword v8, off, s[0:3], s33 offset:84 ; 4-byte Folded Spill
	s_nop 0
	buffer_store_dword v9, off, s[0:3], s33 offset:88 ; 4-byte Folded Spill
.LBB6_22565:                            ;   in Loop: Header=BB6_22539 Depth=2
	s_or_b64 exec, exec, s[92:93]
	s_xor_b64 s[28:29], s[90:91], -1
	s_and_b64 s[28:29], exec, s[28:29]
	s_or_b64 s[42:43], s[28:29], s[42:43]
	s_and_saveexec_b64 s[28:29], s[12:13]
	s_cbranch_execz .LBB6_22584
; %bb.22566:                            ;   in Loop: Header=BB6_22539 Depth=2
	s_and_saveexec_b64 s[90:91], s[58:59]
	s_xor_b64 s[90:91], exec, s[90:91]
	s_cbranch_execz .LBB6_22581
; %bb.22567:                            ;   in Loop: Header=BB6_22539 Depth=2
	s_and_saveexec_b64 s[92:93], s[6:7]
	s_cbranch_execz .LBB6_22580
; %bb.22568:                            ;   in Loop: Header=BB6_22539 Depth=2
	s_mov_b64 s[30:31], exec
	v_mbcnt_lo_u32_b32 v0, s30, 0
	v_mbcnt_hi_u32_b32 v0, s31, v0
	v_cmp_eq_u32_e32 vcc, 0, v0
	s_waitcnt vmcnt(0) lgkmcnt(0)
	buffer_wbinvl1_vol
	s_and_saveexec_b64 s[94:95], vcc
	s_cbranch_execz .LBB6_22570
; %bb.22569:                            ;   in Loop: Header=BB6_22539 Depth=2
	s_bcnt1_i32_b64 s9, s[30:31]
	v_mov_b32_e32 v0, s9
	v_mov_b32_e32 v1, v51
	ds_add_u64 v0, v[0:1]
	s_trap 2
.LBB6_22570:                            ;   in Loop: Header=BB6_22539 Depth=2
	s_or_b64 exec, exec, s[94:95]
	s_trap 2
	ds_read_b64 v[0:1], v0
	s_waitcnt lgkmcnt(0)
	buffer_load_dword v2, off, s[0:3], s33 offset:76 ; 4-byte Folded Reload
	buffer_load_dword v3, off, s[0:3], s33 offset:80 ; 4-byte Folded Reload
	;; [unrolled: 1-line block ×3, first 2 shown]
	s_waitcnt vmcnt(0)
	v_add_co_u32_e32 v2, vcc, v2, v4
	v_addc_co_u32_e32 v3, vcc, 0, v3, vcc
	buffer_store_dword v2, off, s[0:3], s33 offset:76 ; 4-byte Folded Spill
	s_nop 0
	buffer_store_dword v3, off, s[0:3], s33 offset:80 ; 4-byte Folded Spill
	v_cmp_lt_u64_e32 vcc, v[0:1], v[2:3]
	s_and_saveexec_b64 s[94:95], vcc
	s_cbranch_execz .LBB6_22579
; %bb.22571:                            ;   in Loop: Header=BB6_22539 Depth=2
	s_mov_b32 s9, 0
	s_mov_b64 s[30:31], 0
                                        ; implicit-def: $sgpr34_sgpr35
                                        ; implicit-def: $sgpr36_sgpr37
	s_branch .LBB6_22573
.LBB6_22572:                            ;   in Loop: Header=BB6_22573 Depth=3
	s_or_b64 exec, exec, s[48:49]
	s_and_b64 vcc, exec, vcc
	s_or_b64 s[30:31], vcc, s[30:31]
	s_andn2_b64 vcc, s[34:35], exec
	s_and_b64 s[34:35], s[36:37], exec
	s_or_b64 s[34:35], vcc, s[34:35]
	s_andn2_b64 exec, exec, s[30:31]
	s_cbranch_execz .LBB6_22577
.LBB6_22573:                            ;   Parent Loop BB6_47 Depth=1
                                        ;     Parent Loop BB6_22539 Depth=2
                                        ; =>    This Inner Loop Header: Depth=3
	s_add_i32 s9, s9, 1
	s_cmpk_lg_i32 s9, 0x2710
	s_cselect_b64 s[38:39], -1, 0
	s_and_b64 vcc, exec, s[38:39]
	s_cbranch_vccz .LBB6_22575
; %bb.22574:                            ;   in Loop: Header=BB6_22573 Depth=3
	s_mov_b64 vcc, -1
	s_or_b64 s[36:37], s[36:37], exec
	s_and_saveexec_b64 s[48:49], s[38:39]
	s_cbranch_execz .LBB6_22572
	s_branch .LBB6_22576
.LBB6_22575:                            ;   in Loop: Header=BB6_22573 Depth=3
	s_trap 2
	ds_read_b64 v[0:1], v0
	s_andn2_b64 s[38:39], s[38:39], exec
	s_mov_b32 s9, 0
	s_waitcnt vmcnt(0) lgkmcnt(0)
	flat_load_dword v0, v[0:1] glc
	s_waitcnt vmcnt(0) lgkmcnt(0)
	buffer_wbinvl1_vol
	v_cmp_eq_u32_e32 vcc, 0, v0
	s_and_b64 vcc, vcc, exec
	s_or_b64 s[38:39], s[38:39], vcc
	s_mov_b64 vcc, -1
	s_or_b64 s[36:37], s[36:37], exec
	s_and_saveexec_b64 s[48:49], s[38:39]
	s_cbranch_execz .LBB6_22572
.LBB6_22576:                            ;   in Loop: Header=BB6_22573 Depth=3
	s_sleep 1
	s_trap 2
	ds_read_b64 v[0:1], v0
	s_waitcnt lgkmcnt(0)
	buffer_load_dword v2, off, s[0:3], s33 offset:76 ; 4-byte Folded Reload
	buffer_load_dword v3, off, s[0:3], s33 offset:80 ; 4-byte Folded Reload
	s_andn2_b64 s[36:37], s[36:37], exec
	s_waitcnt vmcnt(0)
	v_cmp_ge_u64_e32 vcc, v[0:1], v[2:3]
	s_orn2_b64 vcc, vcc, exec
	s_branch .LBB6_22572
.LBB6_22577:                            ;   in Loop: Header=BB6_22539 Depth=2
	s_or_b64 exec, exec, s[30:31]
	s_and_saveexec_b64 vcc, s[34:35]
	s_xor_b64 vcc, exec, vcc
	s_cbranch_execz .LBB6_22579
; %bb.22578:                            ;   in Loop: Header=BB6_22539 Depth=2
	v_mov_b32_e32 v0, 1
	ds_write_b32 v0, v0
	s_trap 2
.LBB6_22579:                            ;   in Loop: Header=BB6_22539 Depth=2
	s_or_b64 exec, exec, s[94:95]
	;;#ASMSTART
	s_wakeup
	;;#ASMEND
.LBB6_22580:                            ;   in Loop: Header=BB6_22539 Depth=2
	s_or_b64 exec, exec, s[92:93]
.LBB6_22581:                            ;   in Loop: Header=BB6_22539 Depth=2
	s_andn2_saveexec_b64 s[90:91], s[90:91]
	s_cbranch_execz .LBB6_22583
; %bb.22582:                            ;   in Loop: Header=BB6_22539 Depth=2
	s_waitcnt vmcnt(0) lgkmcnt(0)
	buffer_wbinvl1_vol
	s_barrier
.LBB6_22583:                            ;   in Loop: Header=BB6_22539 Depth=2
	s_or_b64 exec, exec, s[90:91]
.LBB6_22584:                            ;   in Loop: Header=BB6_22539 Depth=2
	s_or_b64 exec, exec, s[28:29]
                                        ; implicit-def: $vgpr0
	s_and_saveexec_b64 s[28:29], s[18:19]
	s_xor_b64 s[28:29], exec, s[28:29]
	s_cbranch_execz .LBB6_22588
; %bb.22585:                            ;   in Loop: Header=BB6_22539 Depth=2
	s_trap 2
	buffer_load_dword v1, off, s[0:3], s33 offset:72 ; 4-byte Folded Reload
	ds_read_b32 v0, v0
	v_cmp_lt_i32_e32 vcc, 0, v6
	s_waitcnt lgkmcnt(0)
	v_readfirstlane_b32 s9, v0
	s_cmp_eq_u32 s9, 0
	s_cselect_b64 s[90:91], -1, 0
	s_and_b64 s[90:91], vcc, s[90:91]
	s_waitcnt vmcnt(0)
	v_and_b32_e32 v0, 16, v1
	v_and_b32_e32 v1, 16, v1
	v_cmp_ne_u32_e32 vcc, 0, v1
	s_and_b64 s[92:93], vcc, s[90:91]
	s_and_saveexec_b64 s[90:91], s[92:93]
	s_cbranch_execz .LBB6_22587
; %bb.22586:                            ;   in Loop: Header=BB6_22539 Depth=2
	v_mov_b32_e32 v0, 1
	buffer_wbinvl1_vol
.LBB6_22587:                            ;   in Loop: Header=BB6_22539 Depth=2
	s_or_b64 exec, exec, s[90:91]
	s_andn2_saveexec_b64 s[28:29], s[28:29]
	s_cbranch_execz .LBB6_22607
	s_branch .LBB6_22589
.LBB6_22588:                            ;   in Loop: Header=BB6_22539 Depth=2
	s_andn2_saveexec_b64 s[28:29], s[28:29]
	s_cbranch_execz .LBB6_22607
.LBB6_22589:                            ;   in Loop: Header=BB6_22539 Depth=2
	s_and_saveexec_b64 s[90:91], s[58:59]
	s_xor_b64 s[90:91], exec, s[90:91]
	s_cbranch_execz .LBB6_22604
; %bb.22590:                            ;   in Loop: Header=BB6_22539 Depth=2
	s_and_saveexec_b64 s[92:93], s[6:7]
	s_cbranch_execz .LBB6_22603
; %bb.22591:                            ;   in Loop: Header=BB6_22539 Depth=2
	s_mov_b64 s[30:31], exec
	v_mbcnt_lo_u32_b32 v0, s30, 0
	v_mbcnt_hi_u32_b32 v0, s31, v0
	v_cmp_eq_u32_e32 vcc, 0, v0
	;;#ASMSTART
	s_waitcnt lgkmcnt(0) vmcnt(0)
	;;#ASMEND
	s_and_saveexec_b64 s[94:95], vcc
	s_cbranch_execz .LBB6_22593
; %bb.22592:                            ;   in Loop: Header=BB6_22539 Depth=2
	s_bcnt1_i32_b64 s9, s[30:31]
	v_mov_b32_e32 v0, s9
	v_mov_b32_e32 v1, v51
	s_waitcnt lgkmcnt(0)
	ds_add_u64 v0, v[0:1]
	s_trap 2
.LBB6_22593:                            ;   in Loop: Header=BB6_22539 Depth=2
	s_or_b64 exec, exec, s[94:95]
	s_trap 2
	ds_read_b64 v[0:1], v0
	s_waitcnt lgkmcnt(0)
	buffer_load_dword v2, off, s[0:3], s33 offset:76 ; 4-byte Folded Reload
	buffer_load_dword v3, off, s[0:3], s33 offset:80 ; 4-byte Folded Reload
	;; [unrolled: 1-line block ×3, first 2 shown]
	s_waitcnt vmcnt(0)
	v_add_co_u32_e32 v2, vcc, v2, v4
	v_addc_co_u32_e32 v3, vcc, 0, v3, vcc
	buffer_store_dword v2, off, s[0:3], s33 offset:76 ; 4-byte Folded Spill
	s_nop 0
	buffer_store_dword v3, off, s[0:3], s33 offset:80 ; 4-byte Folded Spill
	v_cmp_lt_u64_e32 vcc, v[0:1], v[2:3]
	s_and_saveexec_b64 s[94:95], vcc
	s_cbranch_execz .LBB6_22602
; %bb.22594:                            ;   in Loop: Header=BB6_22539 Depth=2
	s_mov_b32 s9, 0
	s_mov_b64 s[30:31], 0
                                        ; implicit-def: $sgpr34_sgpr35
                                        ; implicit-def: $sgpr36_sgpr37
	s_branch .LBB6_22596
.LBB6_22595:                            ;   in Loop: Header=BB6_22596 Depth=3
	s_or_b64 exec, exec, s[48:49]
	s_and_b64 vcc, exec, vcc
	s_or_b64 s[30:31], vcc, s[30:31]
	s_andn2_b64 vcc, s[34:35], exec
	s_and_b64 s[34:35], s[36:37], exec
	s_or_b64 s[34:35], vcc, s[34:35]
	s_andn2_b64 exec, exec, s[30:31]
	s_cbranch_execz .LBB6_22600
.LBB6_22596:                            ;   Parent Loop BB6_47 Depth=1
                                        ;     Parent Loop BB6_22539 Depth=2
                                        ; =>    This Inner Loop Header: Depth=3
	s_add_i32 s9, s9, 1
	s_cmpk_lg_i32 s9, 0x2710
	s_cselect_b64 s[38:39], -1, 0
	s_and_b64 vcc, exec, s[38:39]
	s_cbranch_vccz .LBB6_22598
; %bb.22597:                            ;   in Loop: Header=BB6_22596 Depth=3
	s_mov_b64 vcc, -1
	s_or_b64 s[36:37], s[36:37], exec
	s_and_saveexec_b64 s[48:49], s[38:39]
	s_cbranch_execz .LBB6_22595
	s_branch .LBB6_22599
.LBB6_22598:                            ;   in Loop: Header=BB6_22596 Depth=3
	s_trap 2
	ds_read_b64 v[0:1], v0
	s_andn2_b64 s[38:39], s[38:39], exec
	s_mov_b32 s9, 0
	s_waitcnt vmcnt(0) lgkmcnt(0)
	flat_load_dword v0, v[0:1] glc
	s_waitcnt vmcnt(0) lgkmcnt(0)
	buffer_wbinvl1_vol
	v_cmp_eq_u32_e32 vcc, 0, v0
	s_and_b64 vcc, vcc, exec
	s_or_b64 s[38:39], s[38:39], vcc
	s_mov_b64 vcc, -1
	s_or_b64 s[36:37], s[36:37], exec
	s_and_saveexec_b64 s[48:49], s[38:39]
	s_cbranch_execz .LBB6_22595
.LBB6_22599:                            ;   in Loop: Header=BB6_22596 Depth=3
	s_sleep 1
	s_trap 2
	ds_read_b64 v[0:1], v0
	s_waitcnt lgkmcnt(0)
	buffer_load_dword v2, off, s[0:3], s33 offset:76 ; 4-byte Folded Reload
	buffer_load_dword v3, off, s[0:3], s33 offset:80 ; 4-byte Folded Reload
	s_andn2_b64 s[36:37], s[36:37], exec
	s_waitcnt vmcnt(0)
	v_cmp_ge_u64_e32 vcc, v[0:1], v[2:3]
	s_orn2_b64 vcc, vcc, exec
	s_branch .LBB6_22595
.LBB6_22600:                            ;   in Loop: Header=BB6_22539 Depth=2
	s_or_b64 exec, exec, s[30:31]
	s_and_saveexec_b64 vcc, s[34:35]
	s_xor_b64 vcc, exec, vcc
	s_cbranch_execz .LBB6_22602
; %bb.22601:                            ;   in Loop: Header=BB6_22539 Depth=2
	v_mov_b32_e32 v0, 1
	ds_write_b32 v0, v0
	s_trap 2
.LBB6_22602:                            ;   in Loop: Header=BB6_22539 Depth=2
	s_or_b64 exec, exec, s[94:95]
	;;#ASMSTART
	s_wakeup
	;;#ASMEND
.LBB6_22603:                            ;   in Loop: Header=BB6_22539 Depth=2
	s_or_b64 exec, exec, s[92:93]
.LBB6_22604:                            ;   in Loop: Header=BB6_22539 Depth=2
	s_andn2_saveexec_b64 s[90:91], s[90:91]
	s_cbranch_execz .LBB6_22606
; %bb.22605:                            ;   in Loop: Header=BB6_22539 Depth=2
	;;#ASMSTART
	s_waitcnt lgkmcnt(0) vmcnt(0)
	;;#ASMEND
	s_waitcnt vmcnt(0) lgkmcnt(0)
	s_barrier
.LBB6_22606:                            ;   in Loop: Header=BB6_22539 Depth=2
	s_or_b64 exec, exec, s[90:91]
	buffer_load_dword v0, off, s[0:3], s33 offset:72 ; 4-byte Folded Reload
	s_waitcnt vmcnt(0)
	v_and_b32_e32 v0, 16, v0
.LBB6_22607:                            ;   in Loop: Header=BB6_22539 Depth=2
	s_or_b64 exec, exec, s[28:29]
	v_cmp_ne_u32_e32 vcc, 0, v0
	s_xor_b64 s[28:29], s[20:21], -1
	s_and_b64 s[90:91], vcc, s[28:29]
	s_and_saveexec_b64 s[28:29], s[90:91]
	s_cbranch_execz .LBB6_22609
; %bb.22608:                            ;   in Loop: Header=BB6_22539 Depth=2
	buffer_load_dword v0, off, s[0:3], s33 offset:348 ; 4-byte Folded Reload
	buffer_load_dword v1, off, s[0:3], s33 offset:352 ; 4-byte Folded Reload
	v_mov_b32_e32 v2, 1
	s_waitcnt vmcnt(0)
	flat_store_dword v[0:1], v2
.LBB6_22609:                            ;   in Loop: Header=BB6_22539 Depth=2
	s_or_b64 exec, exec, s[28:29]
	buffer_load_dword v0, off, s[0:3], s33 offset:72 ; 4-byte Folded Reload
	s_waitcnt vmcnt(0)
	v_and_b32_e32 v0, 48, v0
	v_cmp_ne_u32_e32 vcc, 0, v0
	s_and_saveexec_b64 s[28:29], vcc
	s_cbranch_execz .LBB6_22538
; %bb.22610:                            ;   in Loop: Header=BB6_22539 Depth=2
	buffer_load_dword v2, off, s[0:3], s33 offset:84 ; 4-byte Folded Reload
	buffer_load_dword v3, off, s[0:3], s33 offset:88 ; 4-byte Folded Reload
	buffer_load_dword v0, off, s[0:3], s33 offset:64 ; 4-byte Folded Reload
	buffer_load_dword v1, off, s[0:3], s33 offset:68 ; 4-byte Folded Reload
	s_waitcnt vmcnt(0)
	v_add_co_u32_e32 v2, vcc, 2, v2
	v_addc_co_u32_e32 v3, vcc, 0, v3, vcc
	buffer_store_dword v2, off, s[0:3], s33 offset:84 ; 4-byte Folded Spill
	s_nop 0
	buffer_store_dword v3, off, s[0:3], s33 offset:88 ; 4-byte Folded Spill
	flat_store_dwordx2 v[0:1], v[2:3]
	s_branch .LBB6_22538
.LBB6_22611:                            ;   in Loop: Header=BB6_47 Depth=1
	s_or_b64 exec, exec, s[92:93]
	s_or_b64 exec, exec, s[90:91]
	v_cmp_gt_i32_e32 vcc, 2, v0
	s_and_saveexec_b64 s[40:41], vcc
	s_cbranch_execnz .LBB6_22537
.LBB6_22612:                            ;   in Loop: Header=BB6_47 Depth=1
	s_or_b64 exec, exec, s[40:41]
	s_and_b64 vcc, exec, s[26:27]
	s_cbranch_vccz .LBB6_22614
	s_branch .LBB6_22870
.LBB6_22613:                            ;   in Loop: Header=BB6_47 Depth=1
	s_or_b64 exec, exec, s[42:43]
	s_or_b64 exec, exec, s[40:41]
	s_and_b64 vcc, exec, s[26:27]
	s_cbranch_vccnz .LBB6_22870
.LBB6_22614:                            ;   in Loop: Header=BB6_47 Depth=1
	s_mov_b32 s9, 1
.LBB6_22615:                            ;   Parent Loop BB6_47 Depth=1
                                        ; =>  This Loop Header: Depth=2
                                        ;       Child Loop BB6_22618 Depth 3
                                        ;         Child Loop BB6_22626 Depth 4
                                        ;         Child Loop BB6_22654 Depth 4
	;; [unrolled: 1-line block ×9, first 2 shown]
                                        ;           Child Loop BB6_22708 Depth 5
                                        ;         Child Loop BB6_22715 Depth 4
                                        ;         Child Loop BB6_22720 Depth 4
                                        ;           Child Loop BB6_22721 Depth 5
                                        ;         Child Loop BB6_22757 Depth 4
                                        ;         Child Loop BB6_22776 Depth 4
                                        ;       Child Loop BB6_22794 Depth 3
                                        ;         Child Loop BB6_22800 Depth 4
                                        ;         Child Loop BB6_22828 Depth 4
                                        ;         Child Loop BB6_22851 Depth 4
	buffer_load_dword v2, off, s[0:3], s33 offset:592 ; 4-byte Folded Reload
	buffer_load_dword v3, off, s[0:3], s33 offset:596 ; 4-byte Folded Reload
	s_sub_i32 s26, s70, s9
	s_cmp_ge_i32 s26, s66
	s_cselect_b32 s27, s66, 0
	s_sub_i32 s26, s26, s27
	s_ashr_i32 s28, s26, 31
	v_mov_b32_e32 v4, 0
	s_waitcnt vmcnt(0)
	v_mul_lo_u32 v1, v2, s28
	v_mul_lo_u32 v0, v3, s26
	v_mad_u64_u32 v[8:9], s[26:27], v2, s26, 0
	v_add3_u32 v9, v9, v1, v0
	buffer_load_dword v0, off, s[0:3], s33 offset:584 ; 4-byte Folded Reload
	buffer_load_dword v1, off, s[0:3], s33 offset:588 ; 4-byte Folded Reload
	s_waitcnt vmcnt(0)
	v_sub_co_u32_e32 v0, vcc, v0, v8
	v_subb_co_u32_e32 v1, vcc, v1, v9, vcc
	v_cmp_lt_i64_e32 vcc, v[2:3], v[0:1]
	v_cndmask_b32_e32 v1, v0, v2, vcc
	v_max_i32_e32 v0, 0, v1
	v_add_u32_e32 v2, 31, v0
	v_lshrrev_b32_e32 v2, 1, v2
	v_and_b32_e32 v2, 0x3ffffff0, v2
	v_cmp_lt_i32_e32 vcc, 0, v1
	v_max_i32_e32 v12, s81, v2
	s_and_b64 s[26:27], s[74:75], vcc
	v_mov_b32_e32 v1, 0
	s_and_saveexec_b64 s[42:43], s[26:27]
	s_cbranch_execz .LBB6_22791
; %bb.22616:                            ;   in Loop: Header=BB6_22615 Depth=2
	buffer_load_dword v1, off, s[0:3], s33 offset:412 ; 4-byte Folded Reload
	s_mov_b32 s45, 1
	s_mov_b64 s[92:93], -1
	s_mov_b64 s[90:91], 0
	s_waitcnt vmcnt(0)
	v_add_co_u32_e32 v2, vcc, v8, v1
	buffer_load_dword v1, off, s[0:3], s33 offset:416 ; 4-byte Folded Reload
	s_waitcnt vmcnt(0)
	v_addc_co_u32_e32 v3, vcc, v9, v1, vcc
	v_mov_b32_e32 v1, 0
	s_branch .LBB6_22618
.LBB6_22617:                            ;   in Loop: Header=BB6_22618 Depth=3
	s_or_b64 exec, exec, s[26:27]
	v_add_u32_e32 v1, v12, v1
	v_cmp_ge_i32_e32 vcc, v1, v0
	s_xor_b64 s[26:27], s[92:93], -1
	s_or_b64 s[26:27], s[26:27], vcc
	s_and_b64 s[26:27], exec, s[26:27]
	s_or_b64 s[90:91], s[26:27], s[90:91]
	s_mov_b64 s[92:93], 0
	v_mov_b32_e32 v4, s45
	s_mov_b32 s45, 2
	s_andn2_b64 exec, exec, s[90:91]
	s_cbranch_execz .LBB6_22866
.LBB6_22618:                            ;   Parent Loop BB6_47 Depth=1
                                        ;     Parent Loop BB6_22615 Depth=2
                                        ; =>    This Loop Header: Depth=3
                                        ;         Child Loop BB6_22626 Depth 4
                                        ;         Child Loop BB6_22654 Depth 4
	;; [unrolled: 1-line block ×9, first 2 shown]
                                        ;           Child Loop BB6_22708 Depth 5
                                        ;         Child Loop BB6_22715 Depth 4
                                        ;         Child Loop BB6_22720 Depth 4
                                        ;           Child Loop BB6_22721 Depth 5
                                        ;         Child Loop BB6_22757 Depth 4
                                        ;         Child Loop BB6_22776 Depth 4
	s_and_saveexec_b64 s[26:27], s[4:5]
	s_cbranch_execz .LBB6_22620
; %bb.22619:                            ;   in Loop: Header=BB6_22618 Depth=3
	s_trap 2
	ds_read_b128 v[4:7], v0
	v_ashrrev_i32_e32 v8, 31, v1
	s_waitcnt lgkmcnt(0)
	v_add_co_u32_e32 v4, vcc, v4, v2
	v_addc_co_u32_e32 v5, vcc, v5, v3, vcc
	v_add_co_u32_e32 v4, vcc, v4, v1
	v_addc_co_u32_e32 v5, vcc, v5, v8, vcc
	ds_write_b64 v0, v[4:5]
	v_add_co_u32_e32 v4, vcc, v6, v2
	v_addc_co_u32_e32 v5, vcc, v7, v3, vcc
	v_add_co_u32_e32 v4, vcc, v4, v1
	v_addc_co_u32_e32 v5, vcc, v5, v8, vcc
	v_cmp_ne_u64_e32 vcc, 0, v[6:7]
	v_cndmask_b32_e32 v5, 0, v5, vcc
	v_cndmask_b32_e32 v4, 0, v4, vcc
	ds_write_b64 v0, v[4:5]
.LBB6_22620:                            ;   in Loop: Header=BB6_22618 Depth=3
	s_or_b64 exec, exec, s[26:27]
	v_sub_u32_e32 v4, v0, v1
	v_min_i32_e32 v12, v12, v4
	buffer_load_dword v4, off, s[0:3], s33 offset:72 ; 4-byte Folded Reload
	s_waitcnt vmcnt(0)
	v_and_b32_e32 v4, 12, v4
	v_cmp_ne_u32_e32 vcc, 0, v4
	s_and_saveexec_b64 s[28:29], vcc
	s_cbranch_execz .LBB6_22646
; %bb.22621:                            ;   in Loop: Header=BB6_22618 Depth=3
	buffer_load_dword v4, off, s[0:3], s33 offset:72 ; 4-byte Folded Reload
	s_waitcnt vmcnt(0)
	v_and_b32_e32 v6, 8, v4
	buffer_load_dword v4, off, s[0:3], s33 offset:56 ; 4-byte Folded Reload
	buffer_load_dword v5, off, s[0:3], s33 offset:60 ; 4-byte Folded Reload
	;; [unrolled: 1-line block ×4, first 2 shown]
	s_waitcnt vmcnt(0)
	v_add_co_u32_e32 v4, vcc, v4, v6
	v_addc_co_u32_e32 v5, vcc, 0, v5, vcc
	v_add_co_u32_e32 v8, vcc, 2, v8
	v_addc_co_u32_e32 v9, vcc, 0, v9, vcc
	v_cmp_lt_u64_e32 vcc, v[4:5], v[8:9]
	s_and_saveexec_b64 s[40:41], vcc
	s_cbranch_execz .LBB6_22633
; %bb.22622:                            ;   in Loop: Header=BB6_22618 Depth=3
	buffer_load_dword v4, off, s[0:3], s33 offset:72 ; 4-byte Folded Reload
	s_mov_b32 s64, 0
	s_mov_b64 s[94:95], 0
                                        ; implicit-def: $sgpr30_sgpr31
                                        ; implicit-def: $sgpr34_sgpr35
                                        ; implicit-def: $sgpr36_sgpr37
	s_waitcnt vmcnt(0)
	v_and_b32_e32 v4, 64, v4
	v_cmp_eq_u32_e32 vcc, 0, v4
	s_branch .LBB6_22626
.LBB6_22623:                            ;   in Loop: Header=BB6_22626 Depth=4
	buffer_load_dword v10, off, s[0:3], s33 offset:56 ; 4-byte Folded Reload
	buffer_load_dword v11, off, s[0:3], s33 offset:60 ; 4-byte Folded Reload
	s_or_b64 s[50:51], s[50:51], exec
	s_waitcnt vmcnt(1)
	v_add_co_u32_e64 v10, s[26:27], v10, v6
	s_waitcnt vmcnt(0)
	v_addc_co_u32_e64 v11, s[26:27], 0, v11, s[26:27]
	v_cmp_ge_u64_e64 s[26:27], v[10:11], v[8:9]
	s_orn2_b64 s[48:49], s[26:27], exec
.LBB6_22624:                            ;   in Loop: Header=BB6_22626 Depth=4
	s_or_b64 exec, exec, s[54:55]
	s_andn2_b64 s[26:27], s[36:37], exec
	s_and_b64 s[36:37], s[50:51], exec
	s_or_b64 s[36:37], s[26:27], s[36:37]
	s_andn2_b64 s[26:27], s[34:35], exec
	s_and_b64 s[34:35], s[48:49], exec
	s_or_b64 s[34:35], s[26:27], s[34:35]
.LBB6_22625:                            ;   in Loop: Header=BB6_22626 Depth=4
	s_or_b64 exec, exec, s[38:39]
	s_and_b64 s[26:27], exec, s[34:35]
	s_or_b64 s[94:95], s[26:27], s[94:95]
	s_andn2_b64 s[26:27], s[30:31], exec
	s_and_b64 s[30:31], s[36:37], exec
	s_or_b64 s[30:31], s[26:27], s[30:31]
	s_andn2_b64 exec, exec, s[94:95]
	s_cbranch_execz .LBB6_22630
.LBB6_22626:                            ;   Parent Loop BB6_47 Depth=1
                                        ;     Parent Loop BB6_22615 Depth=2
                                        ;       Parent Loop BB6_22618 Depth=3
                                        ; =>      This Inner Loop Header: Depth=4
	s_sleep 1
	buffer_load_dword v4, off, s[0:3], s33 offset:64 ; 4-byte Folded Reload
	buffer_load_dword v5, off, s[0:3], s33 offset:68 ; 4-byte Folded Reload
	s_or_b64 s[36:37], s[36:37], exec
	s_or_b64 s[34:35], s[34:35], exec
	s_waitcnt vmcnt(0)
	flat_load_dwordx2 v[4:5], v[4:5] glc
	s_waitcnt vmcnt(0) lgkmcnt(0)
	buffer_store_dword v4, off, s[0:3], s33 offset:56 ; 4-byte Folded Spill
	s_nop 0
	buffer_store_dword v5, off, s[0:3], s33 offset:60 ; 4-byte Folded Spill
                                        ; implicit-def: $vgpr4
	s_and_saveexec_b64 s[38:39], vcc
	s_cbranch_execz .LBB6_22625
; %bb.22627:                            ;   in Loop: Header=BB6_22626 Depth=4
	s_cmpk_lt_i32 s64, 0x270f
	s_cselect_b64 s[52:53], -1, 0
	s_cmpk_gt_i32 s64, 0x270e
	s_mov_b64 s[48:49], -1
	s_cbranch_scc0 .LBB6_22629
; %bb.22628:                            ;   in Loop: Header=BB6_22626 Depth=4
	s_trap 2
	ds_read_b64 v[4:5], v0
	s_andn2_b64 s[52:53], s[52:53], exec
	s_mov_b32 s64, 0
	s_mov_b64 s[50:51], 0
	s_waitcnt vmcnt(0) lgkmcnt(0)
	flat_load_dword v4, v[4:5] glc
	s_waitcnt vmcnt(0) lgkmcnt(0)
	buffer_wbinvl1_vol
	v_cmp_eq_u32_e64 s[26:27], 0, v4
	s_and_b64 s[26:27], s[26:27], exec
	s_or_b64 s[52:53], s[52:53], s[26:27]
	s_and_saveexec_b64 s[54:55], s[52:53]
	s_cbranch_execz .LBB6_22624
	s_branch .LBB6_22623
.LBB6_22629:                            ;   in Loop: Header=BB6_22626 Depth=4
	s_add_i32 s64, s64, 1
	s_mov_b64 s[50:51], -1
                                        ; implicit-def: $vgpr4
	s_and_saveexec_b64 s[54:55], s[52:53]
	s_cbranch_execz .LBB6_22624
	s_branch .LBB6_22623
.LBB6_22630:                            ;   in Loop: Header=BB6_22618 Depth=3
	s_or_b64 exec, exec, s[94:95]
	s_xor_b64 s[26:27], s[30:31], -1
	s_and_saveexec_b64 s[94:95], s[26:27]
	s_xor_b64 s[26:27], exec, s[94:95]
	s_cbranch_execz .LBB6_22632
; %bb.22631:                            ;   in Loop: Header=BB6_22618 Depth=3
	ds_write_b32 v0, v4
	s_trap 2
	buffer_load_dword v4, off, s[0:3], s33 offset:72 ; 4-byte Folded Reload
	s_waitcnt vmcnt(0)
	v_or_b32_e32 v4, 64, v4
	buffer_store_dword v4, off, s[0:3], s33 offset:72 ; 4-byte Folded Spill
.LBB6_22632:                            ;   in Loop: Header=BB6_22618 Depth=3
	s_or_b64 exec, exec, s[26:27]
.LBB6_22633:                            ;   in Loop: Header=BB6_22618 Depth=3
	s_or_b64 exec, exec, s[40:41]
	;;#ASMSTART
	s_wakeup
	;;#ASMEND
	buffer_load_dword v4, off, s[0:3], s33 offset:72 ; 4-byte Folded Reload
                                        ; implicit-def: $vgpr10_vgpr11
	s_waitcnt vmcnt(0)
	v_and_b32_e32 v4, 0x108, v4
	v_cmp_ne_u32_e32 vcc, s44, v4
	s_and_saveexec_b64 s[26:27], vcc
	s_xor_b64 s[26:27], exec, s[26:27]
	s_cbranch_execz .LBB6_22635
; %bb.22634:                            ;   in Loop: Header=BB6_22618 Depth=3
	buffer_load_dword v4, off, s[0:3], s33 offset:84 ; 4-byte Folded Reload
	buffer_load_dword v5, off, s[0:3], s33 offset:88 ; 4-byte Folded Reload
	v_mov_b32_e32 v11, v51
	s_waitcnt vmcnt(0)
	v_and_b32_e32 v10, 7, v4
                                        ; implicit-def: $vgpr4_vgpr5
                                        ; kill: killed $vgpr4_vgpr5
.LBB6_22635:                            ;   in Loop: Header=BB6_22618 Depth=3
	s_andn2_saveexec_b64 s[26:27], s[26:27]
	s_cbranch_execz .LBB6_22637
; %bb.22636:                            ;   in Loop: Header=BB6_22618 Depth=3
	buffer_load_dword v4, off, s[0:3], s33 offset:84 ; 4-byte Folded Reload
	buffer_load_dword v5, off, s[0:3], s33 offset:88 ; 4-byte Folded Reload
	;; [unrolled: 1-line block ×6, first 2 shown]
	v_mov_b32_e32 v11, v51
	s_waitcnt vmcnt(0)
	v_and_b32_e32 v10, 7, v4
	v_mad_u64_u32 v[4:5], s[40:41], v10, 24, v[13:14]
	v_ashrrev_i32_e32 v13, 31, v12
	flat_store_dwordx2 v[4:5], v[12:13] offset:8
.LBB6_22637:                            ;   in Loop: Header=BB6_22618 Depth=3
	s_or_b64 exec, exec, s[26:27]
	buffer_load_dword v4, off, s[0:3], s33 offset:72 ; 4-byte Folded Reload
	s_mov_b64 s[26:27], -1
                                        ; implicit-def: $vgpr13_vgpr14
	s_waitcnt vmcnt(0)
	v_and_b32_e32 v4, 0x100, v4
	v_cmp_ne_u32_e32 vcc, 0, v4
	s_and_saveexec_b64 s[40:41], vcc
	s_cbranch_execz .LBB6_22641
; %bb.22638:                            ;   in Loop: Header=BB6_22618 Depth=3
	buffer_load_dword v13, off, s[0:3], s33 offset:332 ; 4-byte Folded Reload
	buffer_load_dword v14, off, s[0:3], s33 offset:336 ; 4-byte Folded Reload
	;; [unrolled: 1-line block ×4, first 2 shown]
	s_waitcnt vmcnt(0)
	v_mad_u64_u32 v[4:5], s[26:27], v10, 24, v[13:14]
	v_mad_u64_u32 v[13:14], s[26:27], v11, 24, v[5:6]
	v_mov_b32_e32 v5, v13
	flat_load_dword v7, v[4:5]
                                        ; implicit-def: $vgpr13_vgpr14
	s_waitcnt vmcnt(0) lgkmcnt(0)
	v_cmp_ne_u32_e32 vcc, 1, v7
	v_cmp_eq_u32_e64 s[26:27], 1, v7
	s_and_saveexec_b64 s[94:95], s[26:27]
	s_cbranch_execz .LBB6_22640
; %bb.22639:                            ;   in Loop: Header=BB6_22618 Depth=3
	flat_load_dword v13, v[4:5] offset:4 glc
	s_waitcnt vmcnt(0) lgkmcnt(0)
	v_ashrrev_i32_e32 v14, 31, v13
.LBB6_22640:                            ;   in Loop: Header=BB6_22618 Depth=3
	s_or_b64 exec, exec, s[94:95]
	s_orn2_b64 s[26:27], vcc, exec
.LBB6_22641:                            ;   in Loop: Header=BB6_22618 Depth=3
	s_or_b64 exec, exec, s[40:41]
	s_and_saveexec_b64 s[40:41], s[26:27]
	s_cbranch_execz .LBB6_22643
; %bb.22642:                            ;   in Loop: Header=BB6_22618 Depth=3
	buffer_load_dword v7, off, s[0:3], s33 offset:368 ; 4-byte Folded Reload
	buffer_load_dword v5, off, s[0:3], s33 offset:388 ; 4-byte Folded Reload
	s_waitcnt vmcnt(0)
	v_mul_lo_u32 v4, v11, v7
	v_mul_lo_u32 v5, v10, v5
	v_mad_u64_u32 v[13:14], s[26:27], v10, v7, 0
	v_add3_u32 v14, v14, v5, v4
.LBB6_22643:                            ;   in Loop: Header=BB6_22618 Depth=3
	s_or_b64 exec, exec, s[40:41]
	v_cmp_eq_u32_e32 vcc, 0, v6
	v_mov_b32_e32 v4, 0xd0
	v_mov_b32_e32 v5, 0x88
	v_cndmask_b32_e32 v6, v4, v5, vcc
	buffer_load_dword v4, off, s[0:3], s33 offset:324 ; 4-byte Folded Reload
	buffer_load_dword v5, off, s[0:3], s33 offset:328 ; 4-byte Folded Reload
	v_add_u32_e32 v6, v0, v6
	s_waitcnt vmcnt(0)
	v_add_co_u32_e32 v4, vcc, v4, v13
	v_addc_co_u32_e32 v5, vcc, v5, v14, vcc
	ds_write_b64 v6, v[4:5] offset:584
	buffer_load_dword v4, off, s[0:3], s33 offset:72 ; 4-byte Folded Reload
	s_waitcnt vmcnt(0)
	v_and_b32_e32 v4, 0x2000, v4
	v_cmp_ne_u32_e32 vcc, 0, v4
	s_and_saveexec_b64 s[26:27], vcc
	s_cbranch_execz .LBB6_22645
; %bb.22644:                            ;   in Loop: Header=BB6_22618 Depth=3
	ds_read_b64 v[4:5], v0 offset:872
	s_waitcnt lgkmcnt(0)
	v_add_co_u32_e32 v4, vcc, 1, v4
	v_addc_co_u32_e32 v5, vcc, 0, v5, vcc
	ds_write_b64 v0, v[4:5] offset:872
.LBB6_22645:                            ;   in Loop: Header=BB6_22618 Depth=3
	s_or_b64 exec, exec, s[26:27]
	buffer_store_dword v8, off, s[0:3], s33 offset:84 ; 4-byte Folded Spill
	s_nop 0
	buffer_store_dword v9, off, s[0:3], s33 offset:88 ; 4-byte Folded Spill
.LBB6_22646:                            ;   in Loop: Header=BB6_22618 Depth=3
	s_or_b64 exec, exec, s[28:29]
	s_and_saveexec_b64 s[26:27], s[12:13]
	s_cbranch_execz .LBB6_22665
; %bb.22647:                            ;   in Loop: Header=BB6_22618 Depth=3
	s_and_saveexec_b64 s[28:29], s[58:59]
	s_xor_b64 s[28:29], exec, s[28:29]
	s_cbranch_execz .LBB6_22662
; %bb.22648:                            ;   in Loop: Header=BB6_22618 Depth=3
	s_and_saveexec_b64 s[40:41], s[6:7]
	s_cbranch_execz .LBB6_22661
; %bb.22649:                            ;   in Loop: Header=BB6_22618 Depth=3
	s_mov_b64 s[30:31], exec
	v_mbcnt_lo_u32_b32 v4, s30, 0
	v_mbcnt_hi_u32_b32 v4, s31, v4
	v_cmp_eq_u32_e32 vcc, 0, v4
	s_waitcnt vmcnt(0) lgkmcnt(0)
	buffer_wbinvl1_vol
	s_and_saveexec_b64 s[94:95], vcc
	s_cbranch_execz .LBB6_22651
; %bb.22650:                            ;   in Loop: Header=BB6_22618 Depth=3
	s_bcnt1_i32_b64 vcc_lo, s[30:31]
	v_mov_b32_e32 v4, vcc_lo
	v_mov_b32_e32 v5, v51
	ds_add_u64 v0, v[4:5]
	s_trap 2
.LBB6_22651:                            ;   in Loop: Header=BB6_22618 Depth=3
	s_or_b64 exec, exec, s[94:95]
	s_trap 2
	ds_read_b64 v[4:5], v0
	s_waitcnt lgkmcnt(0)
	buffer_load_dword v6, off, s[0:3], s33 offset:76 ; 4-byte Folded Reload
	buffer_load_dword v7, off, s[0:3], s33 offset:80 ; 4-byte Folded Reload
	;; [unrolled: 1-line block ×3, first 2 shown]
	s_waitcnt vmcnt(0)
	v_add_co_u32_e32 v6, vcc, v6, v8
	v_addc_co_u32_e32 v7, vcc, 0, v7, vcc
	buffer_store_dword v6, off, s[0:3], s33 offset:76 ; 4-byte Folded Spill
	s_nop 0
	buffer_store_dword v7, off, s[0:3], s33 offset:80 ; 4-byte Folded Spill
	v_cmp_lt_u64_e32 vcc, v[4:5], v[6:7]
	s_and_saveexec_b64 s[94:95], vcc
	s_cbranch_execz .LBB6_22660
; %bb.22652:                            ;   in Loop: Header=BB6_22618 Depth=3
	s_mov_b32 s50, 0
	s_mov_b64 s[30:31], 0
                                        ; implicit-def: $sgpr34_sgpr35
                                        ; implicit-def: $sgpr36_sgpr37
	s_branch .LBB6_22654
.LBB6_22653:                            ;   in Loop: Header=BB6_22654 Depth=4
	s_or_b64 exec, exec, s[48:49]
	s_and_b64 vcc, exec, vcc
	s_or_b64 s[30:31], vcc, s[30:31]
	s_andn2_b64 vcc, s[34:35], exec
	s_and_b64 s[34:35], s[36:37], exec
	s_or_b64 s[34:35], vcc, s[34:35]
	s_andn2_b64 exec, exec, s[30:31]
	s_cbranch_execz .LBB6_22658
.LBB6_22654:                            ;   Parent Loop BB6_47 Depth=1
                                        ;     Parent Loop BB6_22615 Depth=2
                                        ;       Parent Loop BB6_22618 Depth=3
                                        ; =>      This Inner Loop Header: Depth=4
	s_add_i32 s50, s50, 1
	s_cmpk_lg_i32 s50, 0x2710
	s_cselect_b64 s[38:39], -1, 0
	s_and_b64 vcc, exec, s[38:39]
	s_cbranch_vccz .LBB6_22656
; %bb.22655:                            ;   in Loop: Header=BB6_22654 Depth=4
	s_mov_b64 vcc, -1
	s_or_b64 s[36:37], s[36:37], exec
	s_and_saveexec_b64 s[48:49], s[38:39]
	s_cbranch_execz .LBB6_22653
	s_branch .LBB6_22657
.LBB6_22656:                            ;   in Loop: Header=BB6_22654 Depth=4
	s_trap 2
	ds_read_b64 v[4:5], v0
	s_andn2_b64 s[38:39], s[38:39], exec
	s_mov_b32 s50, 0
	s_waitcnt vmcnt(0) lgkmcnt(0)
	flat_load_dword v4, v[4:5] glc
	s_waitcnt vmcnt(0) lgkmcnt(0)
	buffer_wbinvl1_vol
	v_cmp_eq_u32_e32 vcc, 0, v4
	s_and_b64 vcc, vcc, exec
	s_or_b64 s[38:39], s[38:39], vcc
	s_mov_b64 vcc, -1
	s_or_b64 s[36:37], s[36:37], exec
	s_and_saveexec_b64 s[48:49], s[38:39]
	s_cbranch_execz .LBB6_22653
.LBB6_22657:                            ;   in Loop: Header=BB6_22654 Depth=4
	s_sleep 1
	s_trap 2
	ds_read_b64 v[4:5], v0
	s_waitcnt lgkmcnt(0)
	buffer_load_dword v6, off, s[0:3], s33 offset:76 ; 4-byte Folded Reload
	buffer_load_dword v7, off, s[0:3], s33 offset:80 ; 4-byte Folded Reload
	s_andn2_b64 s[36:37], s[36:37], exec
	s_waitcnt vmcnt(0)
	v_cmp_ge_u64_e32 vcc, v[4:5], v[6:7]
	s_orn2_b64 vcc, vcc, exec
	s_branch .LBB6_22653
.LBB6_22658:                            ;   in Loop: Header=BB6_22618 Depth=3
	s_or_b64 exec, exec, s[30:31]
	s_and_saveexec_b64 vcc, s[34:35]
	s_xor_b64 vcc, exec, vcc
	s_cbranch_execz .LBB6_22660
; %bb.22659:                            ;   in Loop: Header=BB6_22618 Depth=3
	v_mov_b32_e32 v4, 1
	ds_write_b32 v0, v4
	s_trap 2
.LBB6_22660:                            ;   in Loop: Header=BB6_22618 Depth=3
	s_or_b64 exec, exec, s[94:95]
	;;#ASMSTART
	s_wakeup
	;;#ASMEND
.LBB6_22661:                            ;   in Loop: Header=BB6_22618 Depth=3
	s_or_b64 exec, exec, s[40:41]
.LBB6_22662:                            ;   in Loop: Header=BB6_22618 Depth=3
	s_andn2_saveexec_b64 s[28:29], s[28:29]
	s_cbranch_execz .LBB6_22664
; %bb.22663:                            ;   in Loop: Header=BB6_22618 Depth=3
	s_waitcnt vmcnt(0) lgkmcnt(0)
	buffer_wbinvl1_vol
	s_barrier
.LBB6_22664:                            ;   in Loop: Header=BB6_22618 Depth=3
	s_or_b64 exec, exec, s[28:29]
.LBB6_22665:                            ;   in Loop: Header=BB6_22618 Depth=3
	s_or_b64 exec, exec, s[26:27]
	s_trap 2
	buffer_load_dword v5, off, s[0:3], s33 offset:72 ; 4-byte Folded Reload
	ds_read_b32 v4, v0
	s_xor_b64 s[26:27], s[10:11], -1
	s_waitcnt vmcnt(0)
	v_and_b32_e32 v5, 0x4000, v5
	v_cmp_ne_u32_e32 vcc, 0, v5
	s_and_b64 s[28:29], s[26:27], vcc
	s_and_saveexec_b64 s[26:27], s[28:29]
	s_cbranch_execz .LBB6_22684
; %bb.22666:                            ;   in Loop: Header=BB6_22618 Depth=3
	s_and_saveexec_b64 s[28:29], s[58:59]
	s_xor_b64 s[28:29], exec, s[28:29]
	s_cbranch_execz .LBB6_22681
; %bb.22667:                            ;   in Loop: Header=BB6_22618 Depth=3
	s_and_saveexec_b64 s[40:41], s[6:7]
	s_cbranch_execz .LBB6_22680
; %bb.22668:                            ;   in Loop: Header=BB6_22618 Depth=3
	s_mov_b64 s[30:31], exec
	v_mbcnt_lo_u32_b32 v5, s30, 0
	v_mbcnt_hi_u32_b32 v5, s31, v5
	v_cmp_eq_u32_e32 vcc, 0, v5
	s_waitcnt lgkmcnt(0)
	buffer_wbinvl1_vol
	s_and_saveexec_b64 s[94:95], vcc
	s_cbranch_execz .LBB6_22670
; %bb.22669:                            ;   in Loop: Header=BB6_22618 Depth=3
	s_bcnt1_i32_b64 vcc_lo, s[30:31]
	v_mov_b32_e32 v5, vcc_lo
	v_mov_b32_e32 v6, v51
	ds_add_u64 v0, v[5:6]
	s_trap 2
.LBB6_22670:                            ;   in Loop: Header=BB6_22618 Depth=3
	s_or_b64 exec, exec, s[94:95]
	s_trap 2
	ds_read_b64 v[5:6], v0
	s_waitcnt lgkmcnt(0)
	buffer_load_dword v7, off, s[0:3], s33 offset:76 ; 4-byte Folded Reload
	buffer_load_dword v8, off, s[0:3], s33 offset:80 ; 4-byte Folded Reload
	;; [unrolled: 1-line block ×3, first 2 shown]
	s_waitcnt vmcnt(0)
	v_add_co_u32_e32 v7, vcc, v7, v9
	v_addc_co_u32_e32 v8, vcc, 0, v8, vcc
	buffer_store_dword v7, off, s[0:3], s33 offset:76 ; 4-byte Folded Spill
	s_nop 0
	buffer_store_dword v8, off, s[0:3], s33 offset:80 ; 4-byte Folded Spill
	v_cmp_lt_u64_e32 vcc, v[5:6], v[7:8]
	s_and_saveexec_b64 s[94:95], vcc
	s_cbranch_execz .LBB6_22679
; %bb.22671:                            ;   in Loop: Header=BB6_22618 Depth=3
	s_mov_b32 s50, 0
	s_mov_b64 s[30:31], 0
                                        ; implicit-def: $sgpr34_sgpr35
                                        ; implicit-def: $sgpr36_sgpr37
	s_branch .LBB6_22673
.LBB6_22672:                            ;   in Loop: Header=BB6_22673 Depth=4
	s_or_b64 exec, exec, s[48:49]
	s_and_b64 vcc, exec, vcc
	s_or_b64 s[30:31], vcc, s[30:31]
	s_andn2_b64 vcc, s[34:35], exec
	s_and_b64 s[34:35], s[36:37], exec
	s_or_b64 s[34:35], vcc, s[34:35]
	s_andn2_b64 exec, exec, s[30:31]
	s_cbranch_execz .LBB6_22677
.LBB6_22673:                            ;   Parent Loop BB6_47 Depth=1
                                        ;     Parent Loop BB6_22615 Depth=2
                                        ;       Parent Loop BB6_22618 Depth=3
                                        ; =>      This Inner Loop Header: Depth=4
	s_add_i32 s50, s50, 1
	s_cmpk_lg_i32 s50, 0x2710
	s_cselect_b64 s[38:39], -1, 0
	s_and_b64 vcc, exec, s[38:39]
	s_cbranch_vccz .LBB6_22675
; %bb.22674:                            ;   in Loop: Header=BB6_22673 Depth=4
	s_mov_b64 vcc, -1
	s_or_b64 s[36:37], s[36:37], exec
	s_and_saveexec_b64 s[48:49], s[38:39]
	s_cbranch_execz .LBB6_22672
	s_branch .LBB6_22676
.LBB6_22675:                            ;   in Loop: Header=BB6_22673 Depth=4
	s_trap 2
	ds_read_b64 v[5:6], v0
	s_andn2_b64 s[38:39], s[38:39], exec
	s_mov_b32 s50, 0
	s_waitcnt vmcnt(0) lgkmcnt(0)
	flat_load_dword v5, v[5:6] glc
	s_waitcnt vmcnt(0) lgkmcnt(0)
	buffer_wbinvl1_vol
	v_cmp_eq_u32_e32 vcc, 0, v5
	s_and_b64 vcc, vcc, exec
	s_or_b64 s[38:39], s[38:39], vcc
	s_mov_b64 vcc, -1
	s_or_b64 s[36:37], s[36:37], exec
	s_and_saveexec_b64 s[48:49], s[38:39]
	s_cbranch_execz .LBB6_22672
.LBB6_22676:                            ;   in Loop: Header=BB6_22673 Depth=4
	s_sleep 1
	s_trap 2
	ds_read_b64 v[5:6], v0
	s_waitcnt lgkmcnt(0)
	buffer_load_dword v7, off, s[0:3], s33 offset:76 ; 4-byte Folded Reload
	buffer_load_dword v8, off, s[0:3], s33 offset:80 ; 4-byte Folded Reload
	s_andn2_b64 s[36:37], s[36:37], exec
	s_waitcnt vmcnt(0)
	v_cmp_ge_u64_e32 vcc, v[5:6], v[7:8]
	s_orn2_b64 vcc, vcc, exec
	s_branch .LBB6_22672
.LBB6_22677:                            ;   in Loop: Header=BB6_22618 Depth=3
	s_or_b64 exec, exec, s[30:31]
	s_and_saveexec_b64 vcc, s[34:35]
	s_xor_b64 vcc, exec, vcc
	s_cbranch_execz .LBB6_22679
; %bb.22678:                            ;   in Loop: Header=BB6_22618 Depth=3
	v_mov_b32_e32 v5, 1
	ds_write_b32 v0, v5
	s_trap 2
.LBB6_22679:                            ;   in Loop: Header=BB6_22618 Depth=3
	s_or_b64 exec, exec, s[94:95]
	;;#ASMSTART
	s_wakeup
	;;#ASMEND
.LBB6_22680:                            ;   in Loop: Header=BB6_22618 Depth=3
	s_or_b64 exec, exec, s[40:41]
.LBB6_22681:                            ;   in Loop: Header=BB6_22618 Depth=3
	s_andn2_saveexec_b64 s[28:29], s[28:29]
	s_cbranch_execz .LBB6_22683
; %bb.22682:                            ;   in Loop: Header=BB6_22618 Depth=3
	s_waitcnt vmcnt(0) lgkmcnt(0)
	buffer_wbinvl1_vol
	s_barrier
.LBB6_22683:                            ;   in Loop: Header=BB6_22618 Depth=3
	s_or_b64 exec, exec, s[28:29]
.LBB6_22684:                            ;   in Loop: Header=BB6_22618 Depth=3
	s_or_b64 exec, exec, s[26:27]
	s_trap 2
	ds_read_b64 v[13:14], v0
	s_waitcnt lgkmcnt(0)
	v_cmp_eq_u64_e32 vcc, 0, v[13:14]
	s_cbranch_vccnz .LBB6_22693
; %bb.22685:                            ;   in Loop: Header=BB6_22618 Depth=3
	s_trap 2
	ds_read_b64 v[15:16], v0
	s_waitcnt lgkmcnt(0)
	v_cmp_eq_u64_e32 vcc, 0, v[15:16]
	s_cbranch_vccnz .LBB6_22693
; %bb.22686:                            ;   in Loop: Header=BB6_22618 Depth=3
	s_trap 2
	ds_read_b64 v[17:18], v0
	v_cmp_eq_u32_e64 s[26:27], 0, v4
	v_cndmask_b32_e64 v4, 0, v12, s[26:27]
	s_waitcnt lgkmcnt(0)
	v_cmp_ne_u64_e32 vcc, 0, v[17:18]
	s_cbranch_vccz .LBB6_22698
; %bb.22687:                            ;   in Loop: Header=BB6_22618 Depth=3
	s_mov_b64 s[28:29], -1
	s_and_saveexec_b64 s[26:27], s[16:17]
	s_cbranch_execz .LBB6_22689
; %bb.22688:                            ;   in Loop: Header=BB6_22618 Depth=3
	ds_read_b32 v5, v0 offset:720
	s_waitcnt lgkmcnt(0)
	v_and_b32_e32 v5, 15, v5
	v_cmp_eq_u32_e32 vcc, 0, v5
	s_orn2_b64 s[28:29], vcc, exec
.LBB6_22689:                            ;   in Loop: Header=BB6_22618 Depth=3
	s_or_b64 exec, exec, s[26:27]
	s_and_saveexec_b64 s[26:27], s[24:25]
	s_cbranch_execz .LBB6_22691
; %bb.22690:                            ;   in Loop: Header=BB6_22618 Depth=3
	ds_read_b32 v5, v0 offset:784
	s_waitcnt lgkmcnt(0)
	v_and_b32_e32 v5, 15, v5
	v_cmp_eq_u32_e32 vcc, 0, v5
	s_and_b64 s[40:41], s[28:29], vcc
	s_andn2_b64 s[28:29], s[28:29], exec
	s_and_b64 s[40:41], s[40:41], exec
	s_or_b64 s[28:29], s[28:29], s[40:41]
.LBB6_22691:                            ;   in Loop: Header=BB6_22618 Depth=3
	s_or_b64 exec, exec, s[26:27]
	buffer_load_dword v7, off, s[0:3], s33 offset:392 ; 4-byte Folded Reload
	s_xor_b64 s[28:29], s[28:29], -1
	v_cndmask_b32_e64 v6, 0, 1, s[28:29]
	s_mov_b64 s[26:27], -1
	v_mov_b32_e32 v5, 0
	v_cmp_ne_u32_e32 vcc, 0, v6
	v_mov_b32_e32 v6, v4
	s_cbranch_vccz .LBB6_22700
; %bb.22692:                            ;   in Loop: Header=BB6_22618 Depth=3
	s_and_saveexec_b64 s[40:41], s[26:27]
	s_cbranch_execnz .LBB6_22713
	s_branch .LBB6_22723
.LBB6_22693:                            ;   in Loop: Header=BB6_22618 Depth=3
	s_mov_b64 s[26:27], 0
	s_and_saveexec_b64 s[28:29], s[12:13]
	s_cbranch_execnz .LBB6_22750
.LBB6_22694:                            ;   in Loop: Header=BB6_22618 Depth=3
	s_or_b64 exec, exec, s[28:29]
                                        ; implicit-def: $vgpr4
	s_and_saveexec_b64 s[28:29], s[18:19]
	s_xor_b64 s[28:29], exec, s[28:29]
	s_cbranch_execz .LBB6_22768
.LBB6_22695:                            ;   in Loop: Header=BB6_22618 Depth=3
	buffer_load_dword v5, off, s[0:3], s33 offset:72 ; 4-byte Folded Reload
	s_waitcnt vmcnt(0)
	v_and_b32_e32 v4, 16, v5
	v_and_b32_e32 v5, 16, v5
	v_cmp_ne_u32_e32 vcc, 0, v5
	s_and_b64 s[40:41], vcc, s[26:27]
	s_and_saveexec_b64 s[26:27], s[40:41]
	s_cbranch_execz .LBB6_22697
; %bb.22696:                            ;   in Loop: Header=BB6_22618 Depth=3
	v_mov_b32_e32 v4, 1
	s_waitcnt lgkmcnt(0)
	buffer_wbinvl1_vol
.LBB6_22697:                            ;   in Loop: Header=BB6_22618 Depth=3
	s_or_b64 exec, exec, s[26:27]
	s_andn2_saveexec_b64 s[26:27], s[28:29]
	s_cbranch_execz .LBB6_22787
	s_branch .LBB6_22769
.LBB6_22698:                            ;   in Loop: Header=BB6_22618 Depth=3
	s_cbranch_execnz .LBB6_22724
.LBB6_22699:                            ;   in Loop: Header=BB6_22618 Depth=3
	v_cmp_lt_i32_e64 s[26:27], 0, v4
	s_and_saveexec_b64 s[28:29], s[12:13]
	s_cbranch_execnz .LBB6_22750
	s_branch .LBB6_22694
.LBB6_22700:                            ;   in Loop: Header=BB6_22618 Depth=3
	buffer_load_dword v6, off, s[0:3], s33 offset:428 ; 4-byte Folded Reload
	v_ashrrev_i32_e32 v5, 31, v4
	v_lshrrev_b32_e32 v5, 20, v5
	v_add_u32_e32 v5, v4, v5
	v_ashrrev_i32_e32 v5, 12, v5
	s_waitcnt vmcnt(0)
	v_sub_u32_e32 v22, v5, v6
	v_cmp_lt_i32_e32 vcc, 0, v22
	s_and_saveexec_b64 s[26:27], vcc
	s_cbranch_execz .LBB6_22704
; %bb.22701:                            ;   in Loop: Header=BB6_22618 Depth=3
	buffer_load_dword v6, off, s[0:3], s33 offset:572 ; 4-byte Folded Reload
	s_mov_b64 s[28:29], 0
	s_waitcnt vmcnt(0)
	v_add_co_u32_e32 v8, vcc, v13, v6
	v_addc_co_u32_e32 v9, vcc, 0, v14, vcc
	v_add_co_u32_e32 v10, vcc, v15, v6
	v_addc_co_u32_e32 v11, vcc, 0, v16, vcc
	v_add_co_u32_e32 v19, vcc, v17, v6
	buffer_load_dword v6, off, s[0:3], s33 offset:92 ; 4-byte Folded Reload
	buffer_load_dword v7, off, s[0:3], s33 offset:320 ; 4-byte Folded Reload
	v_addc_co_u32_e32 v20, vcc, 0, v18, vcc
.LBB6_22702:                            ;   Parent Loop BB6_47 Depth=1
                                        ;     Parent Loop BB6_22615 Depth=2
                                        ;       Parent Loop BB6_22618 Depth=3
                                        ; =>      This Inner Loop Header: Depth=4
	global_load_dwordx4 v[23:26], v[8:9], off glc slc
	global_load_dwordx4 v[27:30], v[8:9], off offset:1024 glc slc
	global_load_dwordx4 v[31:34], v[8:9], off offset:2048 glc slc
	;; [unrolled: 1-line block ×3, first 2 shown]
	s_waitcnt vmcnt(4)
	v_add_co_u32_e32 v8, vcc, v8, v7
	v_addc_co_u32_e32 v9, vcc, 0, v9, vcc
	v_sub_u32_e32 v22, v22, v6
	v_cmp_gt_i32_e32 vcc, 1, v22
	s_or_b64 s[28:29], vcc, s[28:29]
	s_waitcnt vmcnt(3)
	global_store_dwordx4 v[10:11], v[23:26], off glc slc
	s_waitcnt vmcnt(3)
	global_store_dwordx4 v[10:11], v[27:30], off offset:1024 glc slc
	s_waitcnt vmcnt(3)
	global_store_dwordx4 v[10:11], v[31:34], off offset:2048 glc slc
	;; [unrolled: 2-line block ×3, first 2 shown]
	global_store_dwordx4 v[19:20], v[23:26], off glc slc
	global_store_dwordx4 v[19:20], v[27:30], off offset:1024 glc slc
	global_store_dwordx4 v[19:20], v[31:34], off offset:2048 glc slc
	;; [unrolled: 1-line block ×3, first 2 shown]
	v_add_co_u32_e32 v10, vcc, v10, v7
	v_addc_co_u32_e32 v11, vcc, 0, v11, vcc
	v_add_co_u32_e32 v19, vcc, v19, v7
	v_addc_co_u32_e32 v20, vcc, 0, v20, vcc
	s_andn2_b64 exec, exec, s[28:29]
	s_cbranch_execnz .LBB6_22702
; %bb.22703:                            ;   in Loop: Header=BB6_22618 Depth=3
	s_or_b64 exec, exec, s[28:29]
.LBB6_22704:                            ;   in Loop: Header=BB6_22618 Depth=3
	s_or_b64 exec, exec, s[26:27]
	v_lshlrev_b32_e32 v21, 12, v5
	v_cmp_ne_u32_e32 vcc, v4, v21
	s_mov_b64 s[26:27], 0
	v_mov_b32_e32 v5, 0
                                        ; implicit-def: $vgpr6
                                        ; implicit-def: $vgpr7
	s_and_saveexec_b64 s[94:95], vcc
	s_cbranch_execz .LBB6_22712
; %bb.22705:                            ;   in Loop: Header=BB6_22618 Depth=3
	buffer_load_dword v7, off, s[0:3], s33 offset:580 ; 4-byte Folded Reload
	v_lshlrev_b32_e32 v5, 6, v22
	v_sub_u32_e32 v6, v4, v21
	s_waitcnt vmcnt(0)
	v_sub_u32_e32 v5, v7, v5
	v_ashrrev_i32_e32 v7, 31, v5
	v_lshrrev_b32_e32 v7, 26, v7
	v_add_u32_e32 v7, v5, v7
	v_ashrrev_i32_e32 v9, 6, v7
	v_and_b32_e32 v7, 0xffffffc0, v7
	v_sub_u32_e32 v7, v5, v7
	v_lshlrev_b32_e32 v5, 4, v7
	v_lshl_add_u32 v8, v9, 10, v5
	v_ashrrev_i32_e32 v5, 31, v6
	v_lshrrev_b32_e32 v5, 22, v5
	v_add_u32_e32 v5, v6, v5
	v_ashrrev_i32_e32 v10, 10, v5
	v_and_b32_e32 v5, 0xfffffc00, v5
	v_sub_u32_e32 v23, v6, v8
	v_sub_u32_e32 v6, v6, v5
	v_cmp_lt_i32_e64 s[26:27], 15, v6
	v_addc_co_u32_e64 v10, vcc, 0, v10, s[26:27]
	v_sub_u32_e32 v22, v10, v9
	v_cmp_lt_i32_e32 vcc, 15, v23
	s_and_saveexec_b64 s[30:31], vcc
	s_cbranch_execz .LBB6_22711
; %bb.22706:                            ;   in Loop: Header=BB6_22618 Depth=3
	v_add_u32_e32 v8, v8, v21
	v_ashrrev_i32_e32 v9, 31, v8
	v_add_co_u32_e32 v19, vcc, v8, v13
	v_addc_co_u32_e32 v20, vcc, v9, v14, vcc
	v_add_co_u32_e32 v24, vcc, v8, v15
	v_addc_co_u32_e32 v25, vcc, v9, v16, vcc
	;; [unrolled: 2-line block ×3, first 2 shown]
	s_mov_b64 s[34:35], 0
.LBB6_22707:                            ;   Parent Loop BB6_47 Depth=1
                                        ;     Parent Loop BB6_22615 Depth=2
                                        ;       Parent Loop BB6_22618 Depth=3
                                        ; =>      This Loop Header: Depth=4
                                        ;           Child Loop BB6_22708 Depth 5
	global_load_dwordx4 v[8:11], v[19:20], off glc slc
	s_mov_b64 s[36:37], -1
	s_mov_b64 s[38:39], 0
	s_waitcnt vmcnt(0)
.LBB6_22708:                            ;   Parent Loop BB6_47 Depth=1
                                        ;     Parent Loop BB6_22615 Depth=2
                                        ;       Parent Loop BB6_22618 Depth=3
                                        ;         Parent Loop BB6_22707 Depth=4
                                        ; =>        This Inner Loop Header: Depth=5
	s_cmp_eq_u32 s38, 1
	s_cselect_b64 s[28:29], -1, 0
	v_cndmask_b32_e64 v29, v25, v27, s[28:29]
	v_cndmask_b32_e64 v28, v24, v26, s[28:29]
	global_store_dwordx4 v[28:29], v[8:11], off glc slc
	v_add_co_u32_e32 v28, vcc, 0x400, v28
	s_cmp_eq_u32 s38, 0
	v_addc_co_u32_e32 v29, vcc, 0, v29, vcc
	s_cselect_b64 vcc, -1, 0
	s_and_b64 s[40:41], exec, s[36:37]
	s_mov_b64 s[38:39], 1
	v_cndmask_b32_e64 v26, v26, v28, s[28:29]
	s_mov_b64 s[36:37], 0
	v_cndmask_b32_e64 v27, v27, v29, s[28:29]
	v_cndmask_b32_e32 v25, v25, v29, vcc
	v_cndmask_b32_e32 v24, v24, v28, vcc
	s_mov_b64 vcc, s[40:41]
	s_cbranch_vccnz .LBB6_22708
; %bb.22709:                            ;   in Loop: Header=BB6_22707 Depth=4
	buffer_load_dword v8, off, s[0:3], s33 offset:396 ; 4-byte Folded Reload
	buffer_load_dword v9, off, s[0:3], s33 offset:400 ; 4-byte Folded Reload
	s_waitcnt vmcnt(1)
	v_add_co_u32_e32 v24, vcc, v24, v8
	s_waitcnt vmcnt(0)
	v_addc_co_u32_e32 v25, vcc, v25, v9, vcc
	v_add_co_u32_e32 v26, vcc, v26, v8
	buffer_load_dword v8, off, s[0:3], s33 offset:404 ; 4-byte Folded Reload
	v_addc_co_u32_e32 v27, vcc, v27, v9, vcc
	s_waitcnt vmcnt(0)
	v_add_co_u32_e32 v19, vcc, v8, v19
	buffer_load_dword v8, off, s[0:3], s33 offset:408 ; 4-byte Folded Reload
	s_waitcnt vmcnt(0)
	v_addc_co_u32_e32 v20, vcc, v8, v20, vcc
	buffer_load_dword v8, off, s[0:3], s33 offset:356 ; 4-byte Folded Reload
	s_waitcnt vmcnt(0)
	v_sub_u32_e32 v23, v23, v8
	buffer_load_dword v8, off, s[0:3], s33 offset:92 ; 4-byte Folded Reload
	v_cmp_gt_i32_e32 vcc, 16, v23
	s_or_b64 s[34:35], vcc, s[34:35]
	s_waitcnt vmcnt(0)
	v_sub_u32_e32 v22, v22, v8
	s_andn2_b64 exec, exec, s[34:35]
	s_cbranch_execnz .LBB6_22707
; %bb.22710:                            ;   in Loop: Header=BB6_22618 Depth=3
	s_or_b64 exec, exec, s[34:35]
.LBB6_22711:                            ;   in Loop: Header=BB6_22618 Depth=3
	s_or_b64 exec, exec, s[30:31]
	v_and_b32_e32 v8, 15, v4
	v_sub_u32_e32 v9, v6, v8
	v_cndmask_b32_e64 v6, v6, v8, s[26:27]
	buffer_load_dword v8, off, s[0:3], s33 offset:92 ; 4-byte Folded Reload
	v_cmp_lt_i32_e32 vcc, 0, v22
	v_cndmask_b32_e64 v9, 0, v9, s[26:27]
	v_add3_u32 v5, v5, v21, v9
	s_waitcnt vmcnt(0)
	v_cndmask_b32_e32 v8, 0, v8, vcc
	v_sub_u32_e32 v8, v8, v22
	v_cmp_ne_u32_e32 vcc, 0, v6
	v_lshl_add_u32 v7, v8, 6, v7
	s_and_b64 s[26:27], vcc, exec
.LBB6_22712:                            ;   in Loop: Header=BB6_22618 Depth=3
	s_or_b64 exec, exec, s[94:95]
	s_and_saveexec_b64 s[40:41], s[26:27]
	s_cbranch_execz .LBB6_22723
.LBB6_22713:                            ;   in Loop: Header=BB6_22618 Depth=3
	s_waitcnt vmcnt(0)
	v_ashrrev_i32_e32 v8, 31, v7
	v_ashrrev_i32_e32 v9, 31, v6
	v_lshrrev_b32_e32 v8, 26, v8
	v_lshrrev_b32_e32 v9, 21, v9
	v_add_u32_e32 v8, v7, v8
	v_add_u32_e32 v9, v6, v9
	v_ashrrev_i32_e32 v19, 6, v8
	v_ashrrev_i32_e32 v21, 11, v9
	v_sub_u32_e32 v20, v21, v19
	v_cmp_lt_i32_e32 vcc, 0, v20
	s_and_saveexec_b64 s[26:27], vcc
	s_cbranch_execz .LBB6_22717
; %bb.22714:                            ;   in Loop: Header=BB6_22618 Depth=3
	buffer_load_dword v47, off, s[0:3], s33 offset:92 ; 4-byte Folded Reload
	buffer_load_dword v56, off, s[0:3], s33 offset:304 ; 4-byte Folded Reload
	v_and_b32_e32 v8, 0xffffffc0, v8
	v_sub_u32_e32 v8, v7, v8
	v_lshlrev_b32_e32 v9, 11, v19
	v_add3_u32 v22, v5, v8, v9
	v_ashrrev_i32_e32 v23, 31, v22
	v_add_co_u32_e32 v8, vcc, v22, v15
	v_addc_co_u32_e32 v9, vcc, v23, v16, vcc
	v_add_co_u32_e32 v10, vcc, v22, v17
	v_addc_co_u32_e32 v11, vcc, v23, v18, vcc
	;; [unrolled: 2-line block ×4, first 2 shown]
	s_mov_b64 s[28:29], 0
.LBB6_22715:                            ;   Parent Loop BB6_47 Depth=1
                                        ;     Parent Loop BB6_22615 Depth=2
                                        ;       Parent Loop BB6_22618 Depth=3
                                        ; =>      This Inner Loop Header: Depth=4
	v_add_co_u32_e32 v22, vcc, 0xfffff840, v17
	v_addc_co_u32_e32 v23, vcc, -1, v18, vcc
	flat_load_ubyte v22, v[22:23] glc slc
	v_add_co_u32_e32 v23, vcc, 0xfffff880, v17
	v_addc_co_u32_e32 v24, vcc, -1, v18, vcc
	flat_load_ubyte v23, v[23:24] glc slc
	;; [unrolled: 3-line block ×16, first 2 shown]
	v_add_co_u32_e32 v38, vcc, 0xfffffc40, v17
	v_addc_co_u32_e32 v39, vcc, -1, v18, vcc
	v_add_co_u32_e32 v48, vcc, 0xfffffc80, v17
	v_addc_co_u32_e32 v49, vcc, -1, v18, vcc
	flat_load_ubyte v38, v[38:39] glc slc
	s_waitcnt vmcnt(0)
	v_sub_u32_e32 v20, v20, v47
	flat_load_ubyte v39, v[48:49] glc slc
	v_add_co_u32_e32 v48, vcc, 0xfffffcc0, v17
	v_addc_co_u32_e32 v49, vcc, -1, v18, vcc
	flat_load_ubyte v48, v[48:49] glc slc
	v_add_co_u32_e32 v49, vcc, 0xfffffd00, v17
	v_addc_co_u32_e32 v50, vcc, -1, v18, vcc
	v_add_co_u32_e32 v52, vcc, 0xfffffd40, v17
	v_addc_co_u32_e32 v53, vcc, -1, v18, vcc
	flat_load_ubyte v49, v[49:50] glc slc
	s_nop 0
	flat_load_ubyte v50, v[52:53] glc slc
	v_add_co_u32_e32 v52, vcc, 0xfffffd80, v17
	v_addc_co_u32_e32 v53, vcc, -1, v18, vcc
	flat_load_ubyte v52, v[52:53] glc slc
	v_add_co_u32_e32 v53, vcc, 0xfffffdc0, v17
	v_addc_co_u32_e32 v54, vcc, -1, v18, vcc
	;; [unrolled: 3-line block ×3, first 2 shown]
	v_add_co_u32_e32 v40, vcc, 0xfffffe40, v17
	v_addc_co_u32_e32 v41, vcc, -1, v18, vcc
	flat_load_ubyte v54, v[54:55] glc slc
	s_nop 0
	flat_load_ubyte v55, v[40:41] glc slc
	v_add_co_u32_e32 v40, vcc, 0xfffffe80, v17
	v_addc_co_u32_e32 v41, vcc, -1, v18, vcc
	flat_load_ubyte v40, v[40:41] glc slc
	v_add_co_u32_e32 v41, vcc, 0xfffffec0, v17
	v_addc_co_u32_e32 v42, vcc, -1, v18, vcc
	;; [unrolled: 3-line block ×6, first 2 shown]
	flat_load_ubyte v45, v[45:46] glc slc
	s_nop 0
	flat_load_ubyte v46, v[17:18] glc slc
	s_waitcnt lgkmcnt(0)
	flat_store_byte v[8:9], v22 glc slc
	flat_store_byte v[8:9], v23 offset:64 glc slc
	flat_store_byte v[8:9], v24 offset:128 glc slc
	;; [unrolled: 1-line block ×16, first 2 shown]
	s_waitcnt vmcnt(0)
	flat_store_byte v[8:9], v39 offset:1088 glc slc
	flat_store_byte v[8:9], v48 offset:1152 glc slc
	;; [unrolled: 1-line block ×15, first 2 shown]
	flat_store_byte v[10:11], v22 glc slc
	flat_store_byte v[10:11], v23 offset:64 glc slc
	flat_store_byte v[10:11], v24 offset:128 glc slc
	;; [unrolled: 1-line block ×31, first 2 shown]
	v_add_co_u32_e32 v8, vcc, v8, v56
	v_addc_co_u32_e32 v9, vcc, 0, v9, vcc
	v_add_co_u32_e32 v10, vcc, v10, v56
	v_addc_co_u32_e32 v11, vcc, 0, v11, vcc
	;; [unrolled: 2-line block ×3, first 2 shown]
	v_cmp_gt_i32_e32 vcc, 1, v20
	s_or_b64 s[28:29], vcc, s[28:29]
	s_andn2_b64 exec, exec, s[28:29]
	s_cbranch_execnz .LBB6_22715
; %bb.22716:                            ;   in Loop: Header=BB6_22618 Depth=3
	s_or_b64 exec, exec, s[28:29]
.LBB6_22717:                            ;   in Loop: Header=BB6_22618 Depth=3
	s_or_b64 exec, exec, s[26:27]
	v_lshlrev_b32_e32 v8, 11, v21
	v_cmp_ne_u32_e32 vcc, v6, v8
	s_and_b64 exec, exec, vcc
	s_cbranch_execz .LBB6_22723
; %bb.22718:                            ;   in Loop: Header=BB6_22618 Depth=3
	v_lshlrev_b32_e32 v9, 6, v19
	v_sub_u32_e32 v7, v7, v9
	v_lshlrev_b32_e32 v9, 6, v20
	v_sub_u32_e32 v7, v7, v9
	v_add_u32_e32 v7, v8, v7
	v_sub_u32_e32 v6, v6, v7
	v_cmp_lt_i32_e32 vcc, 0, v6
	s_and_b64 exec, exec, vcc
	s_cbranch_execz .LBB6_22723
; %bb.22719:                            ;   in Loop: Header=BB6_22618 Depth=3
	s_trap 2
	ds_read_b64 v[8:9], v0
	ds_read_b128 v[17:20], v0
	v_add_u32_e32 v10, v7, v5
	v_ashrrev_i32_e32 v11, 31, v10
	s_mov_b64 s[94:95], 0
	s_waitcnt lgkmcnt(0)
	v_add_co_u32_e32 v8, vcc, v8, v10
	v_addc_co_u32_e32 v9, vcc, v9, v11, vcc
	v_add_co_u32_e32 v5, vcc, v17, v10
	v_addc_co_u32_e32 v7, vcc, v18, v11, vcc
	;; [unrolled: 2-line block ×3, first 2 shown]
.LBB6_22720:                            ;   Parent Loop BB6_47 Depth=1
                                        ;     Parent Loop BB6_22615 Depth=2
                                        ;       Parent Loop BB6_22618 Depth=3
                                        ; =>      This Loop Header: Depth=4
                                        ;           Child Loop BB6_22721 Depth 5
	flat_load_ubyte v17, v[8:9] glc slc
	s_mov_b64 s[30:31], -1
	s_mov_b64 s[34:35], 0
	s_waitcnt vmcnt(0)
.LBB6_22721:                            ;   Parent Loop BB6_47 Depth=1
                                        ;     Parent Loop BB6_22615 Depth=2
                                        ;       Parent Loop BB6_22618 Depth=3
                                        ;         Parent Loop BB6_22720 Depth=4
                                        ; =>        This Inner Loop Header: Depth=5
	s_cmp_eq_u32 s34, 1
	s_cselect_b64 vcc, -1, 0
	v_cndmask_b32_e32 v19, v7, v11, vcc
	v_cndmask_b32_e32 v18, v5, v10, vcc
	s_waitcnt lgkmcnt(0)
	flat_store_byte v[18:19], v17 glc slc
	v_add_co_u32_e64 v18, s[26:27], 64, v18
	s_cmp_eq_u32 s34, 0
	v_addc_co_u32_e64 v19, s[26:27], 0, v19, s[26:27]
	s_cselect_b64 s[26:27], -1, 0
	s_and_b64 s[28:29], exec, s[30:31]
	s_mov_b64 s[34:35], 1
	s_mov_b64 s[30:31], 0
	v_cndmask_b32_e32 v11, v11, v19, vcc
	v_cndmask_b32_e32 v10, v10, v18, vcc
	v_cndmask_b32_e64 v7, v7, v19, s[26:27]
	v_cndmask_b32_e64 v5, v5, v18, s[26:27]
	s_mov_b64 vcc, s[28:29]
	s_cbranch_vccnz .LBB6_22721
; %bb.22722:                            ;   in Loop: Header=BB6_22720 Depth=4
	buffer_load_dword v17, off, s[0:3], s33 offset:372 ; 4-byte Folded Reload
	buffer_load_dword v18, off, s[0:3], s33 offset:376 ; 4-byte Folded Reload
	s_waitcnt vmcnt(0)
	v_add_co_u32_e32 v5, vcc, v5, v17
	v_addc_co_u32_e32 v7, vcc, v7, v18, vcc
	v_add_co_u32_e32 v10, vcc, v10, v17
	buffer_load_dword v17, off, s[0:3], s33 offset:316 ; 4-byte Folded Reload
	v_addc_co_u32_e32 v11, vcc, v11, v18, vcc
	s_waitcnt vmcnt(0)
	v_sub_u32_e32 v6, v6, v17
	buffer_load_dword v17, off, s[0:3], s33 offset:380 ; 4-byte Folded Reload
	v_cmp_gt_i32_e32 vcc, 1, v6
	s_or_b64 s[94:95], vcc, s[94:95]
	s_waitcnt vmcnt(0)
	v_add_co_u32_e32 v8, vcc, v17, v8
	buffer_load_dword v17, off, s[0:3], s33 offset:384 ; 4-byte Folded Reload
	s_waitcnt vmcnt(0)
	v_addc_co_u32_e32 v9, vcc, v17, v9, vcc
	s_andn2_b64 exec, exec, s[94:95]
	s_cbranch_execnz .LBB6_22720
.LBB6_22723:                            ;   in Loop: Header=BB6_22618 Depth=3
	s_or_b64 exec, exec, s[40:41]
	s_branch .LBB6_22699
.LBB6_22724:                            ;   in Loop: Header=BB6_22618 Depth=3
	s_mov_b64 s[26:27], -1
	s_and_saveexec_b64 s[28:29], s[16:17]
	s_cbranch_execz .LBB6_22726
; %bb.22725:                            ;   in Loop: Header=BB6_22618 Depth=3
	ds_read_b32 v5, v0 offset:720
	s_waitcnt lgkmcnt(0)
	v_and_b32_e32 v5, 15, v5
	v_cmp_eq_u32_e32 vcc, 0, v5
	s_orn2_b64 s[26:27], vcc, exec
.LBB6_22726:                            ;   in Loop: Header=BB6_22618 Depth=3
	s_or_b64 exec, exec, s[28:29]
	s_and_saveexec_b64 s[28:29], s[14:15]
	s_cbranch_execz .LBB6_22728
; %bb.22727:                            ;   in Loop: Header=BB6_22618 Depth=3
	ds_read_b32 v5, v0 offset:784
	s_waitcnt lgkmcnt(0)
	v_and_b32_e32 v5, 15, v5
	v_cmp_eq_u32_e32 vcc, 0, v5
	s_and_b64 s[40:41], s[26:27], vcc
	s_andn2_b64 s[26:27], s[26:27], exec
	s_and_b64 s[40:41], s[40:41], exec
	s_or_b64 s[26:27], s[26:27], s[40:41]
.LBB6_22728:                            ;   in Loop: Header=BB6_22618 Depth=3
	s_or_b64 exec, exec, s[28:29]
	buffer_load_dword v7, off, s[0:3], s33 offset:392 ; 4-byte Folded Reload
	s_xor_b64 s[26:27], s[26:27], -1
	v_cndmask_b32_e64 v6, 0, 1, s[26:27]
	s_mov_b64 s[40:41], -1
	v_mov_b32_e32 v5, 0
	v_cmp_ne_u32_e32 vcc, 0, v6
	v_mov_b32_e32 v6, v4
	s_cbranch_vccz .LBB6_22730
; %bb.22729:                            ;   in Loop: Header=BB6_22618 Depth=3
	s_and_saveexec_b64 s[26:27], s[40:41]
	s_cbranch_execnz .LBB6_22741
	s_branch .LBB6_22749
.LBB6_22730:                            ;   in Loop: Header=BB6_22618 Depth=3
	buffer_load_dword v6, off, s[0:3], s33 offset:428 ; 4-byte Folded Reload
	v_ashrrev_i32_e32 v5, 31, v4
	v_lshrrev_b32_e32 v5, 19, v5
	v_add_u32_e32 v5, v4, v5
	v_ashrrev_i32_e32 v5, 13, v5
	s_waitcnt vmcnt(0)
	v_sub_u32_e32 v17, v5, v6
	v_cmp_lt_i32_e32 vcc, 0, v17
	s_and_saveexec_b64 s[28:29], vcc
	s_cbranch_execz .LBB6_22734
; %bb.22731:                            ;   in Loop: Header=BB6_22618 Depth=3
	buffer_load_dword v50, off, s[0:3], s33 offset:92 ; 4-byte Folded Reload
	buffer_load_dword v46, off, s[0:3], s33 offset:576 ; 4-byte Folded Reload
	;; [unrolled: 1-line block ×3, first 2 shown]
	v_mov_b32_e32 v8, v15
	v_mov_b32_e32 v10, v13
	s_mov_b64 s[40:41], 0
	v_mov_b32_e32 v9, v16
	v_mov_b32_e32 v11, v14
.LBB6_22732:                            ;   Parent Loop BB6_47 Depth=1
                                        ;     Parent Loop BB6_22615 Depth=2
                                        ;       Parent Loop BB6_22618 Depth=3
                                        ; =>      This Inner Loop Header: Depth=4
	s_waitcnt vmcnt(0)
	v_add_co_u32_e32 v6, vcc, v47, v10
	v_addc_co_u32_e32 v7, vcc, 0, v11, vcc
	global_load_dwordx4 v[18:21], v[6:7], off glc slc
	global_load_dwordx4 v[22:25], v[6:7], off offset:1024 glc slc
	global_load_dwordx4 v[26:29], v[6:7], off offset:2048 glc slc
	;; [unrolled: 1-line block ×3, first 2 shown]
	v_add_co_u32_e32 v6, vcc, s46, v6
	v_addc_co_u32_e32 v7, vcc, 0, v7, vcc
	global_load_dwordx4 v[34:37], v[6:7], off glc slc
	global_load_dwordx4 v[52:55], v[6:7], off offset:1024 glc slc
	global_load_dwordx4 v[38:41], v[6:7], off offset:2048 glc slc
	;; [unrolled: 1-line block ×3, first 2 shown]
	v_add_co_u32_e32 v6, vcc, v47, v8
	v_addc_co_u32_e32 v7, vcc, 0, v9, vcc
	v_add_co_u32_e32 v10, vcc, v10, v46
	v_addc_co_u32_e32 v11, vcc, 0, v11, vcc
	v_sub_u32_e32 v17, v17, v50
	v_add_co_u32_e32 v8, vcc, v8, v46
	v_addc_co_u32_e32 v9, vcc, 0, v9, vcc
	v_cmp_gt_i32_e64 s[26:27], 1, v17
	v_add_co_u32_e32 v48, vcc, s46, v6
	s_or_b64 s[40:41], s[26:27], s[40:41]
	v_addc_co_u32_e32 v49, vcc, 0, v7, vcc
	s_waitcnt vmcnt(0)
	global_store_dwordx4 v[6:7], v[18:21], off glc slc
	global_store_dwordx4 v[6:7], v[22:25], off offset:1024 glc slc
	global_store_dwordx4 v[6:7], v[26:29], off offset:2048 glc slc
	;; [unrolled: 1-line block ×3, first 2 shown]
	global_store_dwordx4 v[48:49], v[34:37], off glc slc
	global_store_dwordx4 v[48:49], v[52:55], off offset:1024 glc slc
	global_store_dwordx4 v[48:49], v[38:41], off offset:2048 glc slc
	;; [unrolled: 1-line block ×3, first 2 shown]
	s_andn2_b64 exec, exec, s[40:41]
	s_cbranch_execnz .LBB6_22732
; %bb.22733:                            ;   in Loop: Header=BB6_22618 Depth=3
	s_or_b64 exec, exec, s[40:41]
.LBB6_22734:                            ;   in Loop: Header=BB6_22618 Depth=3
	s_or_b64 exec, exec, s[28:29]
	v_lshlrev_b32_e32 v8, 13, v5
	v_cmp_ne_u32_e32 vcc, v4, v8
	s_mov_b64 s[40:41], 0
	v_mov_b32_e32 v5, 0
                                        ; implicit-def: $vgpr6
                                        ; implicit-def: $vgpr7
	s_and_saveexec_b64 s[28:29], vcc
	s_cbranch_execz .LBB6_22740
; %bb.22735:                            ;   in Loop: Header=BB6_22618 Depth=3
	buffer_load_dword v7, off, s[0:3], s33 offset:580 ; 4-byte Folded Reload
	v_lshlrev_b32_e32 v5, 6, v17
	v_sub_u32_e32 v6, v4, v8
	s_waitcnt vmcnt(0)
	v_sub_u32_e32 v5, v7, v5
	v_ashrrev_i32_e32 v7, 31, v5
	v_lshrrev_b32_e32 v7, 26, v7
	v_add_u32_e32 v7, v5, v7
	v_ashrrev_i32_e32 v9, 6, v7
	v_and_b32_e32 v7, 0xffffffc0, v7
	v_sub_u32_e32 v7, v5, v7
	v_lshlrev_b32_e32 v5, 4, v7
	v_lshl_add_u32 v11, v9, 10, v5
	v_ashrrev_i32_e32 v5, 31, v6
	v_lshrrev_b32_e32 v5, 22, v5
	v_add_u32_e32 v5, v6, v5
	v_ashrrev_i32_e32 v17, 10, v5
	v_and_b32_e32 v5, 0xfffffc00, v5
	v_sub_u32_e32 v10, v6, v11
	v_sub_u32_e32 v6, v6, v5
	v_cmp_lt_i32_e32 vcc, 15, v6
	v_addc_co_u32_e64 v17, s[26:27], 0, v17, vcc
	v_sub_u32_e32 v9, v17, v9
	v_cmp_lt_i32_e64 s[26:27], 15, v10
	s_and_saveexec_b64 s[40:41], s[26:27]
	s_cbranch_execz .LBB6_22739
; %bb.22736:                            ;   in Loop: Header=BB6_22618 Depth=3
	buffer_load_dword v24, off, s[0:3], s33 offset:92 ; 4-byte Folded Reload
	buffer_load_dword v25, off, s[0:3], s33 offset:356 ; 4-byte Folded Reload
	v_add_u32_e32 v11, v11, v8
	v_ashrrev_i32_e32 v17, 31, v11
	s_mov_b64 s[94:95], 0
.LBB6_22737:                            ;   Parent Loop BB6_47 Depth=1
                                        ;     Parent Loop BB6_22615 Depth=2
                                        ;       Parent Loop BB6_22618 Depth=3
                                        ; =>      This Inner Loop Header: Depth=4
	v_add_co_u32_e64 v18, s[26:27], v13, v11
	v_addc_co_u32_e64 v19, s[26:27], v14, v17, s[26:27]
	global_load_dwordx4 v[18:21], v[18:19], off glc slc
	v_add_co_u32_e64 v22, s[26:27], v15, v11
	v_addc_co_u32_e64 v23, s[26:27], v16, v17, s[26:27]
	s_waitcnt vmcnt(0)
	v_add_co_u32_e64 v11, s[26:27], v11, v25
	v_sub_u32_e32 v10, v10, v25
	v_addc_co_u32_e64 v17, s[26:27], 0, v17, s[26:27]
	v_cmp_gt_i32_e64 s[26:27], 16, v10
	v_sub_u32_e32 v9, v9, v24
	s_or_b64 s[94:95], s[26:27], s[94:95]
	global_store_dwordx4 v[22:23], v[18:21], off glc slc
	s_andn2_b64 exec, exec, s[94:95]
	s_cbranch_execnz .LBB6_22737
; %bb.22738:                            ;   in Loop: Header=BB6_22618 Depth=3
	s_or_b64 exec, exec, s[94:95]
.LBB6_22739:                            ;   in Loop: Header=BB6_22618 Depth=3
	s_or_b64 exec, exec, s[40:41]
	v_and_b32_e32 v10, 15, v4
	v_sub_u32_e32 v11, v6, v10
	v_cndmask_b32_e32 v11, 0, v11, vcc
	v_add3_u32 v5, v5, v8, v11
	buffer_load_dword v8, off, s[0:3], s33 offset:92 ; 4-byte Folded Reload
	v_cndmask_b32_e32 v6, v6, v10, vcc
	v_cmp_lt_i32_e32 vcc, 0, v9
	s_waitcnt vmcnt(0)
	v_cndmask_b32_e32 v8, 0, v8, vcc
	v_sub_u32_e32 v8, v8, v9
	v_cmp_ne_u32_e32 vcc, 0, v6
	v_lshl_add_u32 v7, v8, 6, v7
	s_and_b64 s[40:41], vcc, exec
.LBB6_22740:                            ;   in Loop: Header=BB6_22618 Depth=3
	s_or_b64 exec, exec, s[28:29]
	s_and_saveexec_b64 s[26:27], s[40:41]
	s_cbranch_execz .LBB6_22749
.LBB6_22741:                            ;   in Loop: Header=BB6_22618 Depth=3
	s_waitcnt vmcnt(0)
	v_ashrrev_i32_e32 v8, 31, v7
	v_ashrrev_i32_e32 v9, 31, v6
	v_lshrrev_b32_e32 v8, 26, v8
	v_lshrrev_b32_e32 v9, 21, v9
	v_add_u32_e32 v11, v7, v8
	v_add_u32_e32 v9, v6, v9
	v_ashrrev_i32_e32 v8, 6, v11
	v_ashrrev_i32_e32 v10, 11, v9
	v_sub_u32_e32 v9, v10, v8
	v_cmp_lt_i32_e32 vcc, 0, v9
	s_and_saveexec_b64 s[28:29], vcc
	s_cbranch_execz .LBB6_22745
; %bb.22742:                            ;   in Loop: Header=BB6_22618 Depth=3
	buffer_load_dword v45, off, s[0:3], s33 offset:92 ; 4-byte Folded Reload
	buffer_load_dword v46, off, s[0:3], s33 offset:304 ; 4-byte Folded Reload
	v_and_b32_e32 v11, 0xffffffc0, v11
	v_sub_u32_e32 v11, v7, v11
	v_lshlrev_b32_e32 v17, 11, v8
	v_add3_u32 v11, v5, v11, v17
	v_ashrrev_i32_e32 v17, 31, v11
	s_mov_b64 s[40:41], 0
.LBB6_22743:                            ;   Parent Loop BB6_47 Depth=1
                                        ;     Parent Loop BB6_22615 Depth=2
                                        ;       Parent Loop BB6_22618 Depth=3
                                        ; =>      This Inner Loop Header: Depth=4
	v_add_co_u32_e32 v18, vcc, v11, v13
	v_addc_co_u32_e32 v19, vcc, v17, v14, vcc
	flat_load_ubyte v20, v[18:19] glc slc
	flat_load_ubyte v21, v[18:19] offset:64 glc slc
	flat_load_ubyte v22, v[18:19] offset:128 glc slc
	;; [unrolled: 1-line block ×31, first 2 shown]
	v_add_co_u32_e32 v18, vcc, v11, v15
	v_addc_co_u32_e32 v19, vcc, v17, v16, vcc
	s_waitcnt vmcnt(0)
	v_add_co_u32_e32 v13, vcc, v13, v46
	v_addc_co_u32_e32 v14, vcc, 0, v14, vcc
	v_add_co_u32_e32 v15, vcc, v15, v46
	v_sub_u32_e32 v9, v9, v45
	v_addc_co_u32_e32 v16, vcc, 0, v16, vcc
	v_cmp_gt_i32_e32 vcc, 1, v9
	s_or_b64 s[40:41], vcc, s[40:41]
	s_waitcnt lgkmcnt(0)
	flat_store_byte v[18:19], v20 glc slc
	flat_store_byte v[18:19], v21 offset:64 glc slc
	flat_store_byte v[18:19], v22 offset:128 glc slc
	;; [unrolled: 1-line block ×31, first 2 shown]
	s_andn2_b64 exec, exec, s[40:41]
	s_cbranch_execnz .LBB6_22743
; %bb.22744:                            ;   in Loop: Header=BB6_22618 Depth=3
	s_or_b64 exec, exec, s[40:41]
.LBB6_22745:                            ;   in Loop: Header=BB6_22618 Depth=3
	s_or_b64 exec, exec, s[28:29]
	buffer_load_dword v14, off, s[0:3], s33 offset:316 ; 4-byte Folded Reload
	v_lshlrev_b32_e32 v10, 11, v10
	v_cmp_ne_u32_e32 vcc, v6, v10
	s_and_b64 s[28:29], exec, vcc
	s_mov_b64 exec, s[28:29]
	s_cbranch_execz .LBB6_22749
; %bb.22746:                            ;   in Loop: Header=BB6_22618 Depth=3
	v_lshlrev_b32_e32 v8, 6, v8
	v_sub_u32_e32 v7, v7, v8
	v_lshlrev_b32_e32 v8, 6, v9
	v_sub_u32_e32 v7, v7, v8
	v_add_u32_e32 v7, v10, v7
	v_sub_u32_e32 v6, v6, v7
	v_cmp_lt_i32_e32 vcc, 0, v6
	s_and_b64 exec, exec, vcc
	s_cbranch_execz .LBB6_22749
; %bb.22747:                            ;   in Loop: Header=BB6_22618 Depth=3
	s_trap 2
	ds_read_b64 v[8:9], v0
	v_add_u32_e32 v5, v7, v5
	v_ashrrev_i32_e32 v7, 31, v5
	s_mov_b64 s[28:29], 0
.LBB6_22748:                            ;   Parent Loop BB6_47 Depth=1
                                        ;     Parent Loop BB6_22615 Depth=2
                                        ;       Parent Loop BB6_22618 Depth=3
                                        ; =>      This Inner Loop Header: Depth=4
	s_waitcnt lgkmcnt(0)
	v_add_co_u32_e32 v10, vcc, v8, v5
	v_addc_co_u32_e32 v11, vcc, v9, v7, vcc
	flat_load_ubyte v13, v[10:11] glc slc
	s_waitcnt vmcnt(0)
	v_add_co_u32_e32 v5, vcc, v5, v14
	v_sub_u32_e32 v6, v6, v14
	v_addc_co_u32_e32 v7, vcc, 0, v7, vcc
	v_cmp_gt_i32_e32 vcc, 1, v6
	s_or_b64 s[28:29], vcc, s[28:29]
	s_waitcnt lgkmcnt(0)
	flat_store_byte v[10:11], v13 glc slc
	s_andn2_b64 exec, exec, s[28:29]
	s_cbranch_execnz .LBB6_22748
.LBB6_22749:                            ;   in Loop: Header=BB6_22618 Depth=3
	s_or_b64 exec, exec, s[26:27]
	v_cmp_lt_i32_e64 s[26:27], 0, v4
	s_and_saveexec_b64 s[28:29], s[12:13]
	s_cbranch_execz .LBB6_22694
.LBB6_22750:                            ;   in Loop: Header=BB6_22618 Depth=3
	s_and_saveexec_b64 s[40:41], s[58:59]
	s_xor_b64 s[40:41], exec, s[40:41]
	s_cbranch_execz .LBB6_22765
; %bb.22751:                            ;   in Loop: Header=BB6_22618 Depth=3
	s_and_saveexec_b64 s[94:95], s[6:7]
	s_cbranch_execz .LBB6_22764
; %bb.22752:                            ;   in Loop: Header=BB6_22618 Depth=3
	s_mov_b64 s[34:35], exec
	v_mbcnt_lo_u32_b32 v4, s34, 0
	v_mbcnt_hi_u32_b32 v4, s35, v4
	v_cmp_eq_u32_e32 vcc, 0, v4
	s_waitcnt vmcnt(0) lgkmcnt(0)
	buffer_wbinvl1_vol
	s_and_saveexec_b64 s[30:31], vcc
	s_cbranch_execz .LBB6_22754
; %bb.22753:                            ;   in Loop: Header=BB6_22618 Depth=3
	s_bcnt1_i32_b64 vcc_lo, s[34:35]
	v_mov_b32_e32 v4, vcc_lo
	v_mov_b32_e32 v5, v51
	ds_add_u64 v0, v[4:5]
	s_trap 2
.LBB6_22754:                            ;   in Loop: Header=BB6_22618 Depth=3
	s_or_b64 exec, exec, s[30:31]
	s_trap 2
	ds_read_b64 v[4:5], v0
	s_waitcnt lgkmcnt(0)
	buffer_load_dword v6, off, s[0:3], s33 offset:76 ; 4-byte Folded Reload
	buffer_load_dword v7, off, s[0:3], s33 offset:80 ; 4-byte Folded Reload
	;; [unrolled: 1-line block ×3, first 2 shown]
	s_waitcnt vmcnt(0)
	v_add_co_u32_e32 v6, vcc, v6, v8
	v_addc_co_u32_e32 v7, vcc, 0, v7, vcc
	buffer_store_dword v6, off, s[0:3], s33 offset:76 ; 4-byte Folded Spill
	s_nop 0
	buffer_store_dword v7, off, s[0:3], s33 offset:80 ; 4-byte Folded Spill
	v_cmp_lt_u64_e32 vcc, v[4:5], v[6:7]
	s_and_saveexec_b64 s[30:31], vcc
	s_cbranch_execz .LBB6_22763
; %bb.22755:                            ;   in Loop: Header=BB6_22618 Depth=3
	s_mov_b32 s52, 0
	s_mov_b64 s[34:35], 0
                                        ; implicit-def: $sgpr36_sgpr37
                                        ; implicit-def: $sgpr38_sgpr39
	s_branch .LBB6_22757
.LBB6_22756:                            ;   in Loop: Header=BB6_22757 Depth=4
	s_or_b64 exec, exec, s[50:51]
	s_and_b64 vcc, exec, vcc
	s_or_b64 s[34:35], vcc, s[34:35]
	s_andn2_b64 vcc, s[36:37], exec
	s_and_b64 s[36:37], s[38:39], exec
	s_or_b64 s[36:37], vcc, s[36:37]
	s_andn2_b64 exec, exec, s[34:35]
	s_cbranch_execz .LBB6_22761
.LBB6_22757:                            ;   Parent Loop BB6_47 Depth=1
                                        ;     Parent Loop BB6_22615 Depth=2
                                        ;       Parent Loop BB6_22618 Depth=3
                                        ; =>      This Inner Loop Header: Depth=4
	s_add_i32 s52, s52, 1
	s_cmpk_lg_i32 s52, 0x2710
	s_cselect_b64 s[48:49], -1, 0
	s_and_b64 vcc, exec, s[48:49]
	s_cbranch_vccz .LBB6_22759
; %bb.22758:                            ;   in Loop: Header=BB6_22757 Depth=4
	s_mov_b64 vcc, -1
	s_or_b64 s[38:39], s[38:39], exec
	s_and_saveexec_b64 s[50:51], s[48:49]
	s_cbranch_execz .LBB6_22756
	s_branch .LBB6_22760
.LBB6_22759:                            ;   in Loop: Header=BB6_22757 Depth=4
	s_trap 2
	ds_read_b64 v[4:5], v0
	s_andn2_b64 s[48:49], s[48:49], exec
	s_mov_b32 s52, 0
	s_waitcnt vmcnt(0) lgkmcnt(0)
	flat_load_dword v4, v[4:5] glc
	s_waitcnt vmcnt(0) lgkmcnt(0)
	buffer_wbinvl1_vol
	v_cmp_eq_u32_e32 vcc, 0, v4
	s_and_b64 vcc, vcc, exec
	s_or_b64 s[48:49], s[48:49], vcc
	s_mov_b64 vcc, -1
	s_or_b64 s[38:39], s[38:39], exec
	s_and_saveexec_b64 s[50:51], s[48:49]
	s_cbranch_execz .LBB6_22756
.LBB6_22760:                            ;   in Loop: Header=BB6_22757 Depth=4
	s_sleep 1
	s_trap 2
	ds_read_b64 v[4:5], v0
	s_waitcnt lgkmcnt(0)
	buffer_load_dword v6, off, s[0:3], s33 offset:76 ; 4-byte Folded Reload
	buffer_load_dword v7, off, s[0:3], s33 offset:80 ; 4-byte Folded Reload
	s_andn2_b64 s[38:39], s[38:39], exec
	s_waitcnt vmcnt(0)
	v_cmp_ge_u64_e32 vcc, v[4:5], v[6:7]
	s_orn2_b64 vcc, vcc, exec
	s_branch .LBB6_22756
.LBB6_22761:                            ;   in Loop: Header=BB6_22618 Depth=3
	s_or_b64 exec, exec, s[34:35]
	s_and_saveexec_b64 vcc, s[36:37]
	s_xor_b64 vcc, exec, vcc
	s_cbranch_execz .LBB6_22763
; %bb.22762:                            ;   in Loop: Header=BB6_22618 Depth=3
	v_mov_b32_e32 v4, 1
	ds_write_b32 v0, v4
	s_trap 2
.LBB6_22763:                            ;   in Loop: Header=BB6_22618 Depth=3
	s_or_b64 exec, exec, s[30:31]
	;;#ASMSTART
	s_wakeup
	;;#ASMEND
.LBB6_22764:                            ;   in Loop: Header=BB6_22618 Depth=3
	s_or_b64 exec, exec, s[94:95]
.LBB6_22765:                            ;   in Loop: Header=BB6_22618 Depth=3
	s_andn2_saveexec_b64 s[40:41], s[40:41]
	s_cbranch_execz .LBB6_22767
; %bb.22766:                            ;   in Loop: Header=BB6_22618 Depth=3
	s_waitcnt vmcnt(0) lgkmcnt(0)
	buffer_wbinvl1_vol
	s_barrier
.LBB6_22767:                            ;   in Loop: Header=BB6_22618 Depth=3
	s_or_b64 exec, exec, s[40:41]
	s_or_b64 exec, exec, s[28:29]
                                        ; implicit-def: $vgpr4
	s_and_saveexec_b64 s[28:29], s[18:19]
	s_xor_b64 s[28:29], exec, s[28:29]
	s_cbranch_execnz .LBB6_22695
.LBB6_22768:                            ;   in Loop: Header=BB6_22618 Depth=3
	s_andn2_saveexec_b64 s[26:27], s[28:29]
	s_cbranch_execz .LBB6_22787
.LBB6_22769:                            ;   in Loop: Header=BB6_22618 Depth=3
	s_and_saveexec_b64 s[28:29], s[58:59]
	s_xor_b64 s[28:29], exec, s[28:29]
	s_cbranch_execz .LBB6_22784
; %bb.22770:                            ;   in Loop: Header=BB6_22618 Depth=3
	s_and_saveexec_b64 s[40:41], s[6:7]
	s_cbranch_execz .LBB6_22783
; %bb.22771:                            ;   in Loop: Header=BB6_22618 Depth=3
	s_mov_b64 s[30:31], exec
	v_mbcnt_lo_u32_b32 v4, s30, 0
	v_mbcnt_hi_u32_b32 v4, s31, v4
	v_cmp_eq_u32_e32 vcc, 0, v4
	;;#ASMSTART
	s_waitcnt lgkmcnt(0) vmcnt(0)
	;;#ASMEND
	s_and_saveexec_b64 s[94:95], vcc
	s_cbranch_execz .LBB6_22773
; %bb.22772:                            ;   in Loop: Header=BB6_22618 Depth=3
	s_bcnt1_i32_b64 vcc_lo, s[30:31]
	v_mov_b32_e32 v4, vcc_lo
	v_mov_b32_e32 v5, v51
	s_waitcnt lgkmcnt(0)
	ds_add_u64 v0, v[4:5]
	s_trap 2
.LBB6_22773:                            ;   in Loop: Header=BB6_22618 Depth=3
	s_or_b64 exec, exec, s[94:95]
	s_trap 2
	ds_read_b64 v[4:5], v0
	s_waitcnt lgkmcnt(0)
	buffer_load_dword v6, off, s[0:3], s33 offset:76 ; 4-byte Folded Reload
	buffer_load_dword v7, off, s[0:3], s33 offset:80 ; 4-byte Folded Reload
	;; [unrolled: 1-line block ×3, first 2 shown]
	s_waitcnt vmcnt(0)
	v_add_co_u32_e32 v6, vcc, v6, v8
	v_addc_co_u32_e32 v7, vcc, 0, v7, vcc
	buffer_store_dword v6, off, s[0:3], s33 offset:76 ; 4-byte Folded Spill
	s_nop 0
	buffer_store_dword v7, off, s[0:3], s33 offset:80 ; 4-byte Folded Spill
	v_cmp_lt_u64_e32 vcc, v[4:5], v[6:7]
	s_and_saveexec_b64 s[94:95], vcc
	s_cbranch_execz .LBB6_22782
; %bb.22774:                            ;   in Loop: Header=BB6_22618 Depth=3
	s_mov_b32 s50, 0
	s_mov_b64 s[30:31], 0
                                        ; implicit-def: $sgpr34_sgpr35
                                        ; implicit-def: $sgpr36_sgpr37
	s_branch .LBB6_22776
.LBB6_22775:                            ;   in Loop: Header=BB6_22776 Depth=4
	s_or_b64 exec, exec, s[48:49]
	s_and_b64 vcc, exec, vcc
	s_or_b64 s[30:31], vcc, s[30:31]
	s_andn2_b64 vcc, s[34:35], exec
	s_and_b64 s[34:35], s[36:37], exec
	s_or_b64 s[34:35], vcc, s[34:35]
	s_andn2_b64 exec, exec, s[30:31]
	s_cbranch_execz .LBB6_22780
.LBB6_22776:                            ;   Parent Loop BB6_47 Depth=1
                                        ;     Parent Loop BB6_22615 Depth=2
                                        ;       Parent Loop BB6_22618 Depth=3
                                        ; =>      This Inner Loop Header: Depth=4
	s_add_i32 s50, s50, 1
	s_cmpk_lg_i32 s50, 0x2710
	s_cselect_b64 s[38:39], -1, 0
	s_and_b64 vcc, exec, s[38:39]
	s_cbranch_vccz .LBB6_22778
; %bb.22777:                            ;   in Loop: Header=BB6_22776 Depth=4
	s_mov_b64 vcc, -1
	s_or_b64 s[36:37], s[36:37], exec
	s_and_saveexec_b64 s[48:49], s[38:39]
	s_cbranch_execz .LBB6_22775
	s_branch .LBB6_22779
.LBB6_22778:                            ;   in Loop: Header=BB6_22776 Depth=4
	s_trap 2
	ds_read_b64 v[4:5], v0
	s_andn2_b64 s[38:39], s[38:39], exec
	s_mov_b32 s50, 0
	s_waitcnt vmcnt(0) lgkmcnt(0)
	flat_load_dword v4, v[4:5] glc
	s_waitcnt vmcnt(0) lgkmcnt(0)
	buffer_wbinvl1_vol
	v_cmp_eq_u32_e32 vcc, 0, v4
	s_and_b64 vcc, vcc, exec
	s_or_b64 s[38:39], s[38:39], vcc
	s_mov_b64 vcc, -1
	s_or_b64 s[36:37], s[36:37], exec
	s_and_saveexec_b64 s[48:49], s[38:39]
	s_cbranch_execz .LBB6_22775
.LBB6_22779:                            ;   in Loop: Header=BB6_22776 Depth=4
	s_sleep 1
	s_trap 2
	ds_read_b64 v[4:5], v0
	s_waitcnt lgkmcnt(0)
	buffer_load_dword v6, off, s[0:3], s33 offset:76 ; 4-byte Folded Reload
	buffer_load_dword v7, off, s[0:3], s33 offset:80 ; 4-byte Folded Reload
	s_andn2_b64 s[36:37], s[36:37], exec
	s_waitcnt vmcnt(0)
	v_cmp_ge_u64_e32 vcc, v[4:5], v[6:7]
	s_orn2_b64 vcc, vcc, exec
	s_branch .LBB6_22775
.LBB6_22780:                            ;   in Loop: Header=BB6_22618 Depth=3
	s_or_b64 exec, exec, s[30:31]
	s_and_saveexec_b64 vcc, s[34:35]
	s_xor_b64 vcc, exec, vcc
	s_cbranch_execz .LBB6_22782
; %bb.22781:                            ;   in Loop: Header=BB6_22618 Depth=3
	v_mov_b32_e32 v4, 1
	ds_write_b32 v0, v4
	s_trap 2
.LBB6_22782:                            ;   in Loop: Header=BB6_22618 Depth=3
	s_or_b64 exec, exec, s[94:95]
	;;#ASMSTART
	s_wakeup
	;;#ASMEND
.LBB6_22783:                            ;   in Loop: Header=BB6_22618 Depth=3
	s_or_b64 exec, exec, s[40:41]
.LBB6_22784:                            ;   in Loop: Header=BB6_22618 Depth=3
	s_andn2_saveexec_b64 s[28:29], s[28:29]
	s_cbranch_execz .LBB6_22786
; %bb.22785:                            ;   in Loop: Header=BB6_22618 Depth=3
	;;#ASMSTART
	s_waitcnt lgkmcnt(0) vmcnt(0)
	;;#ASMEND
	s_waitcnt vmcnt(0) lgkmcnt(0)
	s_barrier
.LBB6_22786:                            ;   in Loop: Header=BB6_22618 Depth=3
	s_or_b64 exec, exec, s[28:29]
	buffer_load_dword v4, off, s[0:3], s33 offset:72 ; 4-byte Folded Reload
	s_waitcnt vmcnt(0)
	v_and_b32_e32 v4, 16, v4
.LBB6_22787:                            ;   in Loop: Header=BB6_22618 Depth=3
	s_or_b64 exec, exec, s[26:27]
	v_cmp_ne_u32_e32 vcc, 0, v4
	s_xor_b64 s[26:27], s[20:21], -1
	s_and_b64 s[28:29], vcc, s[26:27]
	s_and_saveexec_b64 s[26:27], s[28:29]
	s_cbranch_execz .LBB6_22789
; %bb.22788:                            ;   in Loop: Header=BB6_22618 Depth=3
	buffer_load_dword v4, off, s[0:3], s33 offset:348 ; 4-byte Folded Reload
	buffer_load_dword v5, off, s[0:3], s33 offset:352 ; 4-byte Folded Reload
	v_mov_b32_e32 v6, 1
	s_waitcnt vmcnt(0)
	flat_store_dword v[4:5], v6
.LBB6_22789:                            ;   in Loop: Header=BB6_22618 Depth=3
	s_or_b64 exec, exec, s[26:27]
	buffer_load_dword v4, off, s[0:3], s33 offset:72 ; 4-byte Folded Reload
	s_waitcnt vmcnt(0)
	v_and_b32_e32 v4, 48, v4
	v_cmp_ne_u32_e32 vcc, 0, v4
	s_and_saveexec_b64 s[26:27], vcc
	s_cbranch_execz .LBB6_22617
; %bb.22790:                            ;   in Loop: Header=BB6_22618 Depth=3
	buffer_load_dword v6, off, s[0:3], s33 offset:84 ; 4-byte Folded Reload
	buffer_load_dword v7, off, s[0:3], s33 offset:88 ; 4-byte Folded Reload
	buffer_load_dword v4, off, s[0:3], s33 offset:64 ; 4-byte Folded Reload
	buffer_load_dword v5, off, s[0:3], s33 offset:68 ; 4-byte Folded Reload
	s_waitcnt vmcnt(0)
	v_add_co_u32_e32 v6, vcc, 2, v6
	v_addc_co_u32_e32 v7, vcc, 0, v7, vcc
	buffer_store_dword v6, off, s[0:3], s33 offset:84 ; 4-byte Folded Spill
	s_nop 0
	buffer_store_dword v7, off, s[0:3], s33 offset:88 ; 4-byte Folded Spill
	flat_store_dwordx2 v[4:5], v[6:7]
	s_branch .LBB6_22617
.LBB6_22791:                            ;   in Loop: Header=BB6_22615 Depth=2
	s_or_b64 exec, exec, s[42:43]
	v_cmp_gt_i32_e32 vcc, 2, v4
	s_and_saveexec_b64 s[28:29], vcc
	s_cbranch_execz .LBB6_22867
.LBB6_22792:                            ;   in Loop: Header=BB6_22615 Depth=2
	v_cmp_eq_u32_e64 s[42:43], 0, v4
	s_mov_b64 s[40:41], 0
	s_branch .LBB6_22794
.LBB6_22793:                            ;   in Loop: Header=BB6_22794 Depth=3
	s_or_b64 exec, exec, s[26:27]
	v_add_u32_e32 v1, v12, v1
	s_mov_b64 s[42:43], 0
	s_andn2_b64 exec, exec, s[40:41]
	s_cbranch_execz .LBB6_22868
.LBB6_22794:                            ;   Parent Loop BB6_47 Depth=1
                                        ;     Parent Loop BB6_22615 Depth=2
                                        ; =>    This Loop Header: Depth=3
                                        ;         Child Loop BB6_22800 Depth 4
                                        ;         Child Loop BB6_22828 Depth 4
	;; [unrolled: 1-line block ×3, first 2 shown]
	v_sub_u32_e32 v2, v0, v1
	v_min_i32_e32 v12, v12, v2
	buffer_load_dword v2, off, s[0:3], s33 offset:72 ; 4-byte Folded Reload
	s_waitcnt vmcnt(0)
	v_and_b32_e32 v2, 12, v2
	v_cmp_ne_u32_e32 vcc, 0, v2
	s_and_saveexec_b64 s[90:91], vcc
	s_cbranch_execz .LBB6_22820
; %bb.22795:                            ;   in Loop: Header=BB6_22794 Depth=3
	buffer_load_dword v2, off, s[0:3], s33 offset:72 ; 4-byte Folded Reload
	buffer_load_dword v3, off, s[0:3], s33 offset:56 ; 4-byte Folded Reload
	;; [unrolled: 1-line block ×5, first 2 shown]
	s_waitcnt vmcnt(0)
	v_and_b32_e32 v2, 8, v2
	v_add_co_u32_e32 v3, vcc, v3, v2
	v_addc_co_u32_e32 v4, vcc, 0, v4, vcc
	v_add_co_u32_e32 v8, vcc, 2, v5
	v_addc_co_u32_e32 v9, vcc, 0, v6, vcc
	v_cmp_lt_u64_e32 vcc, v[3:4], v[8:9]
	s_and_saveexec_b64 s[92:93], vcc
	s_cbranch_execz .LBB6_22807
; %bb.22796:                            ;   in Loop: Header=BB6_22794 Depth=3
	buffer_load_dword v3, off, s[0:3], s33 offset:72 ; 4-byte Folded Reload
	s_mov_b32 s45, 0
	s_mov_b64 s[94:95], 0
                                        ; implicit-def: $sgpr30_sgpr31
                                        ; implicit-def: $sgpr34_sgpr35
                                        ; implicit-def: $sgpr36_sgpr37
	s_waitcnt vmcnt(0)
	v_and_b32_e32 v3, 64, v3
	v_cmp_eq_u32_e32 vcc, 0, v3
	s_branch .LBB6_22800
.LBB6_22797:                            ;   in Loop: Header=BB6_22800 Depth=4
	buffer_load_dword v4, off, s[0:3], s33 offset:56 ; 4-byte Folded Reload
	buffer_load_dword v5, off, s[0:3], s33 offset:60 ; 4-byte Folded Reload
	s_or_b64 s[50:51], s[50:51], exec
	s_waitcnt vmcnt(1)
	v_add_co_u32_e64 v4, s[26:27], v4, v2
	s_waitcnt vmcnt(0)
	v_addc_co_u32_e64 v5, s[26:27], 0, v5, s[26:27]
	v_cmp_ge_u64_e64 s[26:27], v[4:5], v[8:9]
	s_orn2_b64 s[48:49], s[26:27], exec
.LBB6_22798:                            ;   in Loop: Header=BB6_22800 Depth=4
	s_or_b64 exec, exec, s[54:55]
	s_andn2_b64 s[26:27], s[36:37], exec
	s_and_b64 s[36:37], s[50:51], exec
	s_or_b64 s[36:37], s[26:27], s[36:37]
	s_andn2_b64 s[26:27], s[34:35], exec
	s_and_b64 s[34:35], s[48:49], exec
	s_or_b64 s[34:35], s[26:27], s[34:35]
.LBB6_22799:                            ;   in Loop: Header=BB6_22800 Depth=4
	s_or_b64 exec, exec, s[38:39]
	s_and_b64 s[26:27], exec, s[34:35]
	s_or_b64 s[94:95], s[26:27], s[94:95]
	s_andn2_b64 s[26:27], s[30:31], exec
	s_and_b64 s[30:31], s[36:37], exec
	s_or_b64 s[30:31], s[26:27], s[30:31]
	s_andn2_b64 exec, exec, s[94:95]
	s_cbranch_execz .LBB6_22804
.LBB6_22800:                            ;   Parent Loop BB6_47 Depth=1
                                        ;     Parent Loop BB6_22615 Depth=2
                                        ;       Parent Loop BB6_22794 Depth=3
                                        ; =>      This Inner Loop Header: Depth=4
	s_sleep 1
	buffer_load_dword v3, off, s[0:3], s33 offset:64 ; 4-byte Folded Reload
	buffer_load_dword v4, off, s[0:3], s33 offset:68 ; 4-byte Folded Reload
	s_or_b64 s[36:37], s[36:37], exec
	s_or_b64 s[34:35], s[34:35], exec
	s_waitcnt vmcnt(0)
	flat_load_dwordx2 v[3:4], v[3:4] glc
	s_waitcnt vmcnt(0) lgkmcnt(0)
	buffer_store_dword v3, off, s[0:3], s33 offset:56 ; 4-byte Folded Spill
	s_nop 0
	buffer_store_dword v4, off, s[0:3], s33 offset:60 ; 4-byte Folded Spill
                                        ; implicit-def: $vgpr3
	s_and_saveexec_b64 s[38:39], vcc
	s_cbranch_execz .LBB6_22799
; %bb.22801:                            ;   in Loop: Header=BB6_22800 Depth=4
	s_cmpk_lt_i32 s45, 0x270f
	s_cselect_b64 s[52:53], -1, 0
	s_cmpk_gt_i32 s45, 0x270e
	s_mov_b64 s[48:49], -1
	s_cbranch_scc0 .LBB6_22803
; %bb.22802:                            ;   in Loop: Header=BB6_22800 Depth=4
	s_trap 2
	ds_read_b64 v[3:4], v0
	s_andn2_b64 s[52:53], s[52:53], exec
	s_mov_b32 s45, 0
	s_mov_b64 s[50:51], 0
	s_waitcnt vmcnt(0) lgkmcnt(0)
	flat_load_dword v3, v[3:4] glc
	s_waitcnt vmcnt(0) lgkmcnt(0)
	buffer_wbinvl1_vol
	v_cmp_eq_u32_e64 s[26:27], 0, v3
	s_and_b64 s[26:27], s[26:27], exec
	s_or_b64 s[52:53], s[52:53], s[26:27]
	s_and_saveexec_b64 s[54:55], s[52:53]
	s_cbranch_execz .LBB6_22798
	s_branch .LBB6_22797
.LBB6_22803:                            ;   in Loop: Header=BB6_22800 Depth=4
	s_add_i32 s45, s45, 1
	s_mov_b64 s[50:51], -1
                                        ; implicit-def: $vgpr3
	s_and_saveexec_b64 s[54:55], s[52:53]
	s_cbranch_execz .LBB6_22798
	s_branch .LBB6_22797
.LBB6_22804:                            ;   in Loop: Header=BB6_22794 Depth=3
	s_or_b64 exec, exec, s[94:95]
	s_xor_b64 s[26:27], s[30:31], -1
	s_and_saveexec_b64 s[94:95], s[26:27]
	s_xor_b64 s[26:27], exec, s[94:95]
	s_cbranch_execz .LBB6_22806
; %bb.22805:                            ;   in Loop: Header=BB6_22794 Depth=3
	ds_write_b32 v0, v3
	s_trap 2
	buffer_load_dword v3, off, s[0:3], s33 offset:72 ; 4-byte Folded Reload
	s_waitcnt vmcnt(0)
	v_or_b32_e32 v3, 64, v3
	buffer_store_dword v3, off, s[0:3], s33 offset:72 ; 4-byte Folded Spill
.LBB6_22806:                            ;   in Loop: Header=BB6_22794 Depth=3
	s_or_b64 exec, exec, s[26:27]
.LBB6_22807:                            ;   in Loop: Header=BB6_22794 Depth=3
	s_or_b64 exec, exec, s[92:93]
	;;#ASMSTART
	s_wakeup
	;;#ASMEND
	buffer_load_dword v3, off, s[0:3], s33 offset:72 ; 4-byte Folded Reload
                                        ; implicit-def: $vgpr10_vgpr11
	s_waitcnt vmcnt(0)
	v_and_b32_e32 v3, 0x108, v3
	v_cmp_ne_u32_e32 vcc, s44, v3
	s_and_saveexec_b64 s[26:27], vcc
	s_xor_b64 s[26:27], exec, s[26:27]
	s_cbranch_execz .LBB6_22809
; %bb.22808:                            ;   in Loop: Header=BB6_22794 Depth=3
	buffer_load_dword v3, off, s[0:3], s33 offset:84 ; 4-byte Folded Reload
	buffer_load_dword v4, off, s[0:3], s33 offset:88 ; 4-byte Folded Reload
	v_mov_b32_e32 v11, v51
	s_waitcnt vmcnt(0)
	v_and_b32_e32 v10, 7, v3
                                        ; implicit-def: $vgpr3_vgpr4
                                        ; kill: killed $vgpr3_vgpr4
.LBB6_22809:                            ;   in Loop: Header=BB6_22794 Depth=3
	s_andn2_saveexec_b64 s[26:27], s[26:27]
	s_cbranch_execz .LBB6_22811
; %bb.22810:                            ;   in Loop: Header=BB6_22794 Depth=3
	buffer_load_dword v3, off, s[0:3], s33 offset:84 ; 4-byte Folded Reload
	buffer_load_dword v4, off, s[0:3], s33 offset:88 ; 4-byte Folded Reload
	v_mov_b32_e32 v11, v51
	v_ashrrev_i32_e32 v13, 31, v12
	s_waitcnt vmcnt(0)
	v_and_b32_e32 v10, 7, v3
	buffer_load_dword v3, off, s[0:3], s33 offset:332 ; 4-byte Folded Reload
	buffer_load_dword v4, off, s[0:3], s33 offset:336 ; 4-byte Folded Reload
	;; [unrolled: 1-line block ×4, first 2 shown]
	s_waitcnt vmcnt(0)
	v_mad_u64_u32 v[3:4], s[92:93], v10, 24, v[3:4]
	flat_store_dwordx2 v[3:4], v[12:13] offset:8
.LBB6_22811:                            ;   in Loop: Header=BB6_22794 Depth=3
	s_or_b64 exec, exec, s[26:27]
	buffer_load_dword v3, off, s[0:3], s33 offset:72 ; 4-byte Folded Reload
	s_mov_b64 s[26:27], -1
                                        ; implicit-def: $vgpr13_vgpr14
	s_waitcnt vmcnt(0)
	v_and_b32_e32 v3, 0x100, v3
	v_cmp_ne_u32_e32 vcc, 0, v3
	s_and_saveexec_b64 s[92:93], vcc
	s_cbranch_execz .LBB6_22815
; %bb.22812:                            ;   in Loop: Header=BB6_22794 Depth=3
	buffer_load_dword v3, off, s[0:3], s33 offset:332 ; 4-byte Folded Reload
	buffer_load_dword v4, off, s[0:3], s33 offset:336 ; 4-byte Folded Reload
	;; [unrolled: 1-line block ×4, first 2 shown]
                                        ; implicit-def: $vgpr13_vgpr14
	s_waitcnt vmcnt(0)
	v_mad_u64_u32 v[4:5], s[26:27], v10, 24, v[3:4]
	v_mov_b32_e32 v3, v5
	v_mad_u64_u32 v[5:6], s[26:27], v11, 24, v[3:4]
	flat_load_dword v3, v[4:5]
	s_waitcnt vmcnt(0) lgkmcnt(0)
	v_cmp_ne_u32_e32 vcc, 1, v3
	v_cmp_eq_u32_e64 s[26:27], 1, v3
	s_and_saveexec_b64 s[94:95], s[26:27]
	s_cbranch_execz .LBB6_22814
; %bb.22813:                            ;   in Loop: Header=BB6_22794 Depth=3
	flat_load_dword v13, v[4:5] offset:4 glc
	s_waitcnt vmcnt(0) lgkmcnt(0)
	v_ashrrev_i32_e32 v14, 31, v13
.LBB6_22814:                            ;   in Loop: Header=BB6_22794 Depth=3
	s_or_b64 exec, exec, s[94:95]
	s_orn2_b64 s[26:27], vcc, exec
.LBB6_22815:                            ;   in Loop: Header=BB6_22794 Depth=3
	s_or_b64 exec, exec, s[92:93]
	s_and_saveexec_b64 s[92:93], s[26:27]
	s_cbranch_execz .LBB6_22817
; %bb.22816:                            ;   in Loop: Header=BB6_22794 Depth=3
	buffer_load_dword v5, off, s[0:3], s33 offset:368 ; 4-byte Folded Reload
	buffer_load_dword v4, off, s[0:3], s33 offset:388 ; 4-byte Folded Reload
	s_waitcnt vmcnt(0)
	v_mul_lo_u32 v3, v11, v5
	v_mul_lo_u32 v4, v10, v4
	v_mad_u64_u32 v[13:14], s[26:27], v10, v5, 0
	v_add3_u32 v14, v14, v4, v3
.LBB6_22817:                            ;   in Loop: Header=BB6_22794 Depth=3
	s_or_b64 exec, exec, s[92:93]
	v_cmp_eq_u32_e32 vcc, 0, v2
	v_mov_b32_e32 v2, 0xd0
	v_mov_b32_e32 v3, 0x88
	v_cndmask_b32_e32 v4, v2, v3, vcc
	buffer_load_dword v2, off, s[0:3], s33 offset:324 ; 4-byte Folded Reload
	buffer_load_dword v3, off, s[0:3], s33 offset:328 ; 4-byte Folded Reload
	v_add_u32_e32 v4, v0, v4
	s_waitcnt vmcnt(0)
	v_add_co_u32_e32 v2, vcc, v2, v13
	v_addc_co_u32_e32 v3, vcc, v3, v14, vcc
	ds_write_b64 v4, v[2:3] offset:584
	buffer_load_dword v2, off, s[0:3], s33 offset:72 ; 4-byte Folded Reload
	s_waitcnt vmcnt(0)
	v_and_b32_e32 v2, 0x2000, v2
	v_cmp_ne_u32_e32 vcc, 0, v2
	s_and_saveexec_b64 s[26:27], vcc
	s_cbranch_execz .LBB6_22819
; %bb.22818:                            ;   in Loop: Header=BB6_22794 Depth=3
	ds_read_b64 v[2:3], v0 offset:872
	s_waitcnt lgkmcnt(0)
	v_add_co_u32_e32 v2, vcc, 1, v2
	v_addc_co_u32_e32 v3, vcc, 0, v3, vcc
	ds_write_b64 v0, v[2:3] offset:872
.LBB6_22819:                            ;   in Loop: Header=BB6_22794 Depth=3
	s_or_b64 exec, exec, s[26:27]
	buffer_store_dword v8, off, s[0:3], s33 offset:84 ; 4-byte Folded Spill
	s_nop 0
	buffer_store_dword v9, off, s[0:3], s33 offset:88 ; 4-byte Folded Spill
.LBB6_22820:                            ;   in Loop: Header=BB6_22794 Depth=3
	s_or_b64 exec, exec, s[90:91]
	s_xor_b64 s[26:27], s[42:43], -1
	s_and_b64 s[26:27], exec, s[26:27]
	s_or_b64 s[40:41], s[26:27], s[40:41]
	s_and_saveexec_b64 s[26:27], s[12:13]
	s_cbranch_execz .LBB6_22839
; %bb.22821:                            ;   in Loop: Header=BB6_22794 Depth=3
	s_and_saveexec_b64 s[42:43], s[58:59]
	s_xor_b64 s[42:43], exec, s[42:43]
	s_cbranch_execz .LBB6_22836
; %bb.22822:                            ;   in Loop: Header=BB6_22794 Depth=3
	s_and_saveexec_b64 s[90:91], s[6:7]
	s_cbranch_execz .LBB6_22835
; %bb.22823:                            ;   in Loop: Header=BB6_22794 Depth=3
	s_mov_b64 s[94:95], exec
	v_mbcnt_lo_u32_b32 v2, s94, 0
	v_mbcnt_hi_u32_b32 v2, s95, v2
	v_cmp_eq_u32_e32 vcc, 0, v2
	s_waitcnt vmcnt(0) lgkmcnt(0)
	buffer_wbinvl1_vol
	s_and_saveexec_b64 s[92:93], vcc
	s_cbranch_execz .LBB6_22825
; %bb.22824:                            ;   in Loop: Header=BB6_22794 Depth=3
	s_bcnt1_i32_b64 s45, s[94:95]
	v_mov_b32_e32 v2, s45
	v_mov_b32_e32 v3, v51
	ds_add_u64 v0, v[2:3]
	s_trap 2
.LBB6_22825:                            ;   in Loop: Header=BB6_22794 Depth=3
	s_or_b64 exec, exec, s[92:93]
	s_trap 2
	ds_read_b64 v[2:3], v0
	s_waitcnt lgkmcnt(0)
	buffer_load_dword v4, off, s[0:3], s33 offset:76 ; 4-byte Folded Reload
	buffer_load_dword v5, off, s[0:3], s33 offset:80 ; 4-byte Folded Reload
	;; [unrolled: 1-line block ×3, first 2 shown]
	s_waitcnt vmcnt(0)
	v_add_co_u32_e32 v4, vcc, v4, v6
	v_addc_co_u32_e32 v5, vcc, 0, v5, vcc
	buffer_store_dword v4, off, s[0:3], s33 offset:76 ; 4-byte Folded Spill
	s_nop 0
	buffer_store_dword v5, off, s[0:3], s33 offset:80 ; 4-byte Folded Spill
	v_cmp_lt_u64_e32 vcc, v[2:3], v[4:5]
	s_and_saveexec_b64 s[92:93], vcc
	s_cbranch_execz .LBB6_22834
; %bb.22826:                            ;   in Loop: Header=BB6_22794 Depth=3
	s_mov_b32 s45, 0
	s_mov_b64 s[94:95], 0
                                        ; implicit-def: $sgpr30_sgpr31
                                        ; implicit-def: $sgpr34_sgpr35
	s_branch .LBB6_22828
.LBB6_22827:                            ;   in Loop: Header=BB6_22828 Depth=4
	s_or_b64 exec, exec, s[38:39]
	s_and_b64 vcc, exec, vcc
	s_or_b64 s[94:95], vcc, s[94:95]
	s_andn2_b64 vcc, s[30:31], exec
	s_and_b64 s[30:31], s[34:35], exec
	s_or_b64 s[30:31], vcc, s[30:31]
	s_andn2_b64 exec, exec, s[94:95]
	s_cbranch_execz .LBB6_22832
.LBB6_22828:                            ;   Parent Loop BB6_47 Depth=1
                                        ;     Parent Loop BB6_22615 Depth=2
                                        ;       Parent Loop BB6_22794 Depth=3
                                        ; =>      This Inner Loop Header: Depth=4
	s_add_i32 s45, s45, 1
	s_cmpk_lg_i32 s45, 0x2710
	s_cselect_b64 s[36:37], -1, 0
	s_and_b64 vcc, exec, s[36:37]
	s_cbranch_vccz .LBB6_22830
; %bb.22829:                            ;   in Loop: Header=BB6_22828 Depth=4
	s_mov_b64 vcc, -1
	s_or_b64 s[34:35], s[34:35], exec
	s_and_saveexec_b64 s[38:39], s[36:37]
	s_cbranch_execz .LBB6_22827
	s_branch .LBB6_22831
.LBB6_22830:                            ;   in Loop: Header=BB6_22828 Depth=4
	s_trap 2
	ds_read_b64 v[2:3], v0
	s_andn2_b64 s[36:37], s[36:37], exec
	s_mov_b32 s45, 0
	s_waitcnt vmcnt(0) lgkmcnt(0)
	flat_load_dword v2, v[2:3] glc
	s_waitcnt vmcnt(0) lgkmcnt(0)
	buffer_wbinvl1_vol
	v_cmp_eq_u32_e32 vcc, 0, v2
	s_and_b64 vcc, vcc, exec
	s_or_b64 s[36:37], s[36:37], vcc
	s_mov_b64 vcc, -1
	s_or_b64 s[34:35], s[34:35], exec
	s_and_saveexec_b64 s[38:39], s[36:37]
	s_cbranch_execz .LBB6_22827
.LBB6_22831:                            ;   in Loop: Header=BB6_22828 Depth=4
	s_sleep 1
	s_trap 2
	ds_read_b64 v[2:3], v0
	s_waitcnt lgkmcnt(0)
	buffer_load_dword v4, off, s[0:3], s33 offset:76 ; 4-byte Folded Reload
	buffer_load_dword v5, off, s[0:3], s33 offset:80 ; 4-byte Folded Reload
	s_andn2_b64 s[34:35], s[34:35], exec
	s_waitcnt vmcnt(0)
	v_cmp_ge_u64_e32 vcc, v[2:3], v[4:5]
	s_orn2_b64 vcc, vcc, exec
	s_branch .LBB6_22827
.LBB6_22832:                            ;   in Loop: Header=BB6_22794 Depth=3
	s_or_b64 exec, exec, s[94:95]
	s_and_saveexec_b64 s[94:95], s[30:31]
	s_xor_b64 s[94:95], exec, s[94:95]
	s_cbranch_execz .LBB6_22834
; %bb.22833:                            ;   in Loop: Header=BB6_22794 Depth=3
	v_mov_b32_e32 v2, 1
	ds_write_b32 v0, v2
	s_trap 2
.LBB6_22834:                            ;   in Loop: Header=BB6_22794 Depth=3
	s_or_b64 exec, exec, s[92:93]
	;;#ASMSTART
	s_wakeup
	;;#ASMEND
.LBB6_22835:                            ;   in Loop: Header=BB6_22794 Depth=3
	s_or_b64 exec, exec, s[90:91]
.LBB6_22836:                            ;   in Loop: Header=BB6_22794 Depth=3
	s_andn2_saveexec_b64 s[42:43], s[42:43]
	s_cbranch_execz .LBB6_22838
; %bb.22837:                            ;   in Loop: Header=BB6_22794 Depth=3
	s_waitcnt vmcnt(0) lgkmcnt(0)
	buffer_wbinvl1_vol
	s_barrier
.LBB6_22838:                            ;   in Loop: Header=BB6_22794 Depth=3
	s_or_b64 exec, exec, s[42:43]
.LBB6_22839:                            ;   in Loop: Header=BB6_22794 Depth=3
	s_or_b64 exec, exec, s[26:27]
                                        ; implicit-def: $vgpr2
	s_and_saveexec_b64 s[26:27], s[18:19]
	s_xor_b64 s[26:27], exec, s[26:27]
	s_cbranch_execz .LBB6_22843
; %bb.22840:                            ;   in Loop: Header=BB6_22794 Depth=3
	s_trap 2
	buffer_load_dword v3, off, s[0:3], s33 offset:72 ; 4-byte Folded Reload
	ds_read_b32 v2, v0
	v_cmp_lt_i32_e32 vcc, 0, v12
	s_waitcnt lgkmcnt(0)
	v_readfirstlane_b32 s42, v2
	s_cmp_eq_u32 s42, 0
	s_cselect_b64 s[42:43], -1, 0
	s_and_b64 s[42:43], vcc, s[42:43]
	s_waitcnt vmcnt(0)
	v_and_b32_e32 v2, 16, v3
	v_and_b32_e32 v3, 16, v3
	v_cmp_ne_u32_e32 vcc, 0, v3
	s_and_b64 s[90:91], vcc, s[42:43]
	s_and_saveexec_b64 s[42:43], s[90:91]
	s_cbranch_execz .LBB6_22842
; %bb.22841:                            ;   in Loop: Header=BB6_22794 Depth=3
	v_mov_b32_e32 v2, 1
	buffer_wbinvl1_vol
.LBB6_22842:                            ;   in Loop: Header=BB6_22794 Depth=3
	s_or_b64 exec, exec, s[42:43]
	s_andn2_saveexec_b64 s[26:27], s[26:27]
	s_cbranch_execz .LBB6_22862
	s_branch .LBB6_22844
.LBB6_22843:                            ;   in Loop: Header=BB6_22794 Depth=3
	s_andn2_saveexec_b64 s[26:27], s[26:27]
	s_cbranch_execz .LBB6_22862
.LBB6_22844:                            ;   in Loop: Header=BB6_22794 Depth=3
	s_and_saveexec_b64 s[42:43], s[58:59]
	s_xor_b64 s[42:43], exec, s[42:43]
	s_cbranch_execz .LBB6_22859
; %bb.22845:                            ;   in Loop: Header=BB6_22794 Depth=3
	s_and_saveexec_b64 s[90:91], s[6:7]
	s_cbranch_execz .LBB6_22858
; %bb.22846:                            ;   in Loop: Header=BB6_22794 Depth=3
	s_mov_b64 s[94:95], exec
	v_mbcnt_lo_u32_b32 v2, s94, 0
	v_mbcnt_hi_u32_b32 v2, s95, v2
	v_cmp_eq_u32_e32 vcc, 0, v2
	;;#ASMSTART
	s_waitcnt lgkmcnt(0) vmcnt(0)
	;;#ASMEND
	s_and_saveexec_b64 s[92:93], vcc
	s_cbranch_execz .LBB6_22848
; %bb.22847:                            ;   in Loop: Header=BB6_22794 Depth=3
	s_bcnt1_i32_b64 s45, s[94:95]
	v_mov_b32_e32 v2, s45
	v_mov_b32_e32 v3, v51
	s_waitcnt lgkmcnt(0)
	ds_add_u64 v0, v[2:3]
	s_trap 2
.LBB6_22848:                            ;   in Loop: Header=BB6_22794 Depth=3
	s_or_b64 exec, exec, s[92:93]
	s_trap 2
	ds_read_b64 v[2:3], v0
	s_waitcnt lgkmcnt(0)
	buffer_load_dword v4, off, s[0:3], s33 offset:76 ; 4-byte Folded Reload
	buffer_load_dword v5, off, s[0:3], s33 offset:80 ; 4-byte Folded Reload
	;; [unrolled: 1-line block ×3, first 2 shown]
	s_waitcnt vmcnt(0)
	v_add_co_u32_e32 v4, vcc, v4, v6
	v_addc_co_u32_e32 v5, vcc, 0, v5, vcc
	buffer_store_dword v4, off, s[0:3], s33 offset:76 ; 4-byte Folded Spill
	s_nop 0
	buffer_store_dword v5, off, s[0:3], s33 offset:80 ; 4-byte Folded Spill
	v_cmp_lt_u64_e32 vcc, v[2:3], v[4:5]
	s_and_saveexec_b64 s[92:93], vcc
	s_cbranch_execz .LBB6_22857
; %bb.22849:                            ;   in Loop: Header=BB6_22794 Depth=3
	s_mov_b32 s45, 0
	s_mov_b64 s[94:95], 0
                                        ; implicit-def: $sgpr30_sgpr31
                                        ; implicit-def: $sgpr34_sgpr35
	s_branch .LBB6_22851
.LBB6_22850:                            ;   in Loop: Header=BB6_22851 Depth=4
	s_or_b64 exec, exec, s[38:39]
	s_and_b64 vcc, exec, vcc
	s_or_b64 s[94:95], vcc, s[94:95]
	s_andn2_b64 vcc, s[30:31], exec
	s_and_b64 s[30:31], s[34:35], exec
	s_or_b64 s[30:31], vcc, s[30:31]
	s_andn2_b64 exec, exec, s[94:95]
	s_cbranch_execz .LBB6_22855
.LBB6_22851:                            ;   Parent Loop BB6_47 Depth=1
                                        ;     Parent Loop BB6_22615 Depth=2
                                        ;       Parent Loop BB6_22794 Depth=3
                                        ; =>      This Inner Loop Header: Depth=4
	s_add_i32 s45, s45, 1
	s_cmpk_lg_i32 s45, 0x2710
	s_cselect_b64 s[36:37], -1, 0
	s_and_b64 vcc, exec, s[36:37]
	s_cbranch_vccz .LBB6_22853
; %bb.22852:                            ;   in Loop: Header=BB6_22851 Depth=4
	s_mov_b64 vcc, -1
	s_or_b64 s[34:35], s[34:35], exec
	s_and_saveexec_b64 s[38:39], s[36:37]
	s_cbranch_execz .LBB6_22850
	s_branch .LBB6_22854
.LBB6_22853:                            ;   in Loop: Header=BB6_22851 Depth=4
	s_trap 2
	ds_read_b64 v[2:3], v0
	s_andn2_b64 s[36:37], s[36:37], exec
	s_mov_b32 s45, 0
	s_waitcnt vmcnt(0) lgkmcnt(0)
	flat_load_dword v2, v[2:3] glc
	s_waitcnt vmcnt(0) lgkmcnt(0)
	buffer_wbinvl1_vol
	v_cmp_eq_u32_e32 vcc, 0, v2
	s_and_b64 vcc, vcc, exec
	s_or_b64 s[36:37], s[36:37], vcc
	s_mov_b64 vcc, -1
	s_or_b64 s[34:35], s[34:35], exec
	s_and_saveexec_b64 s[38:39], s[36:37]
	s_cbranch_execz .LBB6_22850
.LBB6_22854:                            ;   in Loop: Header=BB6_22851 Depth=4
	s_sleep 1
	s_trap 2
	ds_read_b64 v[2:3], v0
	s_waitcnt lgkmcnt(0)
	buffer_load_dword v4, off, s[0:3], s33 offset:76 ; 4-byte Folded Reload
	buffer_load_dword v5, off, s[0:3], s33 offset:80 ; 4-byte Folded Reload
	s_andn2_b64 s[34:35], s[34:35], exec
	s_waitcnt vmcnt(0)
	v_cmp_ge_u64_e32 vcc, v[2:3], v[4:5]
	s_orn2_b64 vcc, vcc, exec
	s_branch .LBB6_22850
.LBB6_22855:                            ;   in Loop: Header=BB6_22794 Depth=3
	s_or_b64 exec, exec, s[94:95]
	s_and_saveexec_b64 s[94:95], s[30:31]
	s_xor_b64 s[94:95], exec, s[94:95]
	s_cbranch_execz .LBB6_22857
; %bb.22856:                            ;   in Loop: Header=BB6_22794 Depth=3
	v_mov_b32_e32 v2, 1
	ds_write_b32 v0, v2
	s_trap 2
.LBB6_22857:                            ;   in Loop: Header=BB6_22794 Depth=3
	s_or_b64 exec, exec, s[92:93]
	;;#ASMSTART
	s_wakeup
	;;#ASMEND
.LBB6_22858:                            ;   in Loop: Header=BB6_22794 Depth=3
	s_or_b64 exec, exec, s[90:91]
.LBB6_22859:                            ;   in Loop: Header=BB6_22794 Depth=3
	s_andn2_saveexec_b64 s[42:43], s[42:43]
	s_cbranch_execz .LBB6_22861
; %bb.22860:                            ;   in Loop: Header=BB6_22794 Depth=3
	;;#ASMSTART
	s_waitcnt lgkmcnt(0) vmcnt(0)
	;;#ASMEND
	s_waitcnt vmcnt(0) lgkmcnt(0)
	s_barrier
.LBB6_22861:                            ;   in Loop: Header=BB6_22794 Depth=3
	s_or_b64 exec, exec, s[42:43]
	buffer_load_dword v2, off, s[0:3], s33 offset:72 ; 4-byte Folded Reload
	s_waitcnt vmcnt(0)
	v_and_b32_e32 v2, 16, v2
.LBB6_22862:                            ;   in Loop: Header=BB6_22794 Depth=3
	s_or_b64 exec, exec, s[26:27]
	v_cmp_ne_u32_e32 vcc, 0, v2
	s_xor_b64 s[26:27], s[20:21], -1
	s_and_b64 s[42:43], vcc, s[26:27]
	s_and_saveexec_b64 s[26:27], s[42:43]
	s_cbranch_execz .LBB6_22864
; %bb.22863:                            ;   in Loop: Header=BB6_22794 Depth=3
	buffer_load_dword v2, off, s[0:3], s33 offset:348 ; 4-byte Folded Reload
	buffer_load_dword v3, off, s[0:3], s33 offset:352 ; 4-byte Folded Reload
	v_mov_b32_e32 v4, 1
	s_waitcnt vmcnt(0)
	flat_store_dword v[2:3], v4
.LBB6_22864:                            ;   in Loop: Header=BB6_22794 Depth=3
	s_or_b64 exec, exec, s[26:27]
	buffer_load_dword v2, off, s[0:3], s33 offset:72 ; 4-byte Folded Reload
	s_waitcnt vmcnt(0)
	v_and_b32_e32 v2, 48, v2
	v_cmp_ne_u32_e32 vcc, 0, v2
	s_and_saveexec_b64 s[26:27], vcc
	s_cbranch_execz .LBB6_22793
; %bb.22865:                            ;   in Loop: Header=BB6_22794 Depth=3
	buffer_load_dword v4, off, s[0:3], s33 offset:84 ; 4-byte Folded Reload
	buffer_load_dword v5, off, s[0:3], s33 offset:88 ; 4-byte Folded Reload
	buffer_load_dword v2, off, s[0:3], s33 offset:64 ; 4-byte Folded Reload
	buffer_load_dword v3, off, s[0:3], s33 offset:68 ; 4-byte Folded Reload
	s_waitcnt vmcnt(0)
	v_add_co_u32_e32 v4, vcc, 2, v4
	v_addc_co_u32_e32 v5, vcc, 0, v5, vcc
	buffer_store_dword v4, off, s[0:3], s33 offset:84 ; 4-byte Folded Spill
	s_nop 0
	buffer_store_dword v5, off, s[0:3], s33 offset:88 ; 4-byte Folded Spill
	flat_store_dwordx2 v[2:3], v[4:5]
	s_branch .LBB6_22793
.LBB6_22866:                            ;   in Loop: Header=BB6_22615 Depth=2
	s_or_b64 exec, exec, s[90:91]
	s_or_b64 exec, exec, s[42:43]
	v_cmp_gt_i32_e32 vcc, 2, v4
	s_and_saveexec_b64 s[28:29], vcc
	s_cbranch_execnz .LBB6_22792
.LBB6_22867:                            ;   in Loop: Header=BB6_22615 Depth=2
	s_or_b64 exec, exec, s[28:29]
	s_add_i32 s26, s9, 1
	s_cmp_eq_u32 s9, s85
	s_cbranch_scc0 .LBB6_22869
	s_branch .LBB6_22870
.LBB6_22868:                            ;   in Loop: Header=BB6_22615 Depth=2
	s_or_b64 exec, exec, s[40:41]
	s_or_b64 exec, exec, s[28:29]
	s_add_i32 s26, s9, 1
	s_cmp_eq_u32 s9, s85
	s_cbranch_scc1 .LBB6_22870
.LBB6_22869:                            ;   in Loop: Header=BB6_22615 Depth=2
	s_mov_b32 s9, s26
	s_branch .LBB6_22615
.LBB6_22870:                            ;   in Loop: Header=BB6_47 Depth=1
	buffer_load_dword v2, off, s[0:3], s33 offset:592 ; 4-byte Folded Reload
	buffer_load_dword v3, off, s[0:3], s33 offset:596 ; 4-byte Folded Reload
	v_mov_b32_e32 v4, 0
	s_waitcnt vmcnt(0)
	v_mul_lo_u32 v1, v2, s84
	v_mul_lo_u32 v0, v3, s83
	v_mad_u64_u32 v[8:9], s[26:27], v2, s83, 0
	v_add3_u32 v9, v9, v1, v0
	buffer_load_dword v0, off, s[0:3], s33 offset:584 ; 4-byte Folded Reload
	buffer_load_dword v1, off, s[0:3], s33 offset:588 ; 4-byte Folded Reload
	s_waitcnt vmcnt(0)
	v_sub_co_u32_e32 v0, vcc, v0, v8
	v_subb_co_u32_e32 v1, vcc, v1, v9, vcc
	v_cmp_lt_i64_e32 vcc, v[2:3], v[0:1]
	v_cndmask_b32_e32 v2, v0, v2, vcc
	v_max_i32_e32 v0, 0, v2
	v_add_u32_e32 v1, 31, v0
	v_lshrrev_b32_e32 v1, 1, v1
	v_and_b32_e32 v1, 0x3ffffff0, v1
	v_cmp_lt_i32_e32 vcc, 0, v2
	v_max_i32_e32 v1, s81, v1
	s_and_b64 s[26:27], s[74:75], vcc
	v_mov_b32_e32 v2, 0
	s_and_saveexec_b64 s[28:29], s[26:27]
	s_cbranch_execz .LBB6_23008
; %bb.22871:                            ;   in Loop: Header=BB6_47 Depth=1
	buffer_load_dword v2, off, s[0:3], s33 offset:412 ; 4-byte Folded Reload
	s_mov_b32 s9, 1
	s_mov_b64 s[42:43], -1
	s_mov_b64 s[40:41], 0
	s_waitcnt vmcnt(0)
	v_add_co_u32_e32 v3, vcc, v8, v2
	buffer_load_dword v2, off, s[0:3], s33 offset:416 ; 4-byte Folded Reload
	s_waitcnt vmcnt(0)
	v_addc_co_u32_e32 v6, vcc, v9, v2, vcc
	v_mov_b32_e32 v2, 0
	s_branch .LBB6_22873
.LBB6_22872:                            ;   in Loop: Header=BB6_22873 Depth=2
	s_or_b64 exec, exec, s[26:27]
	v_add_u32_e32 v2, v1, v2
	v_cmp_ge_i32_e32 vcc, v2, v0
	s_xor_b64 s[26:27], s[42:43], -1
	s_or_b64 s[26:27], s[26:27], vcc
	s_and_b64 s[26:27], exec, s[26:27]
	s_or_b64 s[40:41], s[26:27], s[40:41]
	s_mov_b64 s[42:43], 0
	v_mov_b32_e32 v4, s9
	s_mov_b32 s9, 2
	s_andn2_b64 exec, exec, s[40:41]
	s_cbranch_execz .LBB6_23007
.LBB6_22873:                            ;   Parent Loop BB6_47 Depth=1
                                        ; =>  This Loop Header: Depth=2
                                        ;       Child Loop BB6_22881 Depth 3
                                        ;       Child Loop BB6_22905 Depth 3
                                        ;       Child Loop BB6_22924 Depth 3
                                        ;       Child Loop BB6_22950 Depth 3
                                        ;       Child Loop BB6_22955 Depth 3
                                        ;       Child Loop BB6_22961 Depth 3
                                        ;       Child Loop BB6_22966 Depth 3
                                        ;       Child Loop BB6_22975 Depth 3
                                        ;       Child Loop BB6_22994 Depth 3
	s_and_saveexec_b64 s[26:27], s[4:5]
	s_cbranch_execz .LBB6_22875
; %bb.22874:                            ;   in Loop: Header=BB6_22873 Depth=2
	s_trap 2
	ds_read_b128 v[7:10], v0
	s_waitcnt lgkmcnt(0)
	v_add_co_u32_e32 v4, vcc, v7, v3
	v_addc_co_u32_e32 v5, vcc, v8, v6, vcc
	v_ashrrev_i32_e32 v7, 31, v2
	v_add_co_u32_e32 v4, vcc, v4, v2
	v_addc_co_u32_e32 v5, vcc, v5, v7, vcc
	ds_write_b64 v0, v[4:5]
	v_add_co_u32_e32 v4, vcc, v9, v3
	v_addc_co_u32_e32 v5, vcc, v10, v6, vcc
	v_add_co_u32_e32 v4, vcc, v4, v2
	v_addc_co_u32_e32 v5, vcc, v5, v7, vcc
	v_cmp_ne_u64_e32 vcc, 0, v[9:10]
	v_cndmask_b32_e32 v5, 0, v5, vcc
	v_cndmask_b32_e32 v4, 0, v4, vcc
	ds_write_b64 v0, v[4:5]
.LBB6_22875:                            ;   in Loop: Header=BB6_22873 Depth=2
	s_or_b64 exec, exec, s[26:27]
	buffer_load_dword v4, off, s[0:3], s33 offset:72 ; 4-byte Folded Reload
	s_waitcnt vmcnt(0)
	v_and_b32_e32 v4, 4, v4
	v_cmp_ne_u32_e32 vcc, 0, v4
	s_and_saveexec_b64 s[90:91], vcc
	s_cbranch_execz .LBB6_22897
; %bb.22876:                            ;   in Loop: Header=BB6_22873 Depth=2
	buffer_load_dword v4, off, s[0:3], s33 offset:84 ; 4-byte Folded Reload
	buffer_load_dword v5, off, s[0:3], s33 offset:88 ; 4-byte Folded Reload
	s_waitcnt vmcnt(0)
	v_add_co_u32_e32 v8, vcc, 2, v4
	v_addc_co_u32_e32 v9, vcc, 0, v5, vcc
	buffer_load_dword v4, off, s[0:3], s33 offset:56 ; 4-byte Folded Reload
	buffer_load_dword v5, off, s[0:3], s33 offset:60 ; 4-byte Folded Reload
	s_waitcnt vmcnt(0)
	v_cmp_lt_u64_e32 vcc, v[4:5], v[8:9]
	s_and_saveexec_b64 s[92:93], vcc
	s_cbranch_execz .LBB6_22888
; %bb.22877:                            ;   in Loop: Header=BB6_22873 Depth=2
	buffer_load_dword v4, off, s[0:3], s33 offset:72 ; 4-byte Folded Reload
	s_mov_b32 s45, 0
	s_mov_b64 s[94:95], 0
                                        ; implicit-def: $sgpr30_sgpr31
                                        ; implicit-def: $sgpr34_sgpr35
                                        ; implicit-def: $sgpr36_sgpr37
	s_waitcnt vmcnt(0)
	v_and_b32_e32 v4, 64, v4
	v_cmp_eq_u32_e32 vcc, 0, v4
	s_branch .LBB6_22881
.LBB6_22878:                            ;   in Loop: Header=BB6_22881 Depth=3
	buffer_load_dword v10, off, s[0:3], s33 offset:56 ; 4-byte Folded Reload
	buffer_load_dword v11, off, s[0:3], s33 offset:60 ; 4-byte Folded Reload
	s_or_b64 s[50:51], s[50:51], exec
	s_waitcnt vmcnt(0)
	v_cmp_ge_u64_e64 s[26:27], v[10:11], v[8:9]
	s_orn2_b64 s[48:49], s[26:27], exec
.LBB6_22879:                            ;   in Loop: Header=BB6_22881 Depth=3
	s_or_b64 exec, exec, s[54:55]
	s_andn2_b64 s[26:27], s[36:37], exec
	s_and_b64 s[36:37], s[50:51], exec
	s_or_b64 s[36:37], s[26:27], s[36:37]
	s_andn2_b64 s[26:27], s[34:35], exec
	s_and_b64 s[34:35], s[48:49], exec
	s_or_b64 s[34:35], s[26:27], s[34:35]
.LBB6_22880:                            ;   in Loop: Header=BB6_22881 Depth=3
	s_or_b64 exec, exec, s[38:39]
	s_and_b64 s[26:27], exec, s[34:35]
	s_or_b64 s[94:95], s[26:27], s[94:95]
	s_andn2_b64 s[26:27], s[30:31], exec
	s_and_b64 s[30:31], s[36:37], exec
	s_or_b64 s[30:31], s[26:27], s[30:31]
	s_andn2_b64 exec, exec, s[94:95]
	s_cbranch_execz .LBB6_22885
.LBB6_22881:                            ;   Parent Loop BB6_47 Depth=1
                                        ;     Parent Loop BB6_22873 Depth=2
                                        ; =>    This Inner Loop Header: Depth=3
	s_sleep 1
	buffer_load_dword v4, off, s[0:3], s33 offset:64 ; 4-byte Folded Reload
	buffer_load_dword v5, off, s[0:3], s33 offset:68 ; 4-byte Folded Reload
	s_or_b64 s[36:37], s[36:37], exec
	s_or_b64 s[34:35], s[34:35], exec
	s_waitcnt vmcnt(0)
	flat_load_dwordx2 v[4:5], v[4:5] glc
	s_waitcnt vmcnt(0) lgkmcnt(0)
	buffer_store_dword v4, off, s[0:3], s33 offset:56 ; 4-byte Folded Spill
	s_nop 0
	buffer_store_dword v5, off, s[0:3], s33 offset:60 ; 4-byte Folded Spill
                                        ; implicit-def: $vgpr4
	s_and_saveexec_b64 s[38:39], vcc
	s_cbranch_execz .LBB6_22880
; %bb.22882:                            ;   in Loop: Header=BB6_22881 Depth=3
	s_cmpk_lt_i32 s45, 0x270f
	s_cselect_b64 s[52:53], -1, 0
	s_cmpk_gt_i32 s45, 0x270e
	s_mov_b64 s[48:49], -1
	s_cbranch_scc0 .LBB6_22884
; %bb.22883:                            ;   in Loop: Header=BB6_22881 Depth=3
	s_trap 2
	ds_read_b64 v[4:5], v0
	s_andn2_b64 s[52:53], s[52:53], exec
	s_mov_b32 s45, 0
	s_mov_b64 s[50:51], 0
	s_waitcnt vmcnt(0) lgkmcnt(0)
	flat_load_dword v4, v[4:5] glc
	s_waitcnt vmcnt(0) lgkmcnt(0)
	buffer_wbinvl1_vol
	v_cmp_eq_u32_e64 s[26:27], 0, v4
	s_and_b64 s[26:27], s[26:27], exec
	s_or_b64 s[52:53], s[52:53], s[26:27]
	s_and_saveexec_b64 s[54:55], s[52:53]
	s_cbranch_execz .LBB6_22879
	s_branch .LBB6_22878
.LBB6_22884:                            ;   in Loop: Header=BB6_22881 Depth=3
	s_add_i32 s45, s45, 1
	s_mov_b64 s[50:51], -1
                                        ; implicit-def: $vgpr4
	s_and_saveexec_b64 s[54:55], s[52:53]
	s_cbranch_execz .LBB6_22879
	s_branch .LBB6_22878
.LBB6_22885:                            ;   in Loop: Header=BB6_22873 Depth=2
	s_or_b64 exec, exec, s[94:95]
	s_xor_b64 s[26:27], s[30:31], -1
	s_and_saveexec_b64 s[94:95], s[26:27]
	s_xor_b64 s[26:27], exec, s[94:95]
	s_cbranch_execz .LBB6_22887
; %bb.22886:                            ;   in Loop: Header=BB6_22873 Depth=2
	ds_write_b32 v0, v4
	s_trap 2
	buffer_load_dword v4, off, s[0:3], s33 offset:72 ; 4-byte Folded Reload
	s_waitcnt vmcnt(0)
	v_or_b32_e32 v4, 64, v4
	buffer_store_dword v4, off, s[0:3], s33 offset:72 ; 4-byte Folded Spill
.LBB6_22887:                            ;   in Loop: Header=BB6_22873 Depth=2
	s_or_b64 exec, exec, s[26:27]
.LBB6_22888:                            ;   in Loop: Header=BB6_22873 Depth=2
	s_or_b64 exec, exec, s[92:93]
	;;#ASMSTART
	s_wakeup
	;;#ASMEND
	buffer_load_dword v4, off, s[0:3], s33 offset:72 ; 4-byte Folded Reload
	s_mov_b64 s[26:27], -1
                                        ; implicit-def: $vgpr10_vgpr11
	s_waitcnt vmcnt(0)
	v_and_b32_e32 v4, 0x100, v4
	v_cmp_ne_u32_e32 vcc, 0, v4
	buffer_load_dword v4, off, s[0:3], s33 offset:84 ; 4-byte Folded Reload
	buffer_load_dword v5, off, s[0:3], s33 offset:88 ; 4-byte Folded Reload
	s_waitcnt vmcnt(0)
	v_and_b32_e32 v7, 7, v4
	s_and_saveexec_b64 s[92:93], vcc
	s_cbranch_execz .LBB6_22892
; %bb.22889:                            ;   in Loop: Header=BB6_22873 Depth=2
	buffer_load_dword v10, off, s[0:3], s33 offset:332 ; 4-byte Folded Reload
	buffer_load_dword v11, off, s[0:3], s33 offset:336 ; 4-byte Folded Reload
	;; [unrolled: 1-line block ×4, first 2 shown]
	s_waitcnt vmcnt(0)
	v_mad_u64_u32 v[4:5], s[26:27], v7, 24, v[10:11]
	flat_load_dword v10, v[4:5]
	s_waitcnt vmcnt(0) lgkmcnt(0)
	v_cmp_ne_u32_e32 vcc, 1, v10
	v_cmp_eq_u32_e64 s[26:27], 1, v10
                                        ; implicit-def: $vgpr10_vgpr11
	s_and_saveexec_b64 s[94:95], s[26:27]
	s_cbranch_execz .LBB6_22891
; %bb.22890:                            ;   in Loop: Header=BB6_22873 Depth=2
	flat_load_dword v10, v[4:5] offset:4 glc
	s_waitcnt vmcnt(0) lgkmcnt(0)
	v_ashrrev_i32_e32 v11, 31, v10
.LBB6_22891:                            ;   in Loop: Header=BB6_22873 Depth=2
	s_or_b64 exec, exec, s[94:95]
	s_orn2_b64 s[26:27], vcc, exec
.LBB6_22892:                            ;   in Loop: Header=BB6_22873 Depth=2
	s_or_b64 exec, exec, s[92:93]
	s_and_saveexec_b64 s[92:93], s[26:27]
	s_cbranch_execz .LBB6_22894
; %bb.22893:                            ;   in Loop: Header=BB6_22873 Depth=2
	buffer_load_dword v4, off, s[0:3], s33 offset:368 ; 4-byte Folded Reload
	s_waitcnt vmcnt(0)
	v_mad_i64_i32 v[10:11], s[26:27], v7, v4, 0
.LBB6_22894:                            ;   in Loop: Header=BB6_22873 Depth=2
	s_or_b64 exec, exec, s[92:93]
	buffer_load_dword v4, off, s[0:3], s33 offset:324 ; 4-byte Folded Reload
	buffer_load_dword v5, off, s[0:3], s33 offset:328 ; 4-byte Folded Reload
	s_waitcnt vmcnt(0)
	v_add_co_u32_e32 v4, vcc, v4, v10
	v_addc_co_u32_e32 v5, vcc, v5, v11, vcc
	ds_write_b64 v0, v[4:5] offset:720
	buffer_load_dword v4, off, s[0:3], s33 offset:72 ; 4-byte Folded Reload
	s_waitcnt vmcnt(0)
	v_and_b32_e32 v4, 0x2000, v4
	v_cmp_ne_u32_e32 vcc, 0, v4
	s_and_saveexec_b64 s[26:27], vcc
	s_cbranch_execz .LBB6_22896
; %bb.22895:                            ;   in Loop: Header=BB6_22873 Depth=2
	ds_read_b64 v[4:5], v0 offset:872
	s_waitcnt lgkmcnt(0)
	v_add_co_u32_e32 v4, vcc, 1, v4
	v_addc_co_u32_e32 v5, vcc, 0, v5, vcc
	ds_write_b64 v0, v[4:5] offset:872
.LBB6_22896:                            ;   in Loop: Header=BB6_22873 Depth=2
	s_or_b64 exec, exec, s[26:27]
	buffer_store_dword v8, off, s[0:3], s33 offset:84 ; 4-byte Folded Spill
	s_nop 0
	buffer_store_dword v9, off, s[0:3], s33 offset:88 ; 4-byte Folded Spill
.LBB6_22897:                            ;   in Loop: Header=BB6_22873 Depth=2
	s_or_b64 exec, exec, s[90:91]
	s_and_saveexec_b64 s[26:27], s[12:13]
	s_cbranch_execz .LBB6_22916
; %bb.22898:                            ;   in Loop: Header=BB6_22873 Depth=2
	s_and_saveexec_b64 s[90:91], s[58:59]
	s_xor_b64 s[90:91], exec, s[90:91]
	s_cbranch_execz .LBB6_22913
; %bb.22899:                            ;   in Loop: Header=BB6_22873 Depth=2
	s_and_saveexec_b64 s[92:93], s[6:7]
	s_cbranch_execz .LBB6_22912
; %bb.22900:                            ;   in Loop: Header=BB6_22873 Depth=2
	s_mov_b64 s[30:31], exec
	v_mbcnt_lo_u32_b32 v4, s30, 0
	v_mbcnt_hi_u32_b32 v4, s31, v4
	v_cmp_eq_u32_e32 vcc, 0, v4
	s_waitcnt vmcnt(0) lgkmcnt(0)
	buffer_wbinvl1_vol
	s_and_saveexec_b64 s[94:95], vcc
	s_cbranch_execz .LBB6_22902
; %bb.22901:                            ;   in Loop: Header=BB6_22873 Depth=2
	s_bcnt1_i32_b64 s45, s[30:31]
	v_mov_b32_e32 v4, s45
	v_mov_b32_e32 v5, v51
	ds_add_u64 v0, v[4:5]
	s_trap 2
.LBB6_22902:                            ;   in Loop: Header=BB6_22873 Depth=2
	s_or_b64 exec, exec, s[94:95]
	s_trap 2
	ds_read_b64 v[4:5], v0
	s_waitcnt lgkmcnt(0)
	buffer_load_dword v7, off, s[0:3], s33 offset:76 ; 4-byte Folded Reload
	buffer_load_dword v8, off, s[0:3], s33 offset:80 ; 4-byte Folded Reload
	buffer_load_dword v9, off, s[0:3], s33 offset:92 ; 4-byte Folded Reload
	s_waitcnt vmcnt(0)
	v_add_co_u32_e32 v7, vcc, v7, v9
	v_addc_co_u32_e32 v8, vcc, 0, v8, vcc
	buffer_store_dword v7, off, s[0:3], s33 offset:76 ; 4-byte Folded Spill
	s_nop 0
	buffer_store_dword v8, off, s[0:3], s33 offset:80 ; 4-byte Folded Spill
	v_cmp_lt_u64_e32 vcc, v[4:5], v[7:8]
	s_and_saveexec_b64 s[94:95], vcc
	s_cbranch_execz .LBB6_22911
; %bb.22903:                            ;   in Loop: Header=BB6_22873 Depth=2
	s_mov_b32 s45, 0
	s_mov_b64 s[30:31], 0
                                        ; implicit-def: $sgpr34_sgpr35
                                        ; implicit-def: $sgpr36_sgpr37
	s_branch .LBB6_22905
.LBB6_22904:                            ;   in Loop: Header=BB6_22905 Depth=3
	s_or_b64 exec, exec, s[48:49]
	s_and_b64 vcc, exec, vcc
	s_or_b64 s[30:31], vcc, s[30:31]
	s_andn2_b64 vcc, s[34:35], exec
	s_and_b64 s[34:35], s[36:37], exec
	s_or_b64 s[34:35], vcc, s[34:35]
	s_andn2_b64 exec, exec, s[30:31]
	s_cbranch_execz .LBB6_22909
.LBB6_22905:                            ;   Parent Loop BB6_47 Depth=1
                                        ;     Parent Loop BB6_22873 Depth=2
                                        ; =>    This Inner Loop Header: Depth=3
	s_add_i32 s45, s45, 1
	s_cmpk_lg_i32 s45, 0x2710
	s_cselect_b64 s[38:39], -1, 0
	s_and_b64 vcc, exec, s[38:39]
	s_cbranch_vccz .LBB6_22907
; %bb.22906:                            ;   in Loop: Header=BB6_22905 Depth=3
	s_mov_b64 vcc, -1
	s_or_b64 s[36:37], s[36:37], exec
	s_and_saveexec_b64 s[48:49], s[38:39]
	s_cbranch_execz .LBB6_22904
	s_branch .LBB6_22908
.LBB6_22907:                            ;   in Loop: Header=BB6_22905 Depth=3
	s_trap 2
	ds_read_b64 v[4:5], v0
	s_andn2_b64 s[38:39], s[38:39], exec
	s_mov_b32 s45, 0
	s_waitcnt vmcnt(0) lgkmcnt(0)
	flat_load_dword v4, v[4:5] glc
	s_waitcnt vmcnt(0) lgkmcnt(0)
	buffer_wbinvl1_vol
	v_cmp_eq_u32_e32 vcc, 0, v4
	s_and_b64 vcc, vcc, exec
	s_or_b64 s[38:39], s[38:39], vcc
	s_mov_b64 vcc, -1
	s_or_b64 s[36:37], s[36:37], exec
	s_and_saveexec_b64 s[48:49], s[38:39]
	s_cbranch_execz .LBB6_22904
.LBB6_22908:                            ;   in Loop: Header=BB6_22905 Depth=3
	s_sleep 1
	s_trap 2
	ds_read_b64 v[4:5], v0
	s_waitcnt lgkmcnt(0)
	buffer_load_dword v7, off, s[0:3], s33 offset:76 ; 4-byte Folded Reload
	buffer_load_dword v8, off, s[0:3], s33 offset:80 ; 4-byte Folded Reload
	s_andn2_b64 s[36:37], s[36:37], exec
	s_waitcnt vmcnt(0)
	v_cmp_ge_u64_e32 vcc, v[4:5], v[7:8]
	s_orn2_b64 vcc, vcc, exec
	s_branch .LBB6_22904
.LBB6_22909:                            ;   in Loop: Header=BB6_22873 Depth=2
	s_or_b64 exec, exec, s[30:31]
	s_and_saveexec_b64 vcc, s[34:35]
	s_xor_b64 vcc, exec, vcc
	s_cbranch_execz .LBB6_22911
; %bb.22910:                            ;   in Loop: Header=BB6_22873 Depth=2
	v_mov_b32_e32 v4, 1
	ds_write_b32 v0, v4
	s_trap 2
.LBB6_22911:                            ;   in Loop: Header=BB6_22873 Depth=2
	s_or_b64 exec, exec, s[94:95]
	;;#ASMSTART
	s_wakeup
	;;#ASMEND
.LBB6_22912:                            ;   in Loop: Header=BB6_22873 Depth=2
	s_or_b64 exec, exec, s[92:93]
.LBB6_22913:                            ;   in Loop: Header=BB6_22873 Depth=2
	s_andn2_saveexec_b64 s[90:91], s[90:91]
	s_cbranch_execz .LBB6_22915
; %bb.22914:                            ;   in Loop: Header=BB6_22873 Depth=2
	s_waitcnt vmcnt(0) lgkmcnt(0)
	buffer_wbinvl1_vol
	s_barrier
.LBB6_22915:                            ;   in Loop: Header=BB6_22873 Depth=2
	s_or_b64 exec, exec, s[90:91]
.LBB6_22916:                            ;   in Loop: Header=BB6_22873 Depth=2
	s_or_b64 exec, exec, s[26:27]
	s_trap 2
	buffer_load_dword v5, off, s[0:3], s33 offset:72 ; 4-byte Folded Reload
	ds_read_b32 v4, v0
	s_xor_b64 s[26:27], s[10:11], -1
	s_waitcnt vmcnt(0)
	v_and_b32_e32 v5, 0x4000, v5
	v_cmp_ne_u32_e32 vcc, 0, v5
	s_and_b64 s[90:91], s[26:27], vcc
	s_and_saveexec_b64 s[26:27], s[90:91]
	s_cbranch_execz .LBB6_22935
; %bb.22917:                            ;   in Loop: Header=BB6_22873 Depth=2
	s_and_saveexec_b64 s[90:91], s[58:59]
	s_xor_b64 s[90:91], exec, s[90:91]
	s_cbranch_execz .LBB6_22932
; %bb.22918:                            ;   in Loop: Header=BB6_22873 Depth=2
	s_and_saveexec_b64 s[92:93], s[6:7]
	s_cbranch_execz .LBB6_22931
; %bb.22919:                            ;   in Loop: Header=BB6_22873 Depth=2
	s_mov_b64 s[30:31], exec
	v_mbcnt_lo_u32_b32 v5, s30, 0
	v_mbcnt_hi_u32_b32 v5, s31, v5
	v_cmp_eq_u32_e32 vcc, 0, v5
	s_waitcnt lgkmcnt(0)
	buffer_wbinvl1_vol
	s_and_saveexec_b64 s[94:95], vcc
	s_cbranch_execz .LBB6_22921
; %bb.22920:                            ;   in Loop: Header=BB6_22873 Depth=2
	s_bcnt1_i32_b64 s45, s[30:31]
	v_mov_b32_e32 v7, s45
	v_mov_b32_e32 v8, v51
	ds_add_u64 v0, v[7:8]
	s_trap 2
.LBB6_22921:                            ;   in Loop: Header=BB6_22873 Depth=2
	s_or_b64 exec, exec, s[94:95]
	s_trap 2
	ds_read_b64 v[7:8], v0
	s_waitcnt lgkmcnt(0)
	buffer_load_dword v9, off, s[0:3], s33 offset:76 ; 4-byte Folded Reload
	buffer_load_dword v10, off, s[0:3], s33 offset:80 ; 4-byte Folded Reload
	buffer_load_dword v5, off, s[0:3], s33 offset:92 ; 4-byte Folded Reload
	s_waitcnt vmcnt(0)
	v_add_co_u32_e32 v9, vcc, v9, v5
	v_addc_co_u32_e32 v10, vcc, 0, v10, vcc
	buffer_store_dword v9, off, s[0:3], s33 offset:76 ; 4-byte Folded Spill
	s_nop 0
	buffer_store_dword v10, off, s[0:3], s33 offset:80 ; 4-byte Folded Spill
	v_cmp_lt_u64_e32 vcc, v[7:8], v[9:10]
	s_and_saveexec_b64 s[94:95], vcc
	s_cbranch_execz .LBB6_22930
; %bb.22922:                            ;   in Loop: Header=BB6_22873 Depth=2
	s_mov_b32 s45, 0
	s_mov_b64 s[30:31], 0
                                        ; implicit-def: $sgpr34_sgpr35
                                        ; implicit-def: $sgpr36_sgpr37
	s_branch .LBB6_22924
.LBB6_22923:                            ;   in Loop: Header=BB6_22924 Depth=3
	s_or_b64 exec, exec, s[48:49]
	s_and_b64 vcc, exec, vcc
	s_or_b64 s[30:31], vcc, s[30:31]
	s_andn2_b64 vcc, s[34:35], exec
	s_and_b64 s[34:35], s[36:37], exec
	s_or_b64 s[34:35], vcc, s[34:35]
	s_andn2_b64 exec, exec, s[30:31]
	s_cbranch_execz .LBB6_22928
.LBB6_22924:                            ;   Parent Loop BB6_47 Depth=1
                                        ;     Parent Loop BB6_22873 Depth=2
                                        ; =>    This Inner Loop Header: Depth=3
	s_add_i32 s45, s45, 1
	s_cmpk_lg_i32 s45, 0x2710
	s_cselect_b64 s[38:39], -1, 0
	s_and_b64 vcc, exec, s[38:39]
	s_cbranch_vccz .LBB6_22926
; %bb.22925:                            ;   in Loop: Header=BB6_22924 Depth=3
	s_mov_b64 vcc, -1
	s_or_b64 s[36:37], s[36:37], exec
	s_and_saveexec_b64 s[48:49], s[38:39]
	s_cbranch_execz .LBB6_22923
	s_branch .LBB6_22927
.LBB6_22926:                            ;   in Loop: Header=BB6_22924 Depth=3
	s_trap 2
	ds_read_b64 v[7:8], v0
	s_andn2_b64 s[38:39], s[38:39], exec
	s_mov_b32 s45, 0
	s_waitcnt vmcnt(0) lgkmcnt(0)
	flat_load_dword v5, v[7:8] glc
	s_waitcnt vmcnt(0) lgkmcnt(0)
	buffer_wbinvl1_vol
	v_cmp_eq_u32_e32 vcc, 0, v5
	s_and_b64 vcc, vcc, exec
	s_or_b64 s[38:39], s[38:39], vcc
	s_mov_b64 vcc, -1
	s_or_b64 s[36:37], s[36:37], exec
	s_and_saveexec_b64 s[48:49], s[38:39]
	s_cbranch_execz .LBB6_22923
.LBB6_22927:                            ;   in Loop: Header=BB6_22924 Depth=3
	s_sleep 1
	s_trap 2
	ds_read_b64 v[7:8], v0
	s_waitcnt lgkmcnt(0)
	buffer_load_dword v9, off, s[0:3], s33 offset:76 ; 4-byte Folded Reload
	buffer_load_dword v10, off, s[0:3], s33 offset:80 ; 4-byte Folded Reload
	s_andn2_b64 s[36:37], s[36:37], exec
	s_waitcnt vmcnt(0)
	v_cmp_ge_u64_e32 vcc, v[7:8], v[9:10]
	s_orn2_b64 vcc, vcc, exec
	s_branch .LBB6_22923
.LBB6_22928:                            ;   in Loop: Header=BB6_22873 Depth=2
	s_or_b64 exec, exec, s[30:31]
	s_and_saveexec_b64 vcc, s[34:35]
	s_xor_b64 vcc, exec, vcc
	s_cbranch_execz .LBB6_22930
; %bb.22929:                            ;   in Loop: Header=BB6_22873 Depth=2
	v_mov_b32_e32 v5, 1
	ds_write_b32 v0, v5
	s_trap 2
.LBB6_22930:                            ;   in Loop: Header=BB6_22873 Depth=2
	s_or_b64 exec, exec, s[94:95]
	;;#ASMSTART
	s_wakeup
	;;#ASMEND
.LBB6_22931:                            ;   in Loop: Header=BB6_22873 Depth=2
	s_or_b64 exec, exec, s[92:93]
.LBB6_22932:                            ;   in Loop: Header=BB6_22873 Depth=2
	s_andn2_saveexec_b64 s[90:91], s[90:91]
	s_cbranch_execz .LBB6_22934
; %bb.22933:                            ;   in Loop: Header=BB6_22873 Depth=2
	s_waitcnt vmcnt(0) lgkmcnt(0)
	buffer_wbinvl1_vol
	s_barrier
.LBB6_22934:                            ;   in Loop: Header=BB6_22873 Depth=2
	s_or_b64 exec, exec, s[90:91]
.LBB6_22935:                            ;   in Loop: Header=BB6_22873 Depth=2
	s_or_b64 exec, exec, s[26:27]
	s_trap 2
	ds_read_b64 v[8:9], v0
	v_sub_u32_e32 v5, v0, v2
	v_min_i32_e32 v1, v1, v5
	s_waitcnt lgkmcnt(0)
	v_cmp_eq_u64_e32 vcc, 0, v[8:9]
	s_cbranch_vccnz .LBB6_22943
; %bb.22936:                            ;   in Loop: Header=BB6_22873 Depth=2
	s_trap 2
	ds_read_b64 v[10:11], v0
	s_waitcnt lgkmcnt(0)
	v_cmp_eq_u64_e32 vcc, 0, v[10:11]
	s_cbranch_vccnz .LBB6_22943
; %bb.22937:                            ;   in Loop: Header=BB6_22873 Depth=2
	s_mov_b64 s[26:27], -1
	s_and_saveexec_b64 s[90:91], s[16:17]
	s_cbranch_execz .LBB6_22939
; %bb.22938:                            ;   in Loop: Header=BB6_22873 Depth=2
	ds_read_b32 v5, v0 offset:720
	s_waitcnt lgkmcnt(0)
	v_and_b32_e32 v5, 15, v5
	v_cmp_eq_u32_e32 vcc, 0, v5
	s_orn2_b64 s[26:27], vcc, exec
.LBB6_22939:                            ;   in Loop: Header=BB6_22873 Depth=2
	s_or_b64 exec, exec, s[90:91]
	s_and_saveexec_b64 s[90:91], s[14:15]
	s_cbranch_execz .LBB6_22941
; %bb.22940:                            ;   in Loop: Header=BB6_22873 Depth=2
	ds_read_b32 v5, v0 offset:784
	s_waitcnt lgkmcnt(0)
	v_and_b32_e32 v5, 15, v5
	v_cmp_eq_u32_e32 vcc, 0, v5
	s_and_b64 s[92:93], s[26:27], vcc
	s_andn2_b64 s[26:27], s[26:27], exec
	s_and_b64 s[92:93], s[92:93], exec
	s_or_b64 s[26:27], s[26:27], s[92:93]
.LBB6_22941:                            ;   in Loop: Header=BB6_22873 Depth=2
	s_or_b64 exec, exec, s[90:91]
	buffer_load_dword v12, off, s[0:3], s33 offset:392 ; 4-byte Folded Reload
	v_cmp_eq_u32_e32 vcc, 0, v4
	s_xor_b64 s[26:27], s[26:27], -1
	v_cndmask_b32_e32 v4, 0, v1, vcc
	v_cndmask_b32_e64 v5, 0, 1, s[26:27]
	s_mov_b64 s[92:93], -1
	v_cmp_ne_u32_e32 vcc, 0, v5
	v_mov_b32_e32 v5, 0
	v_mov_b32_e32 v7, v4
	s_cbranch_vccz .LBB6_22948
; %bb.22942:                            ;   in Loop: Header=BB6_22873 Depth=2
	s_and_saveexec_b64 s[26:27], s[92:93]
	s_cbranch_execnz .LBB6_22959
	s_branch .LBB6_22967
.LBB6_22943:                            ;   in Loop: Header=BB6_22873 Depth=2
	s_mov_b64 s[26:27], 0
	s_and_saveexec_b64 s[90:91], s[12:13]
	s_cbranch_execnz .LBB6_22968
.LBB6_22944:                            ;   in Loop: Header=BB6_22873 Depth=2
	s_or_b64 exec, exec, s[90:91]
	s_and_saveexec_b64 s[90:91], s[18:19]
	s_xor_b64 s[90:91], exec, s[90:91]
	s_cbranch_execz .LBB6_22986
.LBB6_22945:                            ;   in Loop: Header=BB6_22873 Depth=2
	buffer_load_dword v4, off, s[0:3], s33 offset:72 ; 4-byte Folded Reload
	s_waitcnt vmcnt(0)
	v_and_b32_e32 v4, 16, v4
	v_cmp_ne_u32_e32 vcc, 0, v4
	s_and_b64 s[92:93], vcc, s[26:27]
	s_and_saveexec_b64 s[26:27], s[92:93]
	s_cbranch_execz .LBB6_22947
; %bb.22946:                            ;   in Loop: Header=BB6_22873 Depth=2
	s_waitcnt lgkmcnt(0)
	buffer_wbinvl1_vol
.LBB6_22947:                            ;   in Loop: Header=BB6_22873 Depth=2
	s_or_b64 exec, exec, s[26:27]
	s_andn2_saveexec_b64 s[26:27], s[90:91]
	s_cbranch_execz .LBB6_23005
	s_branch .LBB6_22987
.LBB6_22948:                            ;   in Loop: Header=BB6_22873 Depth=2
	buffer_load_dword v7, off, s[0:3], s33 offset:428 ; 4-byte Folded Reload
	v_ashrrev_i32_e32 v5, 31, v4
	v_lshrrev_b32_e32 v5, 19, v5
	v_add_u32_e32 v5, v4, v5
	v_ashrrev_i32_e32 v5, 13, v5
	s_waitcnt vmcnt(0)
	v_sub_u32_e32 v16, v5, v7
	v_cmp_lt_i32_e32 vcc, 0, v16
	s_and_saveexec_b64 s[90:91], vcc
	s_cbranch_execz .LBB6_22952
; %bb.22949:                            ;   in Loop: Header=BB6_22873 Depth=2
	buffer_load_dword v7, off, s[0:3], s33 offset:92 ; 4-byte Folded Reload
	buffer_load_dword v50, off, s[0:3], s33 offset:576 ; 4-byte Folded Reload
	;; [unrolled: 1-line block ×3, first 2 shown]
	v_mov_b32_e32 v13, v11
	v_mov_b32_e32 v15, v9
	s_mov_b64 s[92:93], 0
	v_mov_b32_e32 v12, v10
	v_mov_b32_e32 v14, v8
.LBB6_22950:                            ;   Parent Loop BB6_47 Depth=1
                                        ;     Parent Loop BB6_22873 Depth=2
                                        ; =>    This Inner Loop Header: Depth=3
	s_waitcnt vmcnt(0)
	v_add_co_u32_e32 v33, vcc, v47, v14
	v_addc_co_u32_e32 v34, vcc, 0, v15, vcc
	v_add_co_u32_e32 v48, vcc, s46, v33
	v_addc_co_u32_e32 v49, vcc, 0, v34, vcc
	global_load_dwordx4 v[17:20], v[33:34], off glc slc
	global_load_dwordx4 v[21:24], v[33:34], off offset:1024 glc slc
	global_load_dwordx4 v[25:28], v[33:34], off offset:2048 glc slc
	global_load_dwordx4 v[29:32], v[33:34], off offset:3072 glc slc
	s_nop 0
	global_load_dwordx4 v[33:36], v[48:49], off glc slc
	global_load_dwordx4 v[52:55], v[48:49], off offset:1024 glc slc
	global_load_dwordx4 v[37:40], v[48:49], off offset:2048 glc slc
	;; [unrolled: 1-line block ×3, first 2 shown]
	v_add_co_u32_e32 v48, vcc, v47, v12
	v_addc_co_u32_e32 v49, vcc, 0, v13, vcc
	v_add_co_u32_e32 v14, vcc, v14, v50
	v_addc_co_u32_e32 v15, vcc, 0, v15, vcc
	v_sub_u32_e32 v16, v16, v7
	v_add_co_u32_e32 v12, vcc, v12, v50
	v_addc_co_u32_e32 v13, vcc, 0, v13, vcc
	v_cmp_gt_i32_e64 s[26:27], 1, v16
	v_add_co_u32_e32 v45, vcc, s46, v48
	s_or_b64 s[92:93], s[26:27], s[92:93]
	v_addc_co_u32_e32 v46, vcc, 0, v49, vcc
	s_waitcnt vmcnt(7)
	global_store_dwordx4 v[48:49], v[17:20], off glc slc
	s_waitcnt vmcnt(7)
	global_store_dwordx4 v[48:49], v[21:24], off offset:1024 glc slc
	s_waitcnt vmcnt(7)
	global_store_dwordx4 v[48:49], v[25:28], off offset:2048 glc slc
	;; [unrolled: 2-line block ×3, first 2 shown]
	s_waitcnt vmcnt(7)
	global_store_dwordx4 v[45:46], v[33:36], off glc slc
	s_waitcnt vmcnt(7)
	global_store_dwordx4 v[45:46], v[52:55], off offset:1024 glc slc
	s_waitcnt vmcnt(7)
	global_store_dwordx4 v[45:46], v[37:40], off offset:2048 glc slc
	;; [unrolled: 2-line block ×3, first 2 shown]
	s_andn2_b64 exec, exec, s[92:93]
	s_cbranch_execnz .LBB6_22950
; %bb.22951:                            ;   in Loop: Header=BB6_22873 Depth=2
	s_or_b64 exec, exec, s[92:93]
.LBB6_22952:                            ;   in Loop: Header=BB6_22873 Depth=2
	s_or_b64 exec, exec, s[90:91]
	v_lshlrev_b32_e32 v13, 13, v5
	v_cmp_ne_u32_e32 vcc, v4, v13
	s_mov_b64 s[92:93], 0
	v_mov_b32_e32 v5, 0
                                        ; implicit-def: $vgpr7
                                        ; implicit-def: $vgpr12
	s_and_saveexec_b64 s[90:91], vcc
	s_cbranch_execz .LBB6_22958
; %bb.22953:                            ;   in Loop: Header=BB6_22873 Depth=2
	buffer_load_dword v12, off, s[0:3], s33 offset:580 ; 4-byte Folded Reload
	v_lshlrev_b32_e32 v5, 6, v16
	v_sub_u32_e32 v7, v4, v13
	s_waitcnt vmcnt(0)
	v_sub_u32_e32 v5, v12, v5
	v_ashrrev_i32_e32 v12, 31, v5
	v_lshrrev_b32_e32 v12, 26, v12
	v_add_u32_e32 v12, v5, v12
	v_ashrrev_i32_e32 v14, 6, v12
	v_and_b32_e32 v12, 0xffffffc0, v12
	v_sub_u32_e32 v12, v5, v12
	v_lshlrev_b32_e32 v5, 4, v12
	v_lshl_add_u32 v16, v14, 10, v5
	v_ashrrev_i32_e32 v5, 31, v7
	v_lshrrev_b32_e32 v5, 22, v5
	v_add_u32_e32 v5, v7, v5
	v_ashrrev_i32_e32 v17, 10, v5
	v_and_b32_e32 v5, 0xfffffc00, v5
	v_sub_u32_e32 v15, v7, v16
	v_sub_u32_e32 v7, v7, v5
	v_cmp_lt_i32_e32 vcc, 15, v7
	v_addc_co_u32_e64 v17, s[26:27], 0, v17, vcc
	v_sub_u32_e32 v14, v17, v14
	v_cmp_lt_i32_e64 s[26:27], 15, v15
	s_and_saveexec_b64 s[92:93], s[26:27]
	s_cbranch_execz .LBB6_22957
; %bb.22954:                            ;   in Loop: Header=BB6_22873 Depth=2
	buffer_load_dword v24, off, s[0:3], s33 offset:92 ; 4-byte Folded Reload
	buffer_load_dword v25, off, s[0:3], s33 offset:356 ; 4-byte Folded Reload
	v_add_u32_e32 v16, v16, v13
	v_ashrrev_i32_e32 v17, 31, v16
	s_mov_b64 s[94:95], 0
.LBB6_22955:                            ;   Parent Loop BB6_47 Depth=1
                                        ;     Parent Loop BB6_22873 Depth=2
                                        ; =>    This Inner Loop Header: Depth=3
	v_add_co_u32_e64 v18, s[26:27], v8, v16
	v_addc_co_u32_e64 v19, s[26:27], v9, v17, s[26:27]
	global_load_dwordx4 v[18:21], v[18:19], off glc slc
	v_add_co_u32_e64 v22, s[26:27], v10, v16
	v_addc_co_u32_e64 v23, s[26:27], v11, v17, s[26:27]
	s_waitcnt vmcnt(1)
	v_add_co_u32_e64 v16, s[26:27], v16, v25
	v_sub_u32_e32 v15, v15, v25
	v_addc_co_u32_e64 v17, s[26:27], 0, v17, s[26:27]
	v_cmp_gt_i32_e64 s[26:27], 16, v15
	v_sub_u32_e32 v14, v14, v24
	s_or_b64 s[94:95], s[26:27], s[94:95]
	s_waitcnt vmcnt(0)
	global_store_dwordx4 v[22:23], v[18:21], off glc slc
	s_andn2_b64 exec, exec, s[94:95]
	s_cbranch_execnz .LBB6_22955
; %bb.22956:                            ;   in Loop: Header=BB6_22873 Depth=2
	s_or_b64 exec, exec, s[94:95]
.LBB6_22957:                            ;   in Loop: Header=BB6_22873 Depth=2
	s_or_b64 exec, exec, s[92:93]
	v_and_b32_e32 v15, 15, v4
	v_sub_u32_e32 v16, v7, v15
	v_cndmask_b32_e32 v16, 0, v16, vcc
	v_add3_u32 v5, v5, v13, v16
	buffer_load_dword v13, off, s[0:3], s33 offset:92 ; 4-byte Folded Reload
	v_cndmask_b32_e32 v7, v7, v15, vcc
	v_cmp_lt_i32_e32 vcc, 0, v14
	s_waitcnt vmcnt(0)
	v_cndmask_b32_e32 v13, 0, v13, vcc
	v_sub_u32_e32 v13, v13, v14
	v_cmp_ne_u32_e32 vcc, 0, v7
	v_lshl_add_u32 v12, v13, 6, v12
	s_and_b64 s[92:93], vcc, exec
.LBB6_22958:                            ;   in Loop: Header=BB6_22873 Depth=2
	s_or_b64 exec, exec, s[90:91]
	s_and_saveexec_b64 s[26:27], s[92:93]
	s_cbranch_execz .LBB6_22967
.LBB6_22959:                            ;   in Loop: Header=BB6_22873 Depth=2
	s_waitcnt vmcnt(0)
	v_ashrrev_i32_e32 v13, 31, v12
	v_ashrrev_i32_e32 v14, 31, v7
	v_lshrrev_b32_e32 v13, 26, v13
	v_lshrrev_b32_e32 v14, 21, v14
	v_add_u32_e32 v16, v12, v13
	v_add_u32_e32 v14, v7, v14
	v_ashrrev_i32_e32 v13, 6, v16
	v_ashrrev_i32_e32 v15, 11, v14
	v_sub_u32_e32 v14, v15, v13
	v_cmp_lt_i32_e32 vcc, 0, v14
	s_and_saveexec_b64 s[90:91], vcc
	s_cbranch_execz .LBB6_22963
; %bb.22960:                            ;   in Loop: Header=BB6_22873 Depth=2
	buffer_load_dword v45, off, s[0:3], s33 offset:92 ; 4-byte Folded Reload
	buffer_load_dword v46, off, s[0:3], s33 offset:304 ; 4-byte Folded Reload
	v_and_b32_e32 v16, 0xffffffc0, v16
	v_sub_u32_e32 v16, v12, v16
	v_lshlrev_b32_e32 v17, 11, v13
	v_add3_u32 v16, v5, v16, v17
	v_ashrrev_i32_e32 v17, 31, v16
	s_mov_b64 s[92:93], 0
.LBB6_22961:                            ;   Parent Loop BB6_47 Depth=1
                                        ;     Parent Loop BB6_22873 Depth=2
                                        ; =>    This Inner Loop Header: Depth=3
	v_add_co_u32_e32 v18, vcc, v16, v8
	v_addc_co_u32_e32 v19, vcc, v17, v9, vcc
	flat_load_ubyte v20, v[18:19] glc slc
	flat_load_ubyte v21, v[18:19] offset:64 glc slc
	flat_load_ubyte v22, v[18:19] offset:128 glc slc
	;; [unrolled: 1-line block ×31, first 2 shown]
	v_add_co_u32_e32 v18, vcc, v16, v10
	v_addc_co_u32_e32 v19, vcc, v17, v11, vcc
	s_waitcnt vmcnt(0)
	v_add_co_u32_e32 v8, vcc, v8, v46
	v_addc_co_u32_e32 v9, vcc, 0, v9, vcc
	v_add_co_u32_e32 v10, vcc, v10, v46
	v_sub_u32_e32 v14, v14, v45
	v_addc_co_u32_e32 v11, vcc, 0, v11, vcc
	v_cmp_gt_i32_e32 vcc, 1, v14
	s_or_b64 s[92:93], vcc, s[92:93]
	s_waitcnt lgkmcnt(0)
	flat_store_byte v[18:19], v20 glc slc
	flat_store_byte v[18:19], v21 offset:64 glc slc
	flat_store_byte v[18:19], v22 offset:128 glc slc
	;; [unrolled: 1-line block ×31, first 2 shown]
	s_andn2_b64 exec, exec, s[92:93]
	s_cbranch_execnz .LBB6_22961
; %bb.22962:                            ;   in Loop: Header=BB6_22873 Depth=2
	s_or_b64 exec, exec, s[92:93]
.LBB6_22963:                            ;   in Loop: Header=BB6_22873 Depth=2
	s_or_b64 exec, exec, s[90:91]
	v_lshlrev_b32_e32 v8, 11, v15
	buffer_load_dword v15, off, s[0:3], s33 offset:316 ; 4-byte Folded Reload
	v_cmp_ne_u32_e32 vcc, v7, v8
	s_and_b64 s[90:91], exec, vcc
	s_mov_b64 exec, s[90:91]
	s_cbranch_execz .LBB6_22967
; %bb.22964:                            ;   in Loop: Header=BB6_22873 Depth=2
	v_lshlrev_b32_e32 v9, 6, v13
	v_sub_u32_e32 v9, v12, v9
	v_lshlrev_b32_e32 v10, 6, v14
	v_sub_u32_e32 v9, v9, v10
	v_add_u32_e32 v8, v8, v9
	v_sub_u32_e32 v7, v7, v8
	v_cmp_lt_i32_e32 vcc, 0, v7
	s_and_b64 exec, exec, vcc
	s_cbranch_execz .LBB6_22967
; %bb.22965:                            ;   in Loop: Header=BB6_22873 Depth=2
	v_add_u32_e32 v5, v8, v5
	s_trap 2
	ds_read_b64 v[8:9], v0
	v_ashrrev_i32_e32 v10, 31, v5
	s_mov_b64 s[90:91], 0
.LBB6_22966:                            ;   Parent Loop BB6_47 Depth=1
                                        ;     Parent Loop BB6_22873 Depth=2
                                        ; =>    This Inner Loop Header: Depth=3
	s_waitcnt lgkmcnt(0)
	v_add_co_u32_e32 v11, vcc, v8, v5
	v_addc_co_u32_e32 v12, vcc, v9, v10, vcc
	flat_load_ubyte v13, v[11:12] glc slc
	s_waitcnt vmcnt(0)
	v_add_co_u32_e32 v5, vcc, v5, v15
	v_sub_u32_e32 v7, v7, v15
	v_addc_co_u32_e32 v10, vcc, 0, v10, vcc
	v_cmp_gt_i32_e32 vcc, 1, v7
	s_or_b64 s[90:91], vcc, s[90:91]
	s_waitcnt lgkmcnt(0)
	flat_store_byte v[11:12], v13 glc slc
	s_andn2_b64 exec, exec, s[90:91]
	s_cbranch_execnz .LBB6_22966
.LBB6_22967:                            ;   in Loop: Header=BB6_22873 Depth=2
	s_or_b64 exec, exec, s[26:27]
	v_cmp_lt_i32_e64 s[26:27], 0, v4
	s_and_saveexec_b64 s[90:91], s[12:13]
	s_cbranch_execz .LBB6_22944
.LBB6_22968:                            ;   in Loop: Header=BB6_22873 Depth=2
	s_and_saveexec_b64 s[92:93], s[58:59]
	s_xor_b64 s[92:93], exec, s[92:93]
	s_cbranch_execz .LBB6_22983
; %bb.22969:                            ;   in Loop: Header=BB6_22873 Depth=2
	s_and_saveexec_b64 s[94:95], s[6:7]
	s_cbranch_execz .LBB6_22982
; %bb.22970:                            ;   in Loop: Header=BB6_22873 Depth=2
	s_mov_b64 s[34:35], exec
	v_mbcnt_lo_u32_b32 v4, s34, 0
	v_mbcnt_hi_u32_b32 v4, s35, v4
	v_cmp_eq_u32_e32 vcc, 0, v4
	s_waitcnt vmcnt(0) lgkmcnt(0)
	buffer_wbinvl1_vol
	s_and_saveexec_b64 s[30:31], vcc
	s_cbranch_execz .LBB6_22972
; %bb.22971:                            ;   in Loop: Header=BB6_22873 Depth=2
	s_bcnt1_i32_b64 s45, s[34:35]
	v_mov_b32_e32 v4, s45
	v_mov_b32_e32 v5, v51
	ds_add_u64 v0, v[4:5]
	s_trap 2
.LBB6_22972:                            ;   in Loop: Header=BB6_22873 Depth=2
	s_or_b64 exec, exec, s[30:31]
	s_trap 2
	ds_read_b64 v[4:5], v0
	s_waitcnt lgkmcnt(0)
	buffer_load_dword v7, off, s[0:3], s33 offset:76 ; 4-byte Folded Reload
	buffer_load_dword v8, off, s[0:3], s33 offset:80 ; 4-byte Folded Reload
	;; [unrolled: 1-line block ×3, first 2 shown]
	s_waitcnt vmcnt(0)
	v_add_co_u32_e32 v7, vcc, v7, v9
	v_addc_co_u32_e32 v8, vcc, 0, v8, vcc
	buffer_store_dword v7, off, s[0:3], s33 offset:76 ; 4-byte Folded Spill
	s_nop 0
	buffer_store_dword v8, off, s[0:3], s33 offset:80 ; 4-byte Folded Spill
	v_cmp_lt_u64_e32 vcc, v[4:5], v[7:8]
	s_and_saveexec_b64 s[30:31], vcc
	s_cbranch_execz .LBB6_22981
; %bb.22973:                            ;   in Loop: Header=BB6_22873 Depth=2
	s_mov_b32 s45, 0
	s_mov_b64 s[34:35], 0
                                        ; implicit-def: $sgpr36_sgpr37
                                        ; implicit-def: $sgpr38_sgpr39
	s_branch .LBB6_22975
.LBB6_22974:                            ;   in Loop: Header=BB6_22975 Depth=3
	s_or_b64 exec, exec, s[50:51]
	s_and_b64 vcc, exec, vcc
	s_or_b64 s[34:35], vcc, s[34:35]
	s_andn2_b64 vcc, s[36:37], exec
	s_and_b64 s[36:37], s[38:39], exec
	s_or_b64 s[36:37], vcc, s[36:37]
	s_andn2_b64 exec, exec, s[34:35]
	s_cbranch_execz .LBB6_22979
.LBB6_22975:                            ;   Parent Loop BB6_47 Depth=1
                                        ;     Parent Loop BB6_22873 Depth=2
                                        ; =>    This Inner Loop Header: Depth=3
	s_add_i32 s45, s45, 1
	s_cmpk_lg_i32 s45, 0x2710
	s_cselect_b64 s[48:49], -1, 0
	s_and_b64 vcc, exec, s[48:49]
	s_cbranch_vccz .LBB6_22977
; %bb.22976:                            ;   in Loop: Header=BB6_22975 Depth=3
	s_mov_b64 vcc, -1
	s_or_b64 s[38:39], s[38:39], exec
	s_and_saveexec_b64 s[50:51], s[48:49]
	s_cbranch_execz .LBB6_22974
	s_branch .LBB6_22978
.LBB6_22977:                            ;   in Loop: Header=BB6_22975 Depth=3
	s_trap 2
	ds_read_b64 v[4:5], v0
	s_andn2_b64 s[48:49], s[48:49], exec
	s_mov_b32 s45, 0
	s_waitcnt vmcnt(0) lgkmcnt(0)
	flat_load_dword v4, v[4:5] glc
	s_waitcnt vmcnt(0) lgkmcnt(0)
	buffer_wbinvl1_vol
	v_cmp_eq_u32_e32 vcc, 0, v4
	s_and_b64 vcc, vcc, exec
	s_or_b64 s[48:49], s[48:49], vcc
	s_mov_b64 vcc, -1
	s_or_b64 s[38:39], s[38:39], exec
	s_and_saveexec_b64 s[50:51], s[48:49]
	s_cbranch_execz .LBB6_22974
.LBB6_22978:                            ;   in Loop: Header=BB6_22975 Depth=3
	s_sleep 1
	s_trap 2
	ds_read_b64 v[4:5], v0
	s_waitcnt lgkmcnt(0)
	buffer_load_dword v7, off, s[0:3], s33 offset:76 ; 4-byte Folded Reload
	buffer_load_dword v8, off, s[0:3], s33 offset:80 ; 4-byte Folded Reload
	s_andn2_b64 s[38:39], s[38:39], exec
	s_waitcnt vmcnt(0)
	v_cmp_ge_u64_e32 vcc, v[4:5], v[7:8]
	s_orn2_b64 vcc, vcc, exec
	s_branch .LBB6_22974
.LBB6_22979:                            ;   in Loop: Header=BB6_22873 Depth=2
	s_or_b64 exec, exec, s[34:35]
	s_and_saveexec_b64 vcc, s[36:37]
	s_xor_b64 vcc, exec, vcc
	s_cbranch_execz .LBB6_22981
; %bb.22980:                            ;   in Loop: Header=BB6_22873 Depth=2
	v_mov_b32_e32 v4, 1
	ds_write_b32 v0, v4
	s_trap 2
.LBB6_22981:                            ;   in Loop: Header=BB6_22873 Depth=2
	s_or_b64 exec, exec, s[30:31]
	;;#ASMSTART
	s_wakeup
	;;#ASMEND
.LBB6_22982:                            ;   in Loop: Header=BB6_22873 Depth=2
	s_or_b64 exec, exec, s[94:95]
.LBB6_22983:                            ;   in Loop: Header=BB6_22873 Depth=2
	s_andn2_saveexec_b64 s[92:93], s[92:93]
	s_cbranch_execz .LBB6_22985
; %bb.22984:                            ;   in Loop: Header=BB6_22873 Depth=2
	s_waitcnt vmcnt(0) lgkmcnt(0)
	buffer_wbinvl1_vol
	s_barrier
.LBB6_22985:                            ;   in Loop: Header=BB6_22873 Depth=2
	s_or_b64 exec, exec, s[92:93]
	s_or_b64 exec, exec, s[90:91]
	s_and_saveexec_b64 s[90:91], s[18:19]
	s_xor_b64 s[90:91], exec, s[90:91]
	s_cbranch_execnz .LBB6_22945
.LBB6_22986:                            ;   in Loop: Header=BB6_22873 Depth=2
	s_andn2_saveexec_b64 s[26:27], s[90:91]
	s_cbranch_execz .LBB6_23005
.LBB6_22987:                            ;   in Loop: Header=BB6_22873 Depth=2
	s_and_saveexec_b64 s[90:91], s[58:59]
	s_xor_b64 s[90:91], exec, s[90:91]
	s_cbranch_execz .LBB6_23002
; %bb.22988:                            ;   in Loop: Header=BB6_22873 Depth=2
	s_and_saveexec_b64 s[92:93], s[6:7]
	s_cbranch_execz .LBB6_23001
; %bb.22989:                            ;   in Loop: Header=BB6_22873 Depth=2
	s_mov_b64 s[30:31], exec
	v_mbcnt_lo_u32_b32 v4, s30, 0
	v_mbcnt_hi_u32_b32 v4, s31, v4
	v_cmp_eq_u32_e32 vcc, 0, v4
	;;#ASMSTART
	s_waitcnt lgkmcnt(0) vmcnt(0)
	;;#ASMEND
	s_and_saveexec_b64 s[94:95], vcc
	s_cbranch_execz .LBB6_22991
; %bb.22990:                            ;   in Loop: Header=BB6_22873 Depth=2
	s_bcnt1_i32_b64 s45, s[30:31]
	v_mov_b32_e32 v4, s45
	v_mov_b32_e32 v5, v51
	s_waitcnt lgkmcnt(0)
	ds_add_u64 v0, v[4:5]
	s_trap 2
.LBB6_22991:                            ;   in Loop: Header=BB6_22873 Depth=2
	s_or_b64 exec, exec, s[94:95]
	s_trap 2
	ds_read_b64 v[4:5], v0
	s_waitcnt lgkmcnt(0)
	buffer_load_dword v7, off, s[0:3], s33 offset:76 ; 4-byte Folded Reload
	buffer_load_dword v8, off, s[0:3], s33 offset:80 ; 4-byte Folded Reload
	;; [unrolled: 1-line block ×3, first 2 shown]
	s_waitcnt vmcnt(0)
	v_add_co_u32_e32 v7, vcc, v7, v9
	v_addc_co_u32_e32 v8, vcc, 0, v8, vcc
	buffer_store_dword v7, off, s[0:3], s33 offset:76 ; 4-byte Folded Spill
	s_nop 0
	buffer_store_dword v8, off, s[0:3], s33 offset:80 ; 4-byte Folded Spill
	v_cmp_lt_u64_e32 vcc, v[4:5], v[7:8]
	s_and_saveexec_b64 s[94:95], vcc
	s_cbranch_execz .LBB6_23000
; %bb.22992:                            ;   in Loop: Header=BB6_22873 Depth=2
	s_mov_b32 s45, 0
	s_mov_b64 s[30:31], 0
                                        ; implicit-def: $sgpr34_sgpr35
                                        ; implicit-def: $sgpr36_sgpr37
	s_branch .LBB6_22994
.LBB6_22993:                            ;   in Loop: Header=BB6_22994 Depth=3
	s_or_b64 exec, exec, s[48:49]
	s_and_b64 vcc, exec, vcc
	s_or_b64 s[30:31], vcc, s[30:31]
	s_andn2_b64 vcc, s[34:35], exec
	s_and_b64 s[34:35], s[36:37], exec
	s_or_b64 s[34:35], vcc, s[34:35]
	s_andn2_b64 exec, exec, s[30:31]
	s_cbranch_execz .LBB6_22998
.LBB6_22994:                            ;   Parent Loop BB6_47 Depth=1
                                        ;     Parent Loop BB6_22873 Depth=2
                                        ; =>    This Inner Loop Header: Depth=3
	s_add_i32 s45, s45, 1
	s_cmpk_lg_i32 s45, 0x2710
	s_cselect_b64 s[38:39], -1, 0
	s_and_b64 vcc, exec, s[38:39]
	s_cbranch_vccz .LBB6_22996
; %bb.22995:                            ;   in Loop: Header=BB6_22994 Depth=3
	s_mov_b64 vcc, -1
	s_or_b64 s[36:37], s[36:37], exec
	s_and_saveexec_b64 s[48:49], s[38:39]
	s_cbranch_execz .LBB6_22993
	s_branch .LBB6_22997
.LBB6_22996:                            ;   in Loop: Header=BB6_22994 Depth=3
	s_trap 2
	ds_read_b64 v[4:5], v0
	s_andn2_b64 s[38:39], s[38:39], exec
	s_mov_b32 s45, 0
	s_waitcnt vmcnt(0) lgkmcnt(0)
	flat_load_dword v4, v[4:5] glc
	s_waitcnt vmcnt(0) lgkmcnt(0)
	buffer_wbinvl1_vol
	v_cmp_eq_u32_e32 vcc, 0, v4
	s_and_b64 vcc, vcc, exec
	s_or_b64 s[38:39], s[38:39], vcc
	s_mov_b64 vcc, -1
	s_or_b64 s[36:37], s[36:37], exec
	s_and_saveexec_b64 s[48:49], s[38:39]
	s_cbranch_execz .LBB6_22993
.LBB6_22997:                            ;   in Loop: Header=BB6_22994 Depth=3
	s_sleep 1
	s_trap 2
	ds_read_b64 v[4:5], v0
	s_waitcnt lgkmcnt(0)
	buffer_load_dword v7, off, s[0:3], s33 offset:76 ; 4-byte Folded Reload
	buffer_load_dword v8, off, s[0:3], s33 offset:80 ; 4-byte Folded Reload
	s_andn2_b64 s[36:37], s[36:37], exec
	s_waitcnt vmcnt(0)
	v_cmp_ge_u64_e32 vcc, v[4:5], v[7:8]
	s_orn2_b64 vcc, vcc, exec
	s_branch .LBB6_22993
.LBB6_22998:                            ;   in Loop: Header=BB6_22873 Depth=2
	s_or_b64 exec, exec, s[30:31]
	s_and_saveexec_b64 vcc, s[34:35]
	s_xor_b64 vcc, exec, vcc
	s_cbranch_execz .LBB6_23000
; %bb.22999:                            ;   in Loop: Header=BB6_22873 Depth=2
	v_mov_b32_e32 v4, 1
	ds_write_b32 v0, v4
	s_trap 2
.LBB6_23000:                            ;   in Loop: Header=BB6_22873 Depth=2
	s_or_b64 exec, exec, s[94:95]
	;;#ASMSTART
	s_wakeup
	;;#ASMEND
.LBB6_23001:                            ;   in Loop: Header=BB6_22873 Depth=2
	s_or_b64 exec, exec, s[92:93]
.LBB6_23002:                            ;   in Loop: Header=BB6_22873 Depth=2
	s_andn2_saveexec_b64 s[90:91], s[90:91]
	s_cbranch_execz .LBB6_23004
; %bb.23003:                            ;   in Loop: Header=BB6_22873 Depth=2
	;;#ASMSTART
	s_waitcnt lgkmcnt(0) vmcnt(0)
	;;#ASMEND
	s_waitcnt vmcnt(0) lgkmcnt(0)
	s_barrier
.LBB6_23004:                            ;   in Loop: Header=BB6_22873 Depth=2
	s_or_b64 exec, exec, s[90:91]
.LBB6_23005:                            ;   in Loop: Header=BB6_22873 Depth=2
	s_or_b64 exec, exec, s[26:27]
	buffer_load_dword v4, off, s[0:3], s33 offset:72 ; 4-byte Folded Reload
	s_waitcnt vmcnt(0)
	v_and_b32_e32 v4, 32, v4
	v_cmp_ne_u32_e32 vcc, 0, v4
	s_and_saveexec_b64 s[26:27], vcc
	s_cbranch_execz .LBB6_22872
; %bb.23006:                            ;   in Loop: Header=BB6_22873 Depth=2
	buffer_load_dword v7, off, s[0:3], s33 offset:84 ; 4-byte Folded Reload
	buffer_load_dword v8, off, s[0:3], s33 offset:88 ; 4-byte Folded Reload
	;; [unrolled: 1-line block ×4, first 2 shown]
	s_waitcnt vmcnt(0)
	v_add_co_u32_e32 v7, vcc, 2, v7
	v_addc_co_u32_e32 v8, vcc, 0, v8, vcc
	buffer_store_dword v7, off, s[0:3], s33 offset:84 ; 4-byte Folded Spill
	s_nop 0
	buffer_store_dword v8, off, s[0:3], s33 offset:88 ; 4-byte Folded Spill
	flat_store_dwordx2 v[4:5], v[7:8]
	s_branch .LBB6_22872
.LBB6_23007:                            ;   in Loop: Header=BB6_47 Depth=1
	s_or_b64 exec, exec, s[40:41]
.LBB6_23008:                            ;   in Loop: Header=BB6_47 Depth=1
	s_or_b64 exec, exec, s[28:29]
	v_cmp_gt_i32_e32 vcc, 2, v4
	s_and_saveexec_b64 s[28:29], vcc
	s_cbranch_execnz .LBB6_23009
; %bb.23181:                            ;   in Loop: Header=BB6_47 Depth=1
	s_getpc_b64 s[98:99]
.Lpost_getpc54:
	s_add_u32 s98, s98, (.LBB6_46-.Lpost_getpc54)&4294967295
	s_addc_u32 s99, s99, (.LBB6_46-.Lpost_getpc54)>>32
	s_setpc_b64 s[98:99]
.LBB6_23009:                            ;   in Loop: Header=BB6_47 Depth=1
	v_cmp_eq_u32_e64 s[42:43], 0, v4
	s_mov_b64 s[40:41], 0
	s_branch .LBB6_23011
.LBB6_23010:                            ;   in Loop: Header=BB6_23011 Depth=2
	s_or_b64 exec, exec, s[26:27]
	v_add_u32_e32 v2, v1, v2
	s_mov_b64 s[42:43], 0
	s_andn2_b64 exec, exec, s[40:41]
	s_cbranch_execnz .LBB6_23011
; %bb.23183:                            ;   in Loop: Header=BB6_47 Depth=1
	s_getpc_b64 s[98:99]
.Lpost_getpc55:
	s_add_u32 s98, s98, (.LBB6_45-.Lpost_getpc55)&4294967295
	s_addc_u32 s99, s99, (.LBB6_45-.Lpost_getpc55)>>32
	s_setpc_b64 s[98:99]
.LBB6_23011:                            ;   Parent Loop BB6_47 Depth=1
                                        ; =>  This Loop Header: Depth=2
                                        ;       Child Loop BB6_23017 Depth 3
                                        ;       Child Loop BB6_23041 Depth 3
	;; [unrolled: 1-line block ×3, first 2 shown]
	buffer_load_dword v3, off, s[0:3], s33 offset:72 ; 4-byte Folded Reload
	s_waitcnt vmcnt(0)
	v_and_b32_e32 v3, 4, v3
	v_cmp_ne_u32_e32 vcc, 0, v3
	s_and_saveexec_b64 s[90:91], vcc
	s_cbranch_execz .LBB6_23033
; %bb.23012:                            ;   in Loop: Header=BB6_23011 Depth=2
	buffer_load_dword v3, off, s[0:3], s33 offset:84 ; 4-byte Folded Reload
	buffer_load_dword v4, off, s[0:3], s33 offset:88 ; 4-byte Folded Reload
	s_waitcnt vmcnt(0)
	v_add_co_u32_e32 v8, vcc, 2, v3
	v_addc_co_u32_e32 v9, vcc, 0, v4, vcc
	buffer_load_dword v3, off, s[0:3], s33 offset:56 ; 4-byte Folded Reload
	buffer_load_dword v4, off, s[0:3], s33 offset:60 ; 4-byte Folded Reload
	s_waitcnt vmcnt(0)
	v_cmp_lt_u64_e32 vcc, v[3:4], v[8:9]
	s_and_saveexec_b64 s[92:93], vcc
	s_cbranch_execz .LBB6_23024
; %bb.23013:                            ;   in Loop: Header=BB6_23011 Depth=2
	buffer_load_dword v3, off, s[0:3], s33 offset:72 ; 4-byte Folded Reload
	s_mov_b32 s9, 0
	s_mov_b64 s[94:95], 0
                                        ; implicit-def: $sgpr30_sgpr31
                                        ; implicit-def: $sgpr34_sgpr35
                                        ; implicit-def: $sgpr36_sgpr37
	s_waitcnt vmcnt(0)
	v_and_b32_e32 v3, 64, v3
	v_cmp_eq_u32_e32 vcc, 0, v3
	s_branch .LBB6_23017
.LBB6_23014:                            ;   in Loop: Header=BB6_23017 Depth=3
	buffer_load_dword v4, off, s[0:3], s33 offset:56 ; 4-byte Folded Reload
	buffer_load_dword v5, off, s[0:3], s33 offset:60 ; 4-byte Folded Reload
	s_or_b64 s[50:51], s[50:51], exec
	s_waitcnt vmcnt(0)
	v_cmp_ge_u64_e64 s[26:27], v[4:5], v[8:9]
	s_orn2_b64 s[48:49], s[26:27], exec
.LBB6_23015:                            ;   in Loop: Header=BB6_23017 Depth=3
	s_or_b64 exec, exec, s[54:55]
	s_andn2_b64 s[26:27], s[36:37], exec
	s_and_b64 s[36:37], s[50:51], exec
	s_or_b64 s[36:37], s[26:27], s[36:37]
	s_andn2_b64 s[26:27], s[34:35], exec
	s_and_b64 s[34:35], s[48:49], exec
	s_or_b64 s[34:35], s[26:27], s[34:35]
.LBB6_23016:                            ;   in Loop: Header=BB6_23017 Depth=3
	s_or_b64 exec, exec, s[38:39]
	s_and_b64 s[26:27], exec, s[34:35]
	s_or_b64 s[94:95], s[26:27], s[94:95]
	s_andn2_b64 s[26:27], s[30:31], exec
	s_and_b64 s[30:31], s[36:37], exec
	s_or_b64 s[30:31], s[26:27], s[30:31]
	s_andn2_b64 exec, exec, s[94:95]
	s_cbranch_execz .LBB6_23021
.LBB6_23017:                            ;   Parent Loop BB6_47 Depth=1
                                        ;     Parent Loop BB6_23011 Depth=2
                                        ; =>    This Inner Loop Header: Depth=3
	s_sleep 1
	buffer_load_dword v3, off, s[0:3], s33 offset:64 ; 4-byte Folded Reload
	buffer_load_dword v4, off, s[0:3], s33 offset:68 ; 4-byte Folded Reload
	s_or_b64 s[36:37], s[36:37], exec
	s_or_b64 s[34:35], s[34:35], exec
	s_waitcnt vmcnt(0)
	flat_load_dwordx2 v[3:4], v[3:4] glc
	s_waitcnt vmcnt(0) lgkmcnt(0)
	buffer_store_dword v3, off, s[0:3], s33 offset:56 ; 4-byte Folded Spill
	s_nop 0
	buffer_store_dword v4, off, s[0:3], s33 offset:60 ; 4-byte Folded Spill
                                        ; implicit-def: $vgpr3
	s_and_saveexec_b64 s[38:39], vcc
	s_cbranch_execz .LBB6_23016
; %bb.23018:                            ;   in Loop: Header=BB6_23017 Depth=3
	s_cmpk_lt_i32 s9, 0x270f
	s_cselect_b64 s[52:53], -1, 0
	s_cmpk_gt_i32 s9, 0x270e
	s_mov_b64 s[48:49], -1
	s_cbranch_scc0 .LBB6_23020
; %bb.23019:                            ;   in Loop: Header=BB6_23017 Depth=3
	s_trap 2
	ds_read_b64 v[3:4], v0
	s_andn2_b64 s[52:53], s[52:53], exec
	s_mov_b32 s9, 0
	s_mov_b64 s[50:51], 0
	s_waitcnt vmcnt(0) lgkmcnt(0)
	flat_load_dword v3, v[3:4] glc
	s_waitcnt vmcnt(0) lgkmcnt(0)
	buffer_wbinvl1_vol
	v_cmp_eq_u32_e64 s[26:27], 0, v3
	s_and_b64 s[26:27], s[26:27], exec
	s_or_b64 s[52:53], s[52:53], s[26:27]
	s_and_saveexec_b64 s[54:55], s[52:53]
	s_cbranch_execz .LBB6_23015
	s_branch .LBB6_23014
.LBB6_23020:                            ;   in Loop: Header=BB6_23017 Depth=3
	s_add_i32 s9, s9, 1
	s_mov_b64 s[50:51], -1
                                        ; implicit-def: $vgpr3
	s_and_saveexec_b64 s[54:55], s[52:53]
	s_cbranch_execz .LBB6_23015
	s_branch .LBB6_23014
.LBB6_23021:                            ;   in Loop: Header=BB6_23011 Depth=2
	s_or_b64 exec, exec, s[94:95]
	s_xor_b64 s[26:27], s[30:31], -1
	s_and_saveexec_b64 s[94:95], s[26:27]
	s_xor_b64 s[26:27], exec, s[94:95]
	s_cbranch_execz .LBB6_23023
; %bb.23022:                            ;   in Loop: Header=BB6_23011 Depth=2
	ds_write_b32 v0, v3
	s_trap 2
	buffer_load_dword v3, off, s[0:3], s33 offset:72 ; 4-byte Folded Reload
	s_waitcnt vmcnt(0)
	v_or_b32_e32 v3, 64, v3
	buffer_store_dword v3, off, s[0:3], s33 offset:72 ; 4-byte Folded Spill
.LBB6_23023:                            ;   in Loop: Header=BB6_23011 Depth=2
	s_or_b64 exec, exec, s[26:27]
.LBB6_23024:                            ;   in Loop: Header=BB6_23011 Depth=2
	s_or_b64 exec, exec, s[92:93]
	;;#ASMSTART
	s_wakeup
	;;#ASMEND
	buffer_load_dword v3, off, s[0:3], s33 offset:72 ; 4-byte Folded Reload
	s_mov_b64 s[26:27], -1
                                        ; implicit-def: $vgpr10_vgpr11
	s_waitcnt vmcnt(0)
	v_and_b32_e32 v3, 0x100, v3
	v_cmp_ne_u32_e32 vcc, 0, v3
	buffer_load_dword v3, off, s[0:3], s33 offset:84 ; 4-byte Folded Reload
	buffer_load_dword v4, off, s[0:3], s33 offset:88 ; 4-byte Folded Reload
	s_waitcnt vmcnt(0)
	v_and_b32_e32 v3, 7, v3
	s_and_saveexec_b64 s[92:93], vcc
	s_cbranch_execz .LBB6_23028
; %bb.23025:                            ;   in Loop: Header=BB6_23011 Depth=2
	buffer_load_dword v4, off, s[0:3], s33 offset:332 ; 4-byte Folded Reload
	buffer_load_dword v5, off, s[0:3], s33 offset:336 ; 4-byte Folded Reload
	;; [unrolled: 1-line block ×4, first 2 shown]
                                        ; implicit-def: $vgpr10_vgpr11
	s_waitcnt vmcnt(0)
	v_mad_u64_u32 v[4:5], s[26:27], v3, 24, v[4:5]
	flat_load_dword v6, v[4:5]
	s_waitcnt vmcnt(0) lgkmcnt(0)
	v_cmp_ne_u32_e32 vcc, 1, v6
	v_cmp_eq_u32_e64 s[26:27], 1, v6
	s_and_saveexec_b64 s[94:95], s[26:27]
	s_cbranch_execz .LBB6_23027
; %bb.23026:                            ;   in Loop: Header=BB6_23011 Depth=2
	flat_load_dword v10, v[4:5] offset:4 glc
	s_waitcnt vmcnt(0) lgkmcnt(0)
	v_ashrrev_i32_e32 v11, 31, v10
.LBB6_23027:                            ;   in Loop: Header=BB6_23011 Depth=2
	s_or_b64 exec, exec, s[94:95]
	s_orn2_b64 s[26:27], vcc, exec
.LBB6_23028:                            ;   in Loop: Header=BB6_23011 Depth=2
	s_or_b64 exec, exec, s[92:93]
	s_and_saveexec_b64 s[92:93], s[26:27]
	s_cbranch_execz .LBB6_23030
; %bb.23029:                            ;   in Loop: Header=BB6_23011 Depth=2
	buffer_load_dword v4, off, s[0:3], s33 offset:368 ; 4-byte Folded Reload
	s_waitcnt vmcnt(0)
	v_mad_i64_i32 v[10:11], s[26:27], v3, v4, 0
.LBB6_23030:                            ;   in Loop: Header=BB6_23011 Depth=2
	s_or_b64 exec, exec, s[92:93]
	buffer_load_dword v3, off, s[0:3], s33 offset:324 ; 4-byte Folded Reload
	buffer_load_dword v4, off, s[0:3], s33 offset:328 ; 4-byte Folded Reload
	s_waitcnt vmcnt(0)
	v_add_co_u32_e32 v3, vcc, v3, v10
	v_addc_co_u32_e32 v4, vcc, v4, v11, vcc
	ds_write_b64 v0, v[3:4] offset:720
	buffer_load_dword v3, off, s[0:3], s33 offset:72 ; 4-byte Folded Reload
	s_waitcnt vmcnt(0)
	v_and_b32_e32 v3, 0x2000, v3
	v_cmp_ne_u32_e32 vcc, 0, v3
	s_and_saveexec_b64 s[26:27], vcc
	s_cbranch_execz .LBB6_23032
; %bb.23031:                            ;   in Loop: Header=BB6_23011 Depth=2
	ds_read_b64 v[3:4], v0 offset:872
	s_waitcnt lgkmcnt(0)
	v_add_co_u32_e32 v3, vcc, 1, v3
	v_addc_co_u32_e32 v4, vcc, 0, v4, vcc
	ds_write_b64 v0, v[3:4] offset:872
.LBB6_23032:                            ;   in Loop: Header=BB6_23011 Depth=2
	s_or_b64 exec, exec, s[26:27]
	buffer_store_dword v8, off, s[0:3], s33 offset:84 ; 4-byte Folded Spill
	s_nop 0
	buffer_store_dword v9, off, s[0:3], s33 offset:88 ; 4-byte Folded Spill
.LBB6_23033:                            ;   in Loop: Header=BB6_23011 Depth=2
	s_or_b64 exec, exec, s[90:91]
	s_xor_b64 s[26:27], s[42:43], -1
	s_and_b64 s[26:27], exec, s[26:27]
	s_or_b64 s[40:41], s[26:27], s[40:41]
	s_and_saveexec_b64 s[26:27], s[12:13]
	s_cbranch_execz .LBB6_23052
; %bb.23034:                            ;   in Loop: Header=BB6_23011 Depth=2
	s_and_saveexec_b64 s[42:43], s[58:59]
	s_xor_b64 s[42:43], exec, s[42:43]
	s_cbranch_execz .LBB6_23049
; %bb.23035:                            ;   in Loop: Header=BB6_23011 Depth=2
	s_and_saveexec_b64 s[90:91], s[6:7]
	s_cbranch_execz .LBB6_23048
; %bb.23036:                            ;   in Loop: Header=BB6_23011 Depth=2
	s_mov_b64 s[94:95], exec
	v_mbcnt_lo_u32_b32 v3, s94, 0
	v_mbcnt_hi_u32_b32 v3, s95, v3
	v_cmp_eq_u32_e32 vcc, 0, v3
	s_waitcnt vmcnt(0) lgkmcnt(0)
	buffer_wbinvl1_vol
	s_and_saveexec_b64 s[92:93], vcc
	s_cbranch_execz .LBB6_23038
; %bb.23037:                            ;   in Loop: Header=BB6_23011 Depth=2
	s_bcnt1_i32_b64 s9, s[94:95]
	v_mov_b32_e32 v3, s9
	v_mov_b32_e32 v4, v51
	ds_add_u64 v0, v[3:4]
	s_trap 2
.LBB6_23038:                            ;   in Loop: Header=BB6_23011 Depth=2
	s_or_b64 exec, exec, s[92:93]
	s_trap 2
	ds_read_b64 v[3:4], v0
	s_waitcnt lgkmcnt(0)
	buffer_load_dword v5, off, s[0:3], s33 offset:76 ; 4-byte Folded Reload
	buffer_load_dword v6, off, s[0:3], s33 offset:80 ; 4-byte Folded Reload
	;; [unrolled: 1-line block ×3, first 2 shown]
	s_waitcnt vmcnt(0)
	v_add_co_u32_e32 v5, vcc, v5, v7
	v_addc_co_u32_e32 v6, vcc, 0, v6, vcc
	buffer_store_dword v5, off, s[0:3], s33 offset:76 ; 4-byte Folded Spill
	s_nop 0
	buffer_store_dword v6, off, s[0:3], s33 offset:80 ; 4-byte Folded Spill
	v_cmp_lt_u64_e32 vcc, v[3:4], v[5:6]
	s_and_saveexec_b64 s[92:93], vcc
	s_cbranch_execz .LBB6_23047
; %bb.23039:                            ;   in Loop: Header=BB6_23011 Depth=2
	s_mov_b32 s9, 0
	s_mov_b64 s[94:95], 0
                                        ; implicit-def: $sgpr30_sgpr31
                                        ; implicit-def: $sgpr34_sgpr35
	s_branch .LBB6_23041
.LBB6_23040:                            ;   in Loop: Header=BB6_23041 Depth=3
	s_or_b64 exec, exec, s[38:39]
	s_and_b64 vcc, exec, vcc
	s_or_b64 s[94:95], vcc, s[94:95]
	s_andn2_b64 vcc, s[30:31], exec
	s_and_b64 s[30:31], s[34:35], exec
	s_or_b64 s[30:31], vcc, s[30:31]
	s_andn2_b64 exec, exec, s[94:95]
	s_cbranch_execz .LBB6_23045
.LBB6_23041:                            ;   Parent Loop BB6_47 Depth=1
                                        ;     Parent Loop BB6_23011 Depth=2
                                        ; =>    This Inner Loop Header: Depth=3
	s_add_i32 s9, s9, 1
	s_cmpk_lg_i32 s9, 0x2710
	s_cselect_b64 s[36:37], -1, 0
	s_and_b64 vcc, exec, s[36:37]
	s_cbranch_vccz .LBB6_23043
; %bb.23042:                            ;   in Loop: Header=BB6_23041 Depth=3
	s_mov_b64 vcc, -1
	s_or_b64 s[34:35], s[34:35], exec
	s_and_saveexec_b64 s[38:39], s[36:37]
	s_cbranch_execz .LBB6_23040
	s_branch .LBB6_23044
.LBB6_23043:                            ;   in Loop: Header=BB6_23041 Depth=3
	s_trap 2
	ds_read_b64 v[3:4], v0
	s_andn2_b64 s[36:37], s[36:37], exec
	s_mov_b32 s9, 0
	s_waitcnt vmcnt(0) lgkmcnt(0)
	flat_load_dword v3, v[3:4] glc
	s_waitcnt vmcnt(0) lgkmcnt(0)
	buffer_wbinvl1_vol
	v_cmp_eq_u32_e32 vcc, 0, v3
	s_and_b64 vcc, vcc, exec
	s_or_b64 s[36:37], s[36:37], vcc
	s_mov_b64 vcc, -1
	s_or_b64 s[34:35], s[34:35], exec
	s_and_saveexec_b64 s[38:39], s[36:37]
	s_cbranch_execz .LBB6_23040
.LBB6_23044:                            ;   in Loop: Header=BB6_23041 Depth=3
	s_sleep 1
	s_trap 2
	ds_read_b64 v[3:4], v0
	s_waitcnt lgkmcnt(0)
	buffer_load_dword v5, off, s[0:3], s33 offset:76 ; 4-byte Folded Reload
	buffer_load_dword v6, off, s[0:3], s33 offset:80 ; 4-byte Folded Reload
	s_andn2_b64 s[34:35], s[34:35], exec
	s_waitcnt vmcnt(0)
	v_cmp_ge_u64_e32 vcc, v[3:4], v[5:6]
	s_orn2_b64 vcc, vcc, exec
	s_branch .LBB6_23040
.LBB6_23045:                            ;   in Loop: Header=BB6_23011 Depth=2
	s_or_b64 exec, exec, s[94:95]
	s_and_saveexec_b64 s[94:95], s[30:31]
	s_xor_b64 s[94:95], exec, s[94:95]
	s_cbranch_execz .LBB6_23047
; %bb.23046:                            ;   in Loop: Header=BB6_23011 Depth=2
	v_mov_b32_e32 v3, 1
	ds_write_b32 v0, v3
	s_trap 2
.LBB6_23047:                            ;   in Loop: Header=BB6_23011 Depth=2
	s_or_b64 exec, exec, s[92:93]
	;;#ASMSTART
	s_wakeup
	;;#ASMEND
.LBB6_23048:                            ;   in Loop: Header=BB6_23011 Depth=2
	s_or_b64 exec, exec, s[90:91]
.LBB6_23049:                            ;   in Loop: Header=BB6_23011 Depth=2
	s_andn2_saveexec_b64 s[42:43], s[42:43]
	s_cbranch_execz .LBB6_23051
; %bb.23050:                            ;   in Loop: Header=BB6_23011 Depth=2
	s_waitcnt vmcnt(0) lgkmcnt(0)
	buffer_wbinvl1_vol
	s_barrier
.LBB6_23051:                            ;   in Loop: Header=BB6_23011 Depth=2
	s_or_b64 exec, exec, s[42:43]
.LBB6_23052:                            ;   in Loop: Header=BB6_23011 Depth=2
	s_or_b64 exec, exec, s[26:27]
	v_sub_u32_e32 v3, v0, v2
	v_min_i32_e32 v1, v1, v3
	s_and_saveexec_b64 s[26:27], s[18:19]
	s_xor_b64 s[26:27], exec, s[26:27]
	s_cbranch_execz .LBB6_23056
; %bb.23053:                            ;   in Loop: Header=BB6_23011 Depth=2
	s_trap 2
	ds_read_b32 v3, v0
	v_cmp_lt_i32_e32 vcc, 0, v1
	s_waitcnt lgkmcnt(0)
	v_readfirstlane_b32 s9, v3
	buffer_load_dword v3, off, s[0:3], s33 offset:72 ; 4-byte Folded Reload
	s_cmp_eq_u32 s9, 0
	s_cselect_b64 s[42:43], -1, 0
	s_and_b64 s[42:43], vcc, s[42:43]
	s_waitcnt vmcnt(0)
	v_and_b32_e32 v3, 16, v3
	v_cmp_ne_u32_e32 vcc, 0, v3
	s_and_b64 s[90:91], vcc, s[42:43]
	s_and_saveexec_b64 s[42:43], s[90:91]
	s_cbranch_execz .LBB6_23055
; %bb.23054:                            ;   in Loop: Header=BB6_23011 Depth=2
	buffer_wbinvl1_vol
.LBB6_23055:                            ;   in Loop: Header=BB6_23011 Depth=2
	s_or_b64 exec, exec, s[42:43]
.LBB6_23056:                            ;   in Loop: Header=BB6_23011 Depth=2
	s_andn2_saveexec_b64 s[26:27], s[26:27]
	s_cbranch_execz .LBB6_23075
; %bb.23057:                            ;   in Loop: Header=BB6_23011 Depth=2
	s_and_saveexec_b64 s[42:43], s[58:59]
	s_xor_b64 s[42:43], exec, s[42:43]
	s_cbranch_execz .LBB6_23072
; %bb.23058:                            ;   in Loop: Header=BB6_23011 Depth=2
	s_and_saveexec_b64 s[90:91], s[6:7]
	s_cbranch_execz .LBB6_23071
; %bb.23059:                            ;   in Loop: Header=BB6_23011 Depth=2
	s_mov_b64 s[94:95], exec
	v_mbcnt_lo_u32_b32 v3, s94, 0
	v_mbcnt_hi_u32_b32 v3, s95, v3
	v_cmp_eq_u32_e32 vcc, 0, v3
	;;#ASMSTART
	s_waitcnt lgkmcnt(0) vmcnt(0)
	;;#ASMEND
	s_and_saveexec_b64 s[92:93], vcc
	s_cbranch_execz .LBB6_23061
; %bb.23060:                            ;   in Loop: Header=BB6_23011 Depth=2
	s_bcnt1_i32_b64 s9, s[94:95]
	v_mov_b32_e32 v3, s9
	v_mov_b32_e32 v4, v51
	s_waitcnt lgkmcnt(0)
	ds_add_u64 v0, v[3:4]
	s_trap 2
.LBB6_23061:                            ;   in Loop: Header=BB6_23011 Depth=2
	s_or_b64 exec, exec, s[92:93]
	s_trap 2
	ds_read_b64 v[3:4], v0
	s_waitcnt lgkmcnt(0)
	buffer_load_dword v5, off, s[0:3], s33 offset:76 ; 4-byte Folded Reload
	buffer_load_dword v6, off, s[0:3], s33 offset:80 ; 4-byte Folded Reload
	;; [unrolled: 1-line block ×3, first 2 shown]
	s_waitcnt vmcnt(0)
	v_add_co_u32_e32 v5, vcc, v5, v7
	v_addc_co_u32_e32 v6, vcc, 0, v6, vcc
	buffer_store_dword v5, off, s[0:3], s33 offset:76 ; 4-byte Folded Spill
	s_nop 0
	buffer_store_dword v6, off, s[0:3], s33 offset:80 ; 4-byte Folded Spill
	v_cmp_lt_u64_e32 vcc, v[3:4], v[5:6]
	s_and_saveexec_b64 s[92:93], vcc
	s_cbranch_execz .LBB6_23070
; %bb.23062:                            ;   in Loop: Header=BB6_23011 Depth=2
	s_mov_b32 s9, 0
	s_mov_b64 s[94:95], 0
                                        ; implicit-def: $sgpr30_sgpr31
                                        ; implicit-def: $sgpr34_sgpr35
	s_branch .LBB6_23064
.LBB6_23063:                            ;   in Loop: Header=BB6_23064 Depth=3
	s_or_b64 exec, exec, s[38:39]
	s_and_b64 vcc, exec, vcc
	s_or_b64 s[94:95], vcc, s[94:95]
	s_andn2_b64 vcc, s[30:31], exec
	s_and_b64 s[30:31], s[34:35], exec
	s_or_b64 s[30:31], vcc, s[30:31]
	s_andn2_b64 exec, exec, s[94:95]
	s_cbranch_execz .LBB6_23068
.LBB6_23064:                            ;   Parent Loop BB6_47 Depth=1
                                        ;     Parent Loop BB6_23011 Depth=2
                                        ; =>    This Inner Loop Header: Depth=3
	s_add_i32 s9, s9, 1
	s_cmpk_lg_i32 s9, 0x2710
	s_cselect_b64 s[36:37], -1, 0
	s_and_b64 vcc, exec, s[36:37]
	s_cbranch_vccz .LBB6_23066
; %bb.23065:                            ;   in Loop: Header=BB6_23064 Depth=3
	s_mov_b64 vcc, -1
	s_or_b64 s[34:35], s[34:35], exec
	s_and_saveexec_b64 s[38:39], s[36:37]
	s_cbranch_execz .LBB6_23063
	s_branch .LBB6_23067
.LBB6_23066:                            ;   in Loop: Header=BB6_23064 Depth=3
	s_trap 2
	ds_read_b64 v[3:4], v0
	s_andn2_b64 s[36:37], s[36:37], exec
	s_mov_b32 s9, 0
	s_waitcnt vmcnt(0) lgkmcnt(0)
	flat_load_dword v3, v[3:4] glc
	s_waitcnt vmcnt(0) lgkmcnt(0)
	buffer_wbinvl1_vol
	v_cmp_eq_u32_e32 vcc, 0, v3
	s_and_b64 vcc, vcc, exec
	s_or_b64 s[36:37], s[36:37], vcc
	s_mov_b64 vcc, -1
	s_or_b64 s[34:35], s[34:35], exec
	s_and_saveexec_b64 s[38:39], s[36:37]
	s_cbranch_execz .LBB6_23063
.LBB6_23067:                            ;   in Loop: Header=BB6_23064 Depth=3
	s_sleep 1
	s_trap 2
	ds_read_b64 v[3:4], v0
	s_waitcnt lgkmcnt(0)
	buffer_load_dword v5, off, s[0:3], s33 offset:76 ; 4-byte Folded Reload
	buffer_load_dword v6, off, s[0:3], s33 offset:80 ; 4-byte Folded Reload
	s_andn2_b64 s[34:35], s[34:35], exec
	s_waitcnt vmcnt(0)
	v_cmp_ge_u64_e32 vcc, v[3:4], v[5:6]
	s_orn2_b64 vcc, vcc, exec
	s_branch .LBB6_23063
.LBB6_23068:                            ;   in Loop: Header=BB6_23011 Depth=2
	s_or_b64 exec, exec, s[94:95]
	s_and_saveexec_b64 s[94:95], s[30:31]
	s_xor_b64 s[94:95], exec, s[94:95]
	s_cbranch_execz .LBB6_23070
; %bb.23069:                            ;   in Loop: Header=BB6_23011 Depth=2
	v_mov_b32_e32 v3, 1
	ds_write_b32 v0, v3
	s_trap 2
.LBB6_23070:                            ;   in Loop: Header=BB6_23011 Depth=2
	s_or_b64 exec, exec, s[92:93]
	;;#ASMSTART
	s_wakeup
	;;#ASMEND
.LBB6_23071:                            ;   in Loop: Header=BB6_23011 Depth=2
	s_or_b64 exec, exec, s[90:91]
.LBB6_23072:                            ;   in Loop: Header=BB6_23011 Depth=2
	s_andn2_saveexec_b64 s[42:43], s[42:43]
	s_cbranch_execz .LBB6_23074
; %bb.23073:                            ;   in Loop: Header=BB6_23011 Depth=2
	;;#ASMSTART
	s_waitcnt lgkmcnt(0) vmcnt(0)
	;;#ASMEND
	s_waitcnt vmcnt(0) lgkmcnt(0)
	s_barrier
.LBB6_23074:                            ;   in Loop: Header=BB6_23011 Depth=2
	s_or_b64 exec, exec, s[42:43]
.LBB6_23075:                            ;   in Loop: Header=BB6_23011 Depth=2
	s_or_b64 exec, exec, s[26:27]
	buffer_load_dword v3, off, s[0:3], s33 offset:72 ; 4-byte Folded Reload
	s_waitcnt vmcnt(0)
	v_and_b32_e32 v3, 32, v3
	v_cmp_ne_u32_e32 vcc, 0, v3
	s_and_saveexec_b64 s[26:27], vcc
	s_cbranch_execz .LBB6_23010
; %bb.23076:                            ;   in Loop: Header=BB6_23011 Depth=2
	buffer_load_dword v5, off, s[0:3], s33 offset:84 ; 4-byte Folded Reload
	buffer_load_dword v6, off, s[0:3], s33 offset:88 ; 4-byte Folded Reload
	;; [unrolled: 1-line block ×4, first 2 shown]
	s_waitcnt vmcnt(0)
	v_add_co_u32_e32 v5, vcc, 2, v5
	v_addc_co_u32_e32 v6, vcc, 0, v6, vcc
	buffer_store_dword v5, off, s[0:3], s33 offset:84 ; 4-byte Folded Spill
	s_nop 0
	buffer_store_dword v6, off, s[0:3], s33 offset:88 ; 4-byte Folded Spill
	flat_store_dwordx2 v[3:4], v[5:6]
	s_branch .LBB6_23010
.LBB6_23077:
	s_or_b64 exec, exec, s[60:61]
	buffer_load_dword v19, off, s[0:3], s33 offset:688 ; 4-byte Folded Reload
	buffer_load_dword v31, off, s[0:3], s33 offset:692 ; 4-byte Folded Reload
	v_readlane_b32 s28, v62, 4
	v_readlane_b32 s29, v62, 5
.LBB6_23078:
	v_readlane_b32 s4, v62, 2
	v_readlane_b32 s5, v62, 3
	s_or_b64 exec, exec, s[4:5]
	buffer_load_dword v1, off, s[0:3], s33 offset:72 ; 4-byte Folded Reload
	s_waitcnt vmcnt(0)
	v_and_b32_e32 v0, 0x800, v1
	v_cmp_eq_u32_e32 vcc, 0, v0
	s_and_saveexec_b64 s[6:7], vcc
	s_cbranch_execz .LBB6_23111
; %bb.23079:
	v_and_b32_e32 v0, 48, v1
	v_cmp_ne_u32_e32 vcc, 0, v0
	s_and_saveexec_b64 s[4:5], vcc
	s_cbranch_execz .LBB6_23081
; %bb.23080:
	buffer_load_dword v0, off, s[0:3], s33 offset:676 ; 4-byte Folded Reload
	buffer_load_dword v1, off, s[0:3], s33 offset:680 ; 4-byte Folded Reload
	;; [unrolled: 1-line block ×4, first 2 shown]
	s_waitcnt vmcnt(0)
	flat_store_dwordx2 v[0:1], v[2:3] offset:104
.LBB6_23081:
	s_or_b64 exec, exec, s[4:5]
	buffer_load_dword v5, off, s[0:3], s33 offset:72 ; 4-byte Folded Reload
	s_movk_i32 s4, 0x88
	s_waitcnt vmcnt(0)
	v_and_b32_e32 v0, 0x88, v5
	v_cmp_eq_u32_e32 vcc, s4, v0
	s_and_saveexec_b64 s[10:11], vcc
	s_cbranch_execz .LBB6_23091
; %bb.23082:
	buffer_load_dword v0, off, s[0:3], s33 offset:84 ; 4-byte Folded Reload
	buffer_load_dword v1, off, s[0:3], s33 offset:88 ; 4-byte Folded Reload
	;; [unrolled: 1-line block ×6, first 2 shown]
	s_waitcnt vmcnt(0)
	v_and_b32_e32 v4, 64, v5
	s_mov_b32 s8, 0
	v_add_u32_e32 v0, 6, v0
	v_and_b32_e32 v0, 7, v0
	v_mad_u64_u32 v[2:3], s[4:5], v0, 24, v[1:2]
	v_cmp_eq_u32_e64 s[4:5], 0, v4
	flat_load_dwordx2 v[0:1], v[2:3] offset:8 glc
	s_waitcnt vmcnt(0) lgkmcnt(0)
	v_cmp_ne_u64_e32 vcc, -1, v[0:1]
	s_and_b64 s[4:5], vcc, s[4:5]
	s_and_b64 exec, exec, s[4:5]
	s_cbranch_execz .LBB6_23091
; %bb.23083:
	s_mov_b64 s[4:5], 0
                                        ; implicit-def: $sgpr12_sgpr13
                                        ; implicit-def: $sgpr14_sgpr15
	s_branch .LBB6_23086
.LBB6_23084:                            ;   in Loop: Header=BB6_23086 Depth=1
	flat_load_dwordx2 v[4:5], v[2:3] offset:8 glc
	s_waitcnt vmcnt(0)
	s_andn2_b64 s[14:15], s[14:15], exec
	s_waitcnt lgkmcnt(0)
	v_cmp_eq_u64_e32 vcc, -1, v[4:5]
	s_orn2_b64 s[18:19], vcc, exec
.LBB6_23085:                            ;   in Loop: Header=BB6_23086 Depth=1
	s_or_b64 exec, exec, s[20:21]
	s_and_b64 s[16:17], exec, s[18:19]
	s_or_b64 s[4:5], s[16:17], s[4:5]
	s_andn2_b64 s[12:13], s[12:13], exec
	s_and_b64 s[16:17], s[14:15], exec
	s_or_b64 s[12:13], s[12:13], s[16:17]
	s_andn2_b64 exec, exec, s[4:5]
	s_cbranch_execz .LBB6_23089
.LBB6_23086:                            ; =>This Inner Loop Header: Depth=1
	s_cmpk_lt_i32 s8, 0x270f
	s_cselect_b64 s[16:17], -1, 0
	s_and_b64 vcc, exec, s[16:17]
	s_cbranch_vccnz .LBB6_23088
; %bb.23087:                            ;   in Loop: Header=BB6_23086 Depth=1
	s_trap 2
	ds_read_b64 v[0:1], v0
	s_andn2_b64 s[16:17], s[16:17], exec
	s_mov_b32 s8, 0
	s_waitcnt lgkmcnt(0)
	flat_load_dword v0, v[0:1] glc
	s_waitcnt vmcnt(0) lgkmcnt(0)
	buffer_wbinvl1_vol
	v_cmp_eq_u32_e32 vcc, 0, v0
	s_and_b64 s[18:19], vcc, exec
	s_or_b64 s[16:17], s[16:17], s[18:19]
	s_mov_b64 s[18:19], -1
	s_or_b64 s[14:15], s[14:15], exec
	s_and_saveexec_b64 s[20:21], s[16:17]
	s_cbranch_execz .LBB6_23085
	s_branch .LBB6_23084
.LBB6_23088:                            ;   in Loop: Header=BB6_23086 Depth=1
	s_add_i32 s8, s8, 1
                                        ; implicit-def: $vgpr0
	s_mov_b64 s[18:19], -1
	s_or_b64 s[14:15], s[14:15], exec
	s_and_saveexec_b64 s[20:21], s[16:17]
	s_cbranch_execz .LBB6_23085
	s_branch .LBB6_23084
.LBB6_23089:
	s_or_b64 exec, exec, s[4:5]
	s_mov_b64 s[4:5], exec
	buffer_load_dword v5, off, s[0:3], s33 offset:72 ; 4-byte Folded Reload
	s_and_b64 s[8:9], s[4:5], s[12:13]
	s_xor_b64 s[4:5], s[8:9], s[4:5]
	s_mov_b64 exec, s[8:9]
	s_cbranch_execz .LBB6_23091
; %bb.23090:
	ds_write_b32 v0, v0
	s_trap 2
.LBB6_23091:
	s_or_b64 exec, exec, s[10:11]
	s_waitcnt vmcnt(0)
	v_and_b32_e32 v0, 0x2000, v5
	v_cmp_ne_u32_e32 vcc, 0, v0
	s_and_saveexec_b64 s[4:5], vcc
	s_cbranch_execz .LBB6_23093
; %bb.23092:
	s_trap 2
	ds_read_b64 v[0:1], v0
	buffer_load_dword v2, off, s[0:3], s33 offset:696 ; 4-byte Folded Reload
	buffer_load_dword v3, off, s[0:3], s33 offset:700 ; 4-byte Folded Reload
	s_waitcnt vmcnt(0) lgkmcnt(0)
	flat_store_dwordx2 v[2:3], v[0:1] offset:16
.LBB6_23093:
	s_or_b64 exec, exec, s[4:5]
	v_cmp_ne_u32_e32 vcc, 64, v19
	s_and_b64 exec, exec, vcc
	s_cbranch_execz .LBB6_23111
; %bb.23094:
	buffer_load_dword v0, off, s[0:3], s33 offset:684 ; 4-byte Folded Reload
	s_waitcnt vmcnt(0)
	v_cmp_ne_u32_sdwa s[4:5], v19, v0 src0_sel:DWORD src1_sel:WORD_0
	s_and_saveexec_b64 s[8:9], s[4:5]
	s_xor_b64 s[4:5], exec, s[8:9]
	s_cbranch_execz .LBB6_23109
; %bb.23095:
	v_and_b32_e32 v0, 63, v31
	v_cmp_eq_u32_e32 vcc, 0, v0
	s_and_saveexec_b64 s[10:11], vcc
	s_cbranch_execz .LBB6_23108
; %bb.23096:
	s_mov_b64 s[14:15], exec
	v_mbcnt_lo_u32_b32 v0, s14, 0
	v_mbcnt_hi_u32_b32 v0, s15, v0
	v_cmp_eq_u32_e32 vcc, 0, v0
	s_waitcnt lgkmcnt(0)
	buffer_wbinvl1_vol
	s_and_saveexec_b64 s[12:13], vcc
	s_cbranch_execz .LBB6_23098
; %bb.23097:
	s_bcnt1_i32_b64 s8, s[14:15]
	v_mov_b32_e32 v0, s8
	v_mov_b32_e32 v1, 0
	ds_add_u64 v0, v[0:1]
	s_trap 2
.LBB6_23098:
	s_or_b64 exec, exec, s[12:13]
	v_lshrrev_b32_e32 v0, 6, v19
	s_trap 2
	ds_read_b64 v[2:3], v0
	s_waitcnt lgkmcnt(0)
	buffer_load_dword v4, off, s[0:3], s33 offset:76 ; 4-byte Folded Reload
	buffer_load_dword v5, off, s[0:3], s33 offset:80 ; 4-byte Folded Reload
	s_waitcnt vmcnt(1)
	v_add_co_u32_e32 v0, vcc, v4, v0
	s_waitcnt vmcnt(0)
	v_addc_co_u32_e32 v1, vcc, 0, v5, vcc
	v_cmp_lt_u64_e32 vcc, v[2:3], v[0:1]
	s_and_saveexec_b64 s[12:13], vcc
	s_cbranch_execz .LBB6_23107
; %bb.23099:
	s_mov_b32 s8, 0
	s_mov_b64 s[14:15], 0
                                        ; implicit-def: $sgpr16_sgpr17
                                        ; implicit-def: $sgpr18_sgpr19
	s_branch .LBB6_23101
.LBB6_23100:                            ;   in Loop: Header=BB6_23101 Depth=1
	s_or_b64 exec, exec, s[22:23]
	s_and_b64 s[20:21], exec, s[24:25]
	s_or_b64 s[14:15], s[20:21], s[14:15]
	s_andn2_b64 s[16:17], s[16:17], exec
	s_and_b64 s[20:21], s[18:19], exec
	s_or_b64 s[16:17], s[16:17], s[20:21]
	s_andn2_b64 exec, exec, s[14:15]
	s_cbranch_execz .LBB6_23105
.LBB6_23101:                            ; =>This Inner Loop Header: Depth=1
	s_add_i32 s8, s8, 1
	s_cmpk_lg_i32 s8, 0x2710
	s_cselect_b64 s[20:21], -1, 0
	s_and_b64 vcc, exec, s[20:21]
	s_cbranch_vccz .LBB6_23103
; %bb.23102:                            ;   in Loop: Header=BB6_23101 Depth=1
	s_mov_b64 s[24:25], -1
	s_or_b64 s[18:19], s[18:19], exec
	s_and_saveexec_b64 s[22:23], s[20:21]
	s_cbranch_execz .LBB6_23100
	s_branch .LBB6_23104
.LBB6_23103:                            ;   in Loop: Header=BB6_23101 Depth=1
	s_trap 2
	ds_read_b64 v[2:3], v0
	s_andn2_b64 s[20:21], s[20:21], exec
	s_mov_b32 s8, 0
	s_waitcnt lgkmcnt(0)
	flat_load_dword v2, v[2:3] glc
	s_waitcnt vmcnt(0) lgkmcnt(0)
	buffer_wbinvl1_vol
	v_cmp_eq_u32_e32 vcc, 0, v2
	s_and_b64 s[22:23], vcc, exec
	s_or_b64 s[20:21], s[20:21], s[22:23]
	s_mov_b64 s[24:25], -1
	s_or_b64 s[18:19], s[18:19], exec
	s_and_saveexec_b64 s[22:23], s[20:21]
	s_cbranch_execz .LBB6_23100
.LBB6_23104:                            ;   in Loop: Header=BB6_23101 Depth=1
	s_sleep 1
	s_trap 2
	ds_read_b64 v[2:3], v0
	s_waitcnt lgkmcnt(0)
	s_andn2_b64 s[18:19], s[18:19], exec
	v_cmp_ge_u64_e32 vcc, v[2:3], v[0:1]
	s_orn2_b64 s[24:25], vcc, exec
	s_branch .LBB6_23100
.LBB6_23105:
	s_or_b64 exec, exec, s[14:15]
	s_and_saveexec_b64 s[8:9], s[16:17]
	s_xor_b64 s[8:9], exec, s[8:9]
	s_cbranch_execz .LBB6_23107
; %bb.23106:
	v_mov_b32_e32 v0, 1
	ds_write_b32 v0, v0
	s_trap 2
.LBB6_23107:
	s_or_b64 exec, exec, s[12:13]
	;;#ASMSTART
	s_wakeup
	;;#ASMEND
.LBB6_23108:
	s_or_b64 exec, exec, s[10:11]
.LBB6_23109:
	s_andn2_saveexec_b64 s[4:5], s[4:5]
	s_cbranch_execz .LBB6_23111
; %bb.23110:
	s_waitcnt lgkmcnt(0)
	buffer_wbinvl1_vol
	s_barrier
.LBB6_23111:
	s_or_b64 exec, exec, s[6:7]
.LBB6_23112:
	v_readlane_b32 s4, v62, 0
	v_readlane_b32 s5, v62, 1
	s_andn2_saveexec_b64 s[26:27], s[4:5]
	s_cbranch_execz .LBB6_23114
; %bb.23113:
	s_getpc_b64 s[4:5]
	s_add_u32 s4, s4, __PRETTY_FUNCTION__._ZN10PrimitivesI14__hip_fp8_e4m313FuncPreMulSumIS0_E12FanSymmetricILi1EELi0E11ProtoSimpleILi2ELi2ELi0ELi4ELi0ELi0EELi0ELb0ELi0ELi0ELi0EEC2EiiPKiS9_PKvPvmhhhP15ncclDevWorkCollP14ncclDevWorkP2pii@rel32@lo+4
	s_addc_u32 s5, s5, __PRETTY_FUNCTION__._ZN10PrimitivesI14__hip_fp8_e4m313FuncPreMulSumIS0_E12FanSymmetricILi1EELi0E11ProtoSimpleILi2ELi2ELi0ELi4ELi0ELi0EELi0ELb0ELi0ELi0ELi0EEC2EiiPKiS9_PKvPvmhhhP15ncclDevWorkCollP14ncclDevWorkP2pii@rel32@hi+12
	s_getpc_b64 s[6:7]
	s_add_u32 s6, s6, __assert_fail@rel32@lo+4
	s_addc_u32 s7, s7, __assert_fail@rel32@hi+12
	s_mov_b64 s[8:9], s[28:29]
	v_mov_b32_e32 v0, s4
	v_mov_b32_e32 v1, s5
	s_swappc_b64 s[30:31], s[6:7]
	; divergent unreachable
.LBB6_23114:
	s_or_b64 exec, exec, s[26:27]
	buffer_load_dword v61, off, s[0:3], s33 ; 4-byte Folded Reload
	buffer_load_dword v60, off, s[0:3], s33 offset:4 ; 4-byte Folded Reload
	buffer_load_dword v59, off, s[0:3], s33 offset:8 ; 4-byte Folded Reload
	;; [unrolled: 1-line block ×13, first 2 shown]
	v_readlane_b32 s30, v63, 32
	v_readlane_b32 s31, v63, 33
	;; [unrolled: 1-line block ×34, first 2 shown]
	s_mov_b32 s32, s33
	v_readlane_b32 s4, v63, 34
	s_or_saveexec_b64 s[6:7], -1
	buffer_load_dword v63, off, s[0:3], s33 offset:704 ; 4-byte Folded Reload
	buffer_load_dword v62, off, s[0:3], s33 offset:708 ; 4-byte Folded Reload
	s_mov_b64 exec, s[6:7]
	s_mov_b32 s33, s4
	s_waitcnt vmcnt(0) lgkmcnt(0)
	s_setpc_b64 s[30:31]
.Lfunc_end6:
	.size	_ZN12_GLOBAL__N_17runRingI14__hip_fp8_e4m313FuncPreMulSumIS1_E11ProtoSimpleILi2ELi2ELi0ELi4ELi0ELi0EELi0ELi0ELi4ELi0EEEviiP15ncclDevWorkColl, .Lfunc_end6-_ZN12_GLOBAL__N_17runRingI14__hip_fp8_e4m313FuncPreMulSumIS1_E11ProtoSimpleILi2ELi2ELi0ELi4ELi0ELi0EELi0ELi0ELi4ELi0EEEviiP15ncclDevWorkColl
                                        ; -- End function
	.set .L_ZN12_GLOBAL__N_17runRingI14__hip_fp8_e4m313FuncPreMulSumIS1_E11ProtoSimpleILi2ELi2ELi0ELi4ELi0ELi0EELi0ELi0ELi4ELi0EEEviiP15ncclDevWorkColl.num_vgpr, max(64, .L__assert_fail.num_vgpr)
	.set .L_ZN12_GLOBAL__N_17runRingI14__hip_fp8_e4m313FuncPreMulSumIS1_E11ProtoSimpleILi2ELi2ELi0ELi4ELi0ELi0EELi0ELi0ELi4ELi0EEEviiP15ncclDevWorkColl.num_agpr, max(0, .L__assert_fail.num_agpr)
	.set .L_ZN12_GLOBAL__N_17runRingI14__hip_fp8_e4m313FuncPreMulSumIS1_E11ProtoSimpleILi2ELi2ELi0ELi4ELi0ELi0EELi0ELi0ELi4ELi0EEEviiP15ncclDevWorkColl.numbered_sgpr, max(100, .L__assert_fail.numbered_sgpr)
	.set .L_ZN12_GLOBAL__N_17runRingI14__hip_fp8_e4m313FuncPreMulSumIS1_E11ProtoSimpleILi2ELi2ELi0ELi4ELi0ELi0EELi0ELi0ELi4ELi0EEEviiP15ncclDevWorkColl.num_named_barrier, max(0, .L__assert_fail.num_named_barrier)
	.set .L_ZN12_GLOBAL__N_17runRingI14__hip_fp8_e4m313FuncPreMulSumIS1_E11ProtoSimpleILi2ELi2ELi0ELi4ELi0ELi0EELi0ELi0ELi4ELi0EEEviiP15ncclDevWorkColl.private_seg_size, 720+max(.L__assert_fail.private_seg_size)
	.set .L_ZN12_GLOBAL__N_17runRingI14__hip_fp8_e4m313FuncPreMulSumIS1_E11ProtoSimpleILi2ELi2ELi0ELi4ELi0ELi0EELi0ELi0ELi4ELi0EEEviiP15ncclDevWorkColl.uses_vcc, or(1, .L__assert_fail.uses_vcc)
	.set .L_ZN12_GLOBAL__N_17runRingI14__hip_fp8_e4m313FuncPreMulSumIS1_E11ProtoSimpleILi2ELi2ELi0ELi4ELi0ELi0EELi0ELi0ELi4ELi0EEEviiP15ncclDevWorkColl.uses_flat_scratch, or(0, .L__assert_fail.uses_flat_scratch)
	.set .L_ZN12_GLOBAL__N_17runRingI14__hip_fp8_e4m313FuncPreMulSumIS1_E11ProtoSimpleILi2ELi2ELi0ELi4ELi0ELi0EELi0ELi0ELi4ELi0EEEviiP15ncclDevWorkColl.has_dyn_sized_stack, or(0, .L__assert_fail.has_dyn_sized_stack)
	.set .L_ZN12_GLOBAL__N_17runRingI14__hip_fp8_e4m313FuncPreMulSumIS1_E11ProtoSimpleILi2ELi2ELi0ELi4ELi0ELi0EELi0ELi0ELi4ELi0EEEviiP15ncclDevWorkColl.has_recursion, or(1, .L__assert_fail.has_recursion)
	.set .L_ZN12_GLOBAL__N_17runRingI14__hip_fp8_e4m313FuncPreMulSumIS1_E11ProtoSimpleILi2ELi2ELi0ELi4ELi0ELi0EELi0ELi0ELi4ELi0EEEviiP15ncclDevWorkColl.has_indirect_call, or(0, .L__assert_fail.has_indirect_call)
	.section	.AMDGPU.csdata,"",@progbits
; Function info:
; codeLenInByte = 677324
; TotalNumSgprs: 104
; NumVgprs: 64
; ScratchSize: 784
; MemoryBound: 1
	.text
	.p2align	2                               ; -- Begin function _Z56ncclDevFunc_AllReduce_RING_SIMPLE_PreMulSum_f8e4m3_0_0_4v
	.type	_Z56ncclDevFunc_AllReduce_RING_SIMPLE_PreMulSum_f8e4m3_0_0_4v,@function
_Z56ncclDevFunc_AllReduce_RING_SIMPLE_PreMulSum_f8e4m3_0_0_4v: ; @_Z56ncclDevFunc_AllReduce_RING_SIMPLE_PreMulSum_f8e4m3_0_0_4v
; %bb.0:
	s_waitcnt vmcnt(0) expcnt(0) lgkmcnt(0)
	s_mov_b32 s4, s33
	s_mov_b32 s33, s32
	s_or_saveexec_b64 s[6:7], -1
	buffer_store_dword v43, off, s[0:3], s33 offset:20 ; 4-byte Folded Spill
	buffer_store_dword v44, off, s[0:3], s33 offset:24 ; 4-byte Folded Spill
	s_mov_b64 exec, s[6:7]
	v_writelane_b32 v44, s4, 38
	v_writelane_b32 v44, s100, 36
	;; [unrolled: 1-line block ×3, first 2 shown]
	s_addk_i32 s32, 0x800
	buffer_store_dword v40, off, s[0:3], s33 offset:12 ; 4-byte Folded Spill
	buffer_store_dword v41, off, s[0:3], s33 offset:8 ; 4-byte Folded Spill
	;; [unrolled: 1-line block ×3, first 2 shown]
	buffer_store_dword v62, off, s[0:3], s33 ; 4-byte Folded Spill
	v_writelane_b32 v44, s34, 0
	v_writelane_b32 v44, s35, 1
	;; [unrolled: 1-line block ×36, first 2 shown]
	s_trap 2
	ds_read_b32 v0, v0
	v_mov_b32_e32 v40, v31
                                        ; implicit-def: $vgpr43 : SGPR spill to VGPR lane
	v_and_b32_e32 v41, 0x3ff, v40
	v_writelane_b32 v43, s12, 0
	v_writelane_b32 v43, s8, 1
	s_waitcnt lgkmcnt(0)
	v_cmp_lt_i32_e32 vcc, v41, v0
	v_writelane_b32 v43, s9, 2
	s_and_saveexec_b64 s[4:5], vcc
	s_cbranch_execz .LBB7_5
; %bb.1:
	v_readlane_b32 s8, v43, 1
	v_readlane_b32 s9, v43, 2
	s_load_dword s6, s[8:9], 0x0
	v_readlane_b32 s7, v43, 0
	v_mov_b32_e32 v1, 0
	s_mov_b32 s10, 0
	v_mov_b32_e32 v4, v41
	s_waitcnt lgkmcnt(0)
	s_cmp_lt_u32 s7, s6
	s_cselect_b32 s6, 12, 18
	s_add_u32 s6, s8, s6
	s_addc_u32 s7, s9, 0
	global_load_ushort v1, v1, s[6:7]
	s_trap 2
	ds_read_b32 v2, v0
	s_mov_b64 s[6:7], 0
                                        ; implicit-def: $vgpr3
	s_waitcnt vmcnt(0) lgkmcnt(0)
	v_mul_lo_u32 v2, v2, v1
	s_branch .LBB7_3
.LBB7_2:                                ;   in Loop: Header=BB7_3 Depth=1
	s_or_b64 exec, exec, s[8:9]
	v_add_u32_e32 v4, v4, v1
	v_cmp_ge_i32_e32 vcc, v4, v0
	s_or_b64 s[6:7], vcc, s[6:7]
	v_add_u32_e32 v3, v3, v2
	s_andn2_b64 exec, exec, s[6:7]
	s_cbranch_execz .LBB7_5
.LBB7_3:                                ; =>This Inner Loop Header: Depth=1
	ds_read_b32 v5, v3
	s_waitcnt lgkmcnt(0)
	v_and_b32_e32 v5, 0x1000000, v5
	v_cmp_ne_u32_e32 vcc, 0, v5
	s_and_saveexec_b64 s[8:9], vcc
	s_cbranch_execz .LBB7_2
; %bb.4:                                ;   in Loop: Header=BB7_3 Depth=1
	ds_read_b64 v[5:6], v3 offset:104
	s_waitcnt lgkmcnt(0)
	flat_load_ubyte v5, v[5:6]
	v_mov_b32_e32 v6, s10
	s_waitcnt vmcnt(0) lgkmcnt(0)
	v_and_b32_e32 v5, 0xffff, v5
	ds_write_b64 v3, v[5:6] offset:104
	s_branch .LBB7_2
.LBB7_5:
	s_or_b64 exec, exec, s[4:5]
	s_waitcnt vmcnt(0) lgkmcnt(0)
	s_barrier
	s_trap 2
	ds_read_b32 v0, v0
	s_waitcnt lgkmcnt(0)
	v_cmp_gt_i32_e32 vcc, 1, v0
	s_cbranch_vccnz .LBB7_13
; %bb.6:
	s_mov_b32 s6, 0
	v_mov_b32_e32 v42, 6
	s_branch .LBB7_8
.LBB7_7:                                ;   in Loop: Header=BB7_8 Depth=1
	s_or_b64 exec, exec, s[8:9]
	s_trap 2
	ds_read_b32 v0, v0
	s_add_i32 s6, s6, 1
	s_waitcnt lgkmcnt(0)
	v_cmp_lt_i32_e32 vcc, s6, v0
	s_cbranch_vccz .LBB7_13
.LBB7_8:                                ; =>This Inner Loop Header: Depth=1
	s_trap 2
	ds_read_b32 v0, v0
	s_cmp_eq_u32 s6, 0
	s_cbranch_scc1 .LBB7_11
; %bb.9:                                ;   in Loop: Header=BB7_8 Depth=1
	s_trap 2
	s_waitcnt lgkmcnt(0)
	ds_read_b32 v1, v0
	s_waitcnt lgkmcnt(0)
	v_xor_b32_e32 v1, v1, v0
	v_and_b32_e32 v1, 0xff0000, v1
	v_cmp_eq_u32_e32 vcc, 0, v1
	s_cbranch_vccnz .LBB7_11
; %bb.10:                               ;   in Loop: Header=BB7_8 Depth=1
	s_barrier
	ds_read_b32 v0, v0
.LBB7_11:                               ;   in Loop: Header=BB7_8 Depth=1
	s_waitcnt lgkmcnt(0)
	v_lshlrev_b32_sdwa v1, v42, v0 dst_sel:DWORD dst_unused:UNUSED_PAD src0_sel:DWORD src1_sel:BYTE_2
	v_cmp_lt_u32_e32 vcc, v41, v1
	s_and_saveexec_b64 s[8:9], vcc
	s_cbranch_execz .LBB7_7
; %bb.12:                               ;   in Loop: Header=BB7_8 Depth=1
	v_writelane_b32 v43, s6, 3
	v_writelane_b32 v43, s8, 4
	s_mov_b64 s[4:5], src_shared_base
	s_getpc_b64 s[6:7]
	s_add_u32 s6, s6, _ZN12_GLOBAL__N_17runRingI14__hip_fp8_e4m313FuncPreMulSumIS1_E11ProtoSimpleILi2ELi2ELi0ELi4ELi0ELi0EELi0ELi0ELi4ELi0EEEviiP15ncclDevWorkColl@rel32@lo+4
	s_addc_u32 s7, s7, _ZN12_GLOBAL__N_17runRingI14__hip_fp8_e4m313FuncPreMulSumIS1_E11ProtoSimpleILi2ELi2ELi0ELi4ELi0ELi0EELi0ELi0ELi4ELi0EEEviiP15ncclDevWorkColl@rel32@hi+12
	v_writelane_b32 v43, s9, 5
	s_or_saveexec_b64 s[100:101], -1
	buffer_store_dword v43, off, s[0:3], s33 offset:16 ; 4-byte Folded Spill
	s_mov_b64 exec, s[100:101]
	v_readlane_b32 s8, v43, 1
	v_readlane_b32 s9, v43, 2
	;; [unrolled: 1-line block ×3, first 2 shown]
	v_mov_b32_e32 v31, v40
	v_mov_b32_e32 v0, v41
	;; [unrolled: 1-line block ×3, first 2 shown]
	s_swappc_b64 s[30:31], s[6:7]
	s_or_saveexec_b64 s[100:101], -1
	buffer_load_dword v43, off, s[0:3], s33 offset:16 ; 4-byte Folded Reload
	s_mov_b64 exec, s[100:101]
	s_waitcnt vmcnt(0)
	v_readlane_b32 s8, v43, 4
	v_readlane_b32 s9, v43, 5
	;; [unrolled: 1-line block ×3, first 2 shown]
	s_branch .LBB7_7
.LBB7_13:
	buffer_load_dword v62, off, s[0:3], s33 ; 4-byte Folded Reload
	buffer_load_dword v42, off, s[0:3], s33 offset:4 ; 4-byte Folded Reload
	buffer_load_dword v41, off, s[0:3], s33 offset:8 ; 4-byte Folded Reload
	;; [unrolled: 1-line block ×3, first 2 shown]
	v_readlane_b32 s30, v44, 34
	v_readlane_b32 s31, v44, 35
	;; [unrolled: 1-line block ×36, first 2 shown]
	s_mov_b32 s32, s33
	v_readlane_b32 s4, v44, 38
	v_readlane_b32 s100, v44, 36
	;; [unrolled: 1-line block ×3, first 2 shown]
	s_or_saveexec_b64 s[6:7], -1
	buffer_load_dword v43, off, s[0:3], s33 offset:20 ; 4-byte Folded Reload
	buffer_load_dword v44, off, s[0:3], s33 offset:24 ; 4-byte Folded Reload
	s_mov_b64 exec, s[6:7]
	s_mov_b32 s33, s4
	s_waitcnt vmcnt(0)
	s_setpc_b64 s[30:31]
.Lfunc_end7:
	.size	_Z56ncclDevFunc_AllReduce_RING_SIMPLE_PreMulSum_f8e4m3_0_0_4v, .Lfunc_end7-_Z56ncclDevFunc_AllReduce_RING_SIMPLE_PreMulSum_f8e4m3_0_0_4v
                                        ; -- End function
	.set .L_Z56ncclDevFunc_AllReduce_RING_SIMPLE_PreMulSum_f8e4m3_0_0_4v.num_vgpr, max(63, .L_ZN12_GLOBAL__N_17runRingI14__hip_fp8_e4m313FuncPreMulSumIS1_E11ProtoSimpleILi2ELi2ELi0ELi4ELi0ELi0EELi0ELi0ELi4ELi0EEEviiP15ncclDevWorkColl.num_vgpr)
	.set .L_Z56ncclDevFunc_AllReduce_RING_SIMPLE_PreMulSum_f8e4m3_0_0_4v.num_agpr, max(0, .L_ZN12_GLOBAL__N_17runRingI14__hip_fp8_e4m313FuncPreMulSumIS1_E11ProtoSimpleILi2ELi2ELi0ELi4ELi0ELi0EELi0ELi0ELi4ELi0EEEviiP15ncclDevWorkColl.num_agpr)
	.set .L_Z56ncclDevFunc_AllReduce_RING_SIMPLE_PreMulSum_f8e4m3_0_0_4v.numbered_sgpr, max(102, .L_ZN12_GLOBAL__N_17runRingI14__hip_fp8_e4m313FuncPreMulSumIS1_E11ProtoSimpleILi2ELi2ELi0ELi4ELi0ELi0EELi0ELi0ELi4ELi0EEEviiP15ncclDevWorkColl.numbered_sgpr)
	.set .L_Z56ncclDevFunc_AllReduce_RING_SIMPLE_PreMulSum_f8e4m3_0_0_4v.num_named_barrier, max(0, .L_ZN12_GLOBAL__N_17runRingI14__hip_fp8_e4m313FuncPreMulSumIS1_E11ProtoSimpleILi2ELi2ELi0ELi4ELi0ELi0EELi0ELi0ELi4ELi0EEEviiP15ncclDevWorkColl.num_named_barrier)
	.set .L_Z56ncclDevFunc_AllReduce_RING_SIMPLE_PreMulSum_f8e4m3_0_0_4v.private_seg_size, 32+max(.L_ZN12_GLOBAL__N_17runRingI14__hip_fp8_e4m313FuncPreMulSumIS1_E11ProtoSimpleILi2ELi2ELi0ELi4ELi0ELi0EELi0ELi0ELi4ELi0EEEviiP15ncclDevWorkColl.private_seg_size)
	.set .L_Z56ncclDevFunc_AllReduce_RING_SIMPLE_PreMulSum_f8e4m3_0_0_4v.uses_vcc, or(1, .L_ZN12_GLOBAL__N_17runRingI14__hip_fp8_e4m313FuncPreMulSumIS1_E11ProtoSimpleILi2ELi2ELi0ELi4ELi0ELi0EELi0ELi0ELi4ELi0EEEviiP15ncclDevWorkColl.uses_vcc)
	.set .L_Z56ncclDevFunc_AllReduce_RING_SIMPLE_PreMulSum_f8e4m3_0_0_4v.uses_flat_scratch, or(0, .L_ZN12_GLOBAL__N_17runRingI14__hip_fp8_e4m313FuncPreMulSumIS1_E11ProtoSimpleILi2ELi2ELi0ELi4ELi0ELi0EELi0ELi0ELi4ELi0EEEviiP15ncclDevWorkColl.uses_flat_scratch)
	.set .L_Z56ncclDevFunc_AllReduce_RING_SIMPLE_PreMulSum_f8e4m3_0_0_4v.has_dyn_sized_stack, or(0, .L_ZN12_GLOBAL__N_17runRingI14__hip_fp8_e4m313FuncPreMulSumIS1_E11ProtoSimpleILi2ELi2ELi0ELi4ELi0ELi0EELi0ELi0ELi4ELi0EEEviiP15ncclDevWorkColl.has_dyn_sized_stack)
	.set .L_Z56ncclDevFunc_AllReduce_RING_SIMPLE_PreMulSum_f8e4m3_0_0_4v.has_recursion, or(1, .L_ZN12_GLOBAL__N_17runRingI14__hip_fp8_e4m313FuncPreMulSumIS1_E11ProtoSimpleILi2ELi2ELi0ELi4ELi0ELi0EELi0ELi0ELi4ELi0EEEviiP15ncclDevWorkColl.has_recursion)
	.set .L_Z56ncclDevFunc_AllReduce_RING_SIMPLE_PreMulSum_f8e4m3_0_0_4v.has_indirect_call, or(0, .L_ZN12_GLOBAL__N_17runRingI14__hip_fp8_e4m313FuncPreMulSumIS1_E11ProtoSimpleILi2ELi2ELi0ELi4ELi0ELi0EELi0ELi0ELi4ELi0EEEviiP15ncclDevWorkColl.has_indirect_call)
	.section	.AMDGPU.csdata,"",@progbits
; Function info:
; codeLenInByte = 1372
; TotalNumSgprs: 106
; NumVgprs: 64
; ScratchSize: 816
; MemoryBound: 0
	.section	.AMDGPU.gpr_maximums,"",@progbits
	.set amdgpu.max_num_vgpr, 64
	.set amdgpu.max_num_agpr, 0
	.set amdgpu.max_num_sgpr, 102
	.section	.AMDGPU.csdata,"",@progbits
	.type	__const.__assert_fail.fmt,@object ; @__const.__assert_fail.fmt
	.section	.rodata.str1.16,"aMS",@progbits,1
	.p2align	4, 0x0
__const.__assert_fail.fmt:
	.asciz	"%s:%u: %s: Device-side assertion `%s' failed.\n"
	.size	__const.__assert_fail.fmt, 47

	.type	.str.3,@object                  ; @.str.3
	.section	.rodata.str1.1,"aMS",@progbits,1
.str.3:
	.asciz	"2*(nrecv+nsend) <= nthreads"
	.size	.str.3, 28

	.type	.str.4,@object                  ; @.str.4
.str.4:
	.asciz	"/root/src/amdgpu-assembly/repos/ROCm__rccl/hipify/src/device/prims_simple.h"
	.size	.str.4, 76

	.type	__PRETTY_FUNCTION__._ZN10PrimitivesI14__hip_fp8_e4m313FuncPreMulSumIS0_E12FanSymmetricILi1EELi0E11ProtoSimpleILi2ELi2ELi0ELi1ELi0ELi0EELi0ELb0ELi0ELi0ELi0EEC2EiiPKiS9_PKvPvmhhhP15ncclDevWorkCollP14ncclDevWorkP2pii,@object ; @__PRETTY_FUNCTION__._ZN10PrimitivesI14__hip_fp8_e4m313FuncPreMulSumIS0_E12FanSymmetricILi1EELi0E11ProtoSimpleILi2ELi2ELi0ELi1ELi0ELi0EELi0ELb0ELi0ELi0ELi0EEC2EiiPKiS9_PKvPvmhhhP15ncclDevWorkCollP14ncclDevWorkP2pii
__PRETTY_FUNCTION__._ZN10PrimitivesI14__hip_fp8_e4m313FuncPreMulSumIS0_E12FanSymmetricILi1EELi0E11ProtoSimpleILi2ELi2ELi0ELi1ELi0ELi0EELi0ELb0ELi0ELi0ELi0EEC2EiiPKiS9_PKvPvmhhhP15ncclDevWorkCollP14ncclDevWorkP2pii:
	.asciz	"Primitives<__hip_fp8_e4m3, FuncPreMulSum<rccl_float8>, FanSymmetric<1>, 0, ProtoSimple<2, 2, 0, 1>, 0>::Primitives(int, int, const int *, const int *, const void *, void *, uint64_t, uint8_t, uint8_t, uint8_t, struct ncclDevWorkColl *, struct ncclDevWorkP2p *, int, int) [T = __hip_fp8_e4m3, RedOp = FuncPreMulSum<rccl_float8>, Fan = FanSymmetric<1>, Direct = 0, Proto = ProtoSimple<2, 2, 0, 1>, P2p = 0, isNetOffload = false, Metadata = 0, Pipeline = 0, useAcc = 0]"
	.size	__PRETTY_FUNCTION__._ZN10PrimitivesI14__hip_fp8_e4m313FuncPreMulSumIS0_E12FanSymmetricILi1EELi0E11ProtoSimpleILi2ELi2ELi0ELi1ELi0ELi0EELi0ELb0ELi0ELi0ELi0EEC2EiiPKiS9_PKvPvmhhhP15ncclDevWorkCollP14ncclDevWorkP2pii, 467

	.type	__PRETTY_FUNCTION__._ZN10PrimitivesI14__hip_fp8_e4m313FuncPreMulSumIS0_E12FanSymmetricILi1EELi0E11ProtoSimpleILi2ELi2ELi0ELi2ELi0ELi0EELi0ELb0ELi0ELi0ELi0EEC2EiiPKiS9_PKvPvmhhhP15ncclDevWorkCollP14ncclDevWorkP2pii,@object ; @__PRETTY_FUNCTION__._ZN10PrimitivesI14__hip_fp8_e4m313FuncPreMulSumIS0_E12FanSymmetricILi1EELi0E11ProtoSimpleILi2ELi2ELi0ELi2ELi0ELi0EELi0ELb0ELi0ELi0ELi0EEC2EiiPKiS9_PKvPvmhhhP15ncclDevWorkCollP14ncclDevWorkP2pii
__PRETTY_FUNCTION__._ZN10PrimitivesI14__hip_fp8_e4m313FuncPreMulSumIS0_E12FanSymmetricILi1EELi0E11ProtoSimpleILi2ELi2ELi0ELi2ELi0ELi0EELi0ELb0ELi0ELi0ELi0EEC2EiiPKiS9_PKvPvmhhhP15ncclDevWorkCollP14ncclDevWorkP2pii:
	.asciz	"Primitives<__hip_fp8_e4m3, FuncPreMulSum<rccl_float8>, FanSymmetric<1>, 0, ProtoSimple<2, 2, 0, 2>, 0>::Primitives(int, int, const int *, const int *, const void *, void *, uint64_t, uint8_t, uint8_t, uint8_t, struct ncclDevWorkColl *, struct ncclDevWorkP2p *, int, int) [T = __hip_fp8_e4m3, RedOp = FuncPreMulSum<rccl_float8>, Fan = FanSymmetric<1>, Direct = 0, Proto = ProtoSimple<2, 2, 0, 2>, P2p = 0, isNetOffload = false, Metadata = 0, Pipeline = 0, useAcc = 0]"
	.size	__PRETTY_FUNCTION__._ZN10PrimitivesI14__hip_fp8_e4m313FuncPreMulSumIS0_E12FanSymmetricILi1EELi0E11ProtoSimpleILi2ELi2ELi0ELi2ELi0ELi0EELi0ELb0ELi0ELi0ELi0EEC2EiiPKiS9_PKvPvmhhhP15ncclDevWorkCollP14ncclDevWorkP2pii, 467

	.type	__PRETTY_FUNCTION__._ZN10PrimitivesI14__hip_fp8_e4m313FuncPreMulSumIS0_E12FanSymmetricILi1EELi0E11ProtoSimpleILi2ELi2ELi0ELi4ELi0ELi0EELi0ELb0ELi0ELi0ELi0EEC2EiiPKiS9_PKvPvmhhhP15ncclDevWorkCollP14ncclDevWorkP2pii,@object ; @__PRETTY_FUNCTION__._ZN10PrimitivesI14__hip_fp8_e4m313FuncPreMulSumIS0_E12FanSymmetricILi1EELi0E11ProtoSimpleILi2ELi2ELi0ELi4ELi0ELi0EELi0ELb0ELi0ELi0ELi0EEC2EiiPKiS9_PKvPvmhhhP15ncclDevWorkCollP14ncclDevWorkP2pii
__PRETTY_FUNCTION__._ZN10PrimitivesI14__hip_fp8_e4m313FuncPreMulSumIS0_E12FanSymmetricILi1EELi0E11ProtoSimpleILi2ELi2ELi0ELi4ELi0ELi0EELi0ELb0ELi0ELi0ELi0EEC2EiiPKiS9_PKvPvmhhhP15ncclDevWorkCollP14ncclDevWorkP2pii:
	.asciz	"Primitives<__hip_fp8_e4m3, FuncPreMulSum<rccl_float8>, FanSymmetric<1>, 0, ProtoSimple<2, 2, 0, 4>, 0>::Primitives(int, int, const int *, const int *, const void *, void *, uint64_t, uint8_t, uint8_t, uint8_t, struct ncclDevWorkColl *, struct ncclDevWorkP2p *, int, int) [T = __hip_fp8_e4m3, RedOp = FuncPreMulSum<rccl_float8>, Fan = FanSymmetric<1>, Direct = 0, Proto = ProtoSimple<2, 2, 0, 4>, P2p = 0, isNetOffload = false, Metadata = 0, Pipeline = 0, useAcc = 0]"
	.size	__PRETTY_FUNCTION__._ZN10PrimitivesI14__hip_fp8_e4m313FuncPreMulSumIS0_E12FanSymmetricILi1EELi0E11ProtoSimpleILi2ELi2ELi0ELi4ELi0ELi0EELi0ELb0ELi0ELi0ELi0EEC2EiiPKiS9_PKvPvmhhhP15ncclDevWorkCollP14ncclDevWorkP2pii, 467

	.type	__hip_cuid_ea335d01eef843da,@object ; @__hip_cuid_ea335d01eef843da
	.section	.bss,"aw",@nobits
	.globl	__hip_cuid_ea335d01eef843da
__hip_cuid_ea335d01eef843da:
	.byte	0                               ; 0x0
	.size	__hip_cuid_ea335d01eef843da, 1

	.ident	"AMD clang version 22.0.0git (https://github.com/RadeonOpenCompute/llvm-project roc-7.2.4 26084 f58b06dce1f9c15707c5f808fd002e18c2accf7e)"
	.section	".note.GNU-stack","",@progbits
	.addrsig
	.addrsig_sym _Z56ncclDevFunc_AllReduce_RING_SIMPLE_PreMulSum_f8e4m3_0_0_1v
	.addrsig_sym _Z56ncclDevFunc_AllReduce_RING_SIMPLE_PreMulSum_f8e4m3_0_0_2v
	.addrsig_sym _Z56ncclDevFunc_AllReduce_RING_SIMPLE_PreMulSum_f8e4m3_0_0_4v
	.addrsig_sym ncclShmem
	.addrsig_sym __hip_cuid_ea335d01eef843da
	.amdgpu_metadata
---
amdhsa.kernels:  []
amdhsa.target:   amdgcn-amd-amdhsa--gfx906
amdhsa.version:
  - 1
  - 2
...

	.end_amdgpu_metadata
